;; amdgpu-corpus repo=ROCm/rccl kind=compiled arch=gfx1250 opt=O3
	.amdgcn_target "amdgcn-amd-amdhsa--gfx1250"
	.amdhsa_code_object_version 6
	.text
	.p2align	2                               ; -- Begin function __ockl_fprintf_append_string_n
	.type	__ockl_fprintf_append_string_n,@function
__ockl_fprintf_append_string_n:         ; @__ockl_fprintf_append_string_n
; %bb.0:
	s_wait_loadcnt_dscnt 0x0
	s_wait_kmcnt 0x0
	v_or_b32_e32 v2, 2, v0
	v_cmp_eq_u32_e32 vcc_lo, 0, v6
	v_mbcnt_lo_u32_b32 v30, -1, 0
	s_get_pc_i64 s[0:1]
	s_add_nc_u64 s[0:1], s[0:1], .str.3@rel64+4
	s_mov_b32 s6, 0
	s_cmp_lg_u64 s[0:1], 0
	v_cndmask_b32_e32 v3, v2, v0, vcc_lo
	s_cbranch_scc0 .LBB0_113
; %bb.1:
	s_load_b64 s[2:3], s[8:9], 0x50
	s_delay_alu instid0(VALU_DEP_1) | instskip(SKIP_3) | instid1(VALU_DEP_4)
	v_dual_mov_b32 v7, 0 :: v_dual_bitop2_b32 v0, -3, v3 bitop3:0x40
	v_mov_b64_e32 v[8:9], 0x100000002
	v_mov_b64_e32 v[32:33], s[0:1]
	v_and_b32_e32 v2, 2, v3
	v_mov_b64_e32 v[10:11], v[0:1]
	s_mov_b32 s7, 0
	s_branch .LBB0_3
.LBB0_2:                                ;   in Loop: Header=BB0_3 Depth=1
	s_or_b32 exec_lo, exec_lo, s10
	v_sub_nc_u64_e32 v[4:5], v[4:5], v[34:35]
	v_add_nc_u64_e32 v[32:33], v[32:33], v[34:35]
	s_delay_alu instid0(VALU_DEP_2) | instskip(SKIP_1) | instid1(SALU_CYCLE_1)
	v_cmp_eq_u64_e32 vcc_lo, 0, v[4:5]
	s_or_b32 s7, vcc_lo, s7
	s_and_not1_b32 exec_lo, exec_lo, s7
	s_cbranch_execz .LBB0_85
.LBB0_3:                                ; =>This Loop Header: Depth=1
                                        ;     Child Loop BB0_6 Depth 2
                                        ;     Child Loop BB0_14 Depth 2
	;; [unrolled: 1-line block ×11, first 2 shown]
	v_min_u64 v[34:35], v[4:5], 56
	s_delay_alu instid0(VALU_DEP_3)
	v_add_nc_u64_e32 v[16:17], 8, v[32:33]
	s_mov_b32 s0, exec_lo
	v_cmpx_gt_u64_e32 8, v[4:5]
	s_xor_b32 s4, exec_lo, s0
	s_cbranch_execz .LBB0_9
; %bb.4:                                ;   in Loop: Header=BB0_3 Depth=1
	s_wait_loadcnt 0x0
	v_mov_b64_e32 v[12:13], 0
	s_mov_b32 s5, exec_lo
	v_cmpx_ne_u64_e32 0, v[4:5]
	s_cbranch_execz .LBB0_8
; %bb.5:                                ;   in Loop: Header=BB0_3 Depth=1
	v_mov_b64_e32 v[12:13], 0
	v_mov_b64_e32 v[14:15], v[32:33]
	v_lshlrev_b32_e32 v0, 3, v34
	s_mov_b64 s[0:1], 0
	s_mov_b32 s10, 0
.LBB0_6:                                ;   Parent Loop BB0_3 Depth=1
                                        ; =>  This Inner Loop Header: Depth=2
	global_load_u8 v6, v[14:15], off
	v_mov_b32_e32 v17, s6
	s_wait_xcnt 0x0
	v_add_nc_u64_e32 v[14:15], 1, v[14:15]
	s_wait_loadcnt 0x0
	v_and_b32_e32 v16, 0xffff, v6
	s_delay_alu instid0(VALU_DEP_1) | instskip(SKIP_1) | instid1(SALU_CYCLE_1)
	v_lshlrev_b64_e32 v[16:17], s0, v[16:17]
	s_add_nc_u64 s[0:1], s[0:1], 8
	v_cmp_eq_u32_e32 vcc_lo, s0, v0
	s_delay_alu instid0(VALU_DEP_2) | instskip(NEXT) | instid1(VALU_DEP_3)
	v_or_b32_e32 v13, v17, v13
	v_or_b32_e32 v12, v16, v12
	s_or_b32 s10, vcc_lo, s10
	s_delay_alu instid0(SALU_CYCLE_1)
	s_and_not1_b32 exec_lo, exec_lo, s10
	s_cbranch_execnz .LBB0_6
; %bb.7:                                ;   in Loop: Header=BB0_3 Depth=1
	s_or_b32 exec_lo, exec_lo, s10
.LBB0_8:                                ;   in Loop: Header=BB0_3 Depth=1
	s_delay_alu instid0(SALU_CYCLE_1)
	s_or_b32 exec_lo, exec_lo, s5
	v_mov_b64_e32 v[16:17], v[32:33]
.LBB0_9:                                ;   in Loop: Header=BB0_3 Depth=1
	s_or_saveexec_b32 s0, s4
	v_mov_b32_e32 v0, 0
	s_xor_b32 exec_lo, exec_lo, s0
	s_cbranch_execz .LBB0_11
; %bb.10:                               ;   in Loop: Header=BB0_3 Depth=1
	s_wait_loadcnt 0x0
	global_load_b64 v[12:13], v[32:33], off
	v_add_nc_u32_e32 v0, -8, v34
.LBB0_11:                               ;   in Loop: Header=BB0_3 Depth=1
	s_wait_xcnt 0x0
	s_or_b32 exec_lo, exec_lo, s0
	v_add_nc_u64_e32 v[18:19], 8, v[16:17]
                                        ; implicit-def: $vgpr14_vgpr15
	s_mov_b32 s0, exec_lo
	v_cmpx_gt_u32_e32 8, v0
	s_xor_b32 s10, exec_lo, s0
	s_cbranch_execz .LBB0_17
; %bb.12:                               ;   in Loop: Header=BB0_3 Depth=1
	v_mov_b64_e32 v[14:15], 0
	s_mov_b32 s11, exec_lo
	v_cmpx_ne_u32_e32 0, v0
	s_cbranch_execz .LBB0_16
; %bb.13:                               ;   in Loop: Header=BB0_3 Depth=1
	v_mov_b64_e32 v[14:15], 0
	s_mov_b64 s[0:1], 0
	s_mov_b32 s12, 0
	s_mov_b64 s[4:5], 0
.LBB0_14:                               ;   Parent Loop BB0_3 Depth=1
                                        ; =>  This Inner Loop Header: Depth=2
	s_delay_alu instid0(SALU_CYCLE_1) | instskip(SKIP_1) | instid1(SALU_CYCLE_1)
	v_add_nc_u64_e32 v[18:19], s[4:5], v[16:17]
	s_add_nc_u64 s[4:5], s[4:5], 1
	v_cmp_eq_u32_e32 vcc_lo, s4, v0
	global_load_u8 v6, v[18:19], off
	s_wait_xcnt 0x0
	v_mov_b32_e32 v19, s6
	s_or_b32 s12, vcc_lo, s12
	s_wait_loadcnt 0x0
	v_and_b32_e32 v18, 0xffff, v6
	s_delay_alu instid0(VALU_DEP_1) | instskip(SKIP_1) | instid1(VALU_DEP_1)
	v_lshlrev_b64_e32 v[18:19], s0, v[18:19]
	s_add_nc_u64 s[0:1], s[0:1], 8
	v_or_b32_e32 v15, v19, v15
	s_delay_alu instid0(VALU_DEP_2)
	v_or_b32_e32 v14, v18, v14
	s_and_not1_b32 exec_lo, exec_lo, s12
	s_cbranch_execnz .LBB0_14
; %bb.15:                               ;   in Loop: Header=BB0_3 Depth=1
	s_or_b32 exec_lo, exec_lo, s12
.LBB0_16:                               ;   in Loop: Header=BB0_3 Depth=1
	s_delay_alu instid0(SALU_CYCLE_1)
	s_or_b32 exec_lo, exec_lo, s11
	v_mov_b64_e32 v[18:19], v[16:17]
                                        ; implicit-def: $vgpr0
.LBB0_17:                               ;   in Loop: Header=BB0_3 Depth=1
	s_or_saveexec_b32 s0, s10
	v_mov_b32_e32 v6, 0
	s_xor_b32 exec_lo, exec_lo, s0
	s_cbranch_execz .LBB0_19
; %bb.18:                               ;   in Loop: Header=BB0_3 Depth=1
	global_load_b64 v[14:15], v[16:17], off
	v_add_nc_u32_e32 v6, -8, v0
.LBB0_19:                               ;   in Loop: Header=BB0_3 Depth=1
	s_wait_xcnt 0x0
	s_or_b32 exec_lo, exec_lo, s0
	v_add_nc_u64_e32 v[20:21], 8, v[18:19]
	s_mov_b32 s0, exec_lo
	v_cmpx_gt_u32_e32 8, v6
	s_xor_b32 s10, exec_lo, s0
	s_cbranch_execz .LBB0_25
; %bb.20:                               ;   in Loop: Header=BB0_3 Depth=1
	v_mov_b64_e32 v[16:17], 0
	s_mov_b32 s11, exec_lo
	v_cmpx_ne_u32_e32 0, v6
	s_cbranch_execz .LBB0_24
; %bb.21:                               ;   in Loop: Header=BB0_3 Depth=1
	v_mov_b64_e32 v[16:17], 0
	s_mov_b64 s[0:1], 0
	s_mov_b32 s12, 0
	s_mov_b64 s[4:5], 0
.LBB0_22:                               ;   Parent Loop BB0_3 Depth=1
                                        ; =>  This Inner Loop Header: Depth=2
	s_delay_alu instid0(SALU_CYCLE_1) | instskip(SKIP_1) | instid1(SALU_CYCLE_1)
	v_add_nc_u64_e32 v[20:21], s[4:5], v[18:19]
	s_add_nc_u64 s[4:5], s[4:5], 1
	v_cmp_eq_u32_e32 vcc_lo, s4, v6
	global_load_u8 v0, v[20:21], off
	s_wait_xcnt 0x0
	v_mov_b32_e32 v21, s6
	s_or_b32 s12, vcc_lo, s12
	s_wait_loadcnt 0x0
	v_and_b32_e32 v20, 0xffff, v0
	s_delay_alu instid0(VALU_DEP_1) | instskip(SKIP_1) | instid1(VALU_DEP_1)
	v_lshlrev_b64_e32 v[20:21], s0, v[20:21]
	s_add_nc_u64 s[0:1], s[0:1], 8
	v_or_b32_e32 v17, v21, v17
	s_delay_alu instid0(VALU_DEP_2)
	v_or_b32_e32 v16, v20, v16
	s_and_not1_b32 exec_lo, exec_lo, s12
	s_cbranch_execnz .LBB0_22
; %bb.23:                               ;   in Loop: Header=BB0_3 Depth=1
	s_or_b32 exec_lo, exec_lo, s12
.LBB0_24:                               ;   in Loop: Header=BB0_3 Depth=1
	s_delay_alu instid0(SALU_CYCLE_1)
	s_or_b32 exec_lo, exec_lo, s11
	v_mov_b64_e32 v[20:21], v[18:19]
                                        ; implicit-def: $vgpr6
.LBB0_25:                               ;   in Loop: Header=BB0_3 Depth=1
	s_or_saveexec_b32 s0, s10
	v_mov_b32_e32 v0, 0
	s_xor_b32 exec_lo, exec_lo, s0
	s_cbranch_execz .LBB0_27
; %bb.26:                               ;   in Loop: Header=BB0_3 Depth=1
	global_load_b64 v[16:17], v[18:19], off
	v_add_nc_u32_e32 v0, -8, v6
.LBB0_27:                               ;   in Loop: Header=BB0_3 Depth=1
	s_wait_xcnt 0x0
	s_or_b32 exec_lo, exec_lo, s0
	v_add_nc_u64_e32 v[22:23], 8, v[20:21]
                                        ; implicit-def: $vgpr18_vgpr19
	s_mov_b32 s0, exec_lo
	v_cmpx_gt_u32_e32 8, v0
	s_xor_b32 s10, exec_lo, s0
	s_cbranch_execz .LBB0_33
; %bb.28:                               ;   in Loop: Header=BB0_3 Depth=1
	v_mov_b64_e32 v[18:19], 0
	s_mov_b32 s11, exec_lo
	v_cmpx_ne_u32_e32 0, v0
	s_cbranch_execz .LBB0_32
; %bb.29:                               ;   in Loop: Header=BB0_3 Depth=1
	v_mov_b64_e32 v[18:19], 0
	s_mov_b64 s[0:1], 0
	s_mov_b32 s12, 0
	s_mov_b64 s[4:5], 0
.LBB0_30:                               ;   Parent Loop BB0_3 Depth=1
                                        ; =>  This Inner Loop Header: Depth=2
	s_delay_alu instid0(SALU_CYCLE_1) | instskip(SKIP_1) | instid1(SALU_CYCLE_1)
	v_add_nc_u64_e32 v[22:23], s[4:5], v[20:21]
	s_add_nc_u64 s[4:5], s[4:5], 1
	v_cmp_eq_u32_e32 vcc_lo, s4, v0
	global_load_u8 v6, v[22:23], off
	s_wait_xcnt 0x0
	v_mov_b32_e32 v23, s6
	s_or_b32 s12, vcc_lo, s12
	s_wait_loadcnt 0x0
	v_and_b32_e32 v22, 0xffff, v6
	s_delay_alu instid0(VALU_DEP_1) | instskip(SKIP_1) | instid1(VALU_DEP_1)
	v_lshlrev_b64_e32 v[22:23], s0, v[22:23]
	s_add_nc_u64 s[0:1], s[0:1], 8
	v_or_b32_e32 v19, v23, v19
	s_delay_alu instid0(VALU_DEP_2)
	v_or_b32_e32 v18, v22, v18
	s_and_not1_b32 exec_lo, exec_lo, s12
	s_cbranch_execnz .LBB0_30
; %bb.31:                               ;   in Loop: Header=BB0_3 Depth=1
	s_or_b32 exec_lo, exec_lo, s12
.LBB0_32:                               ;   in Loop: Header=BB0_3 Depth=1
	s_delay_alu instid0(SALU_CYCLE_1)
	s_or_b32 exec_lo, exec_lo, s11
	v_mov_b64_e32 v[22:23], v[20:21]
                                        ; implicit-def: $vgpr0
.LBB0_33:                               ;   in Loop: Header=BB0_3 Depth=1
	s_or_saveexec_b32 s0, s10
	v_mov_b32_e32 v6, 0
	s_xor_b32 exec_lo, exec_lo, s0
	s_cbranch_execz .LBB0_35
; %bb.34:                               ;   in Loop: Header=BB0_3 Depth=1
	global_load_b64 v[18:19], v[20:21], off
	v_add_nc_u32_e32 v6, -8, v0
.LBB0_35:                               ;   in Loop: Header=BB0_3 Depth=1
	s_wait_xcnt 0x0
	s_or_b32 exec_lo, exec_lo, s0
	v_add_nc_u64_e32 v[24:25], 8, v[22:23]
	s_mov_b32 s0, exec_lo
	v_cmpx_gt_u32_e32 8, v6
	s_xor_b32 s10, exec_lo, s0
	s_cbranch_execz .LBB0_41
; %bb.36:                               ;   in Loop: Header=BB0_3 Depth=1
	v_mov_b64_e32 v[20:21], 0
	s_mov_b32 s11, exec_lo
	v_cmpx_ne_u32_e32 0, v6
	s_cbranch_execz .LBB0_40
; %bb.37:                               ;   in Loop: Header=BB0_3 Depth=1
	v_mov_b64_e32 v[20:21], 0
	s_mov_b64 s[0:1], 0
	s_mov_b32 s12, 0
	s_mov_b64 s[4:5], 0
.LBB0_38:                               ;   Parent Loop BB0_3 Depth=1
                                        ; =>  This Inner Loop Header: Depth=2
	s_delay_alu instid0(SALU_CYCLE_1) | instskip(SKIP_1) | instid1(SALU_CYCLE_1)
	v_add_nc_u64_e32 v[24:25], s[4:5], v[22:23]
	s_add_nc_u64 s[4:5], s[4:5], 1
	v_cmp_eq_u32_e32 vcc_lo, s4, v6
	global_load_u8 v0, v[24:25], off
	s_wait_xcnt 0x0
	v_mov_b32_e32 v25, s6
	s_or_b32 s12, vcc_lo, s12
	s_wait_loadcnt 0x0
	v_and_b32_e32 v24, 0xffff, v0
	s_delay_alu instid0(VALU_DEP_1) | instskip(SKIP_1) | instid1(VALU_DEP_1)
	v_lshlrev_b64_e32 v[24:25], s0, v[24:25]
	s_add_nc_u64 s[0:1], s[0:1], 8
	v_or_b32_e32 v21, v25, v21
	s_delay_alu instid0(VALU_DEP_2)
	v_or_b32_e32 v20, v24, v20
	s_and_not1_b32 exec_lo, exec_lo, s12
	s_cbranch_execnz .LBB0_38
; %bb.39:                               ;   in Loop: Header=BB0_3 Depth=1
	s_or_b32 exec_lo, exec_lo, s12
.LBB0_40:                               ;   in Loop: Header=BB0_3 Depth=1
	s_delay_alu instid0(SALU_CYCLE_1)
	s_or_b32 exec_lo, exec_lo, s11
	v_mov_b64_e32 v[24:25], v[22:23]
                                        ; implicit-def: $vgpr6
.LBB0_41:                               ;   in Loop: Header=BB0_3 Depth=1
	s_or_saveexec_b32 s0, s10
	v_mov_b32_e32 v0, 0
	s_xor_b32 exec_lo, exec_lo, s0
	s_cbranch_execz .LBB0_43
; %bb.42:                               ;   in Loop: Header=BB0_3 Depth=1
	global_load_b64 v[20:21], v[22:23], off
	v_add_nc_u32_e32 v0, -8, v6
.LBB0_43:                               ;   in Loop: Header=BB0_3 Depth=1
	s_wait_xcnt 0x0
	s_or_b32 exec_lo, exec_lo, s0
	v_add_nc_u64_e32 v[26:27], 8, v[24:25]
                                        ; implicit-def: $vgpr22_vgpr23
	s_mov_b32 s0, exec_lo
	v_cmpx_gt_u32_e32 8, v0
	s_xor_b32 s10, exec_lo, s0
	s_cbranch_execz .LBB0_49
; %bb.44:                               ;   in Loop: Header=BB0_3 Depth=1
	v_mov_b64_e32 v[22:23], 0
	s_mov_b32 s11, exec_lo
	v_cmpx_ne_u32_e32 0, v0
	s_cbranch_execz .LBB0_48
; %bb.45:                               ;   in Loop: Header=BB0_3 Depth=1
	v_mov_b64_e32 v[22:23], 0
	s_mov_b64 s[0:1], 0
	s_mov_b32 s12, 0
	s_mov_b64 s[4:5], 0
.LBB0_46:                               ;   Parent Loop BB0_3 Depth=1
                                        ; =>  This Inner Loop Header: Depth=2
	s_delay_alu instid0(SALU_CYCLE_1) | instskip(SKIP_1) | instid1(SALU_CYCLE_1)
	v_add_nc_u64_e32 v[26:27], s[4:5], v[24:25]
	s_add_nc_u64 s[4:5], s[4:5], 1
	v_cmp_eq_u32_e32 vcc_lo, s4, v0
	global_load_u8 v6, v[26:27], off
	s_wait_xcnt 0x0
	v_mov_b32_e32 v27, s6
	s_or_b32 s12, vcc_lo, s12
	s_wait_loadcnt 0x0
	v_and_b32_e32 v26, 0xffff, v6
	s_delay_alu instid0(VALU_DEP_1) | instskip(SKIP_1) | instid1(VALU_DEP_1)
	v_lshlrev_b64_e32 v[26:27], s0, v[26:27]
	s_add_nc_u64 s[0:1], s[0:1], 8
	v_or_b32_e32 v23, v27, v23
	s_delay_alu instid0(VALU_DEP_2)
	v_or_b32_e32 v22, v26, v22
	s_and_not1_b32 exec_lo, exec_lo, s12
	s_cbranch_execnz .LBB0_46
; %bb.47:                               ;   in Loop: Header=BB0_3 Depth=1
	s_or_b32 exec_lo, exec_lo, s12
.LBB0_48:                               ;   in Loop: Header=BB0_3 Depth=1
	s_delay_alu instid0(SALU_CYCLE_1)
	s_or_b32 exec_lo, exec_lo, s11
	v_mov_b64_e32 v[26:27], v[24:25]
                                        ; implicit-def: $vgpr0
.LBB0_49:                               ;   in Loop: Header=BB0_3 Depth=1
	s_or_saveexec_b32 s0, s10
	v_mov_b32_e32 v6, 0
	s_xor_b32 exec_lo, exec_lo, s0
	s_cbranch_execz .LBB0_51
; %bb.50:                               ;   in Loop: Header=BB0_3 Depth=1
	global_load_b64 v[22:23], v[24:25], off
	v_add_nc_u32_e32 v6, -8, v0
.LBB0_51:                               ;   in Loop: Header=BB0_3 Depth=1
	s_wait_xcnt 0x0
	s_or_b32 exec_lo, exec_lo, s0
	s_delay_alu instid0(SALU_CYCLE_1) | instskip(NEXT) | instid1(VALU_DEP_1)
	s_mov_b32 s0, exec_lo
	v_cmpx_gt_u32_e32 8, v6
	s_xor_b32 s4, exec_lo, s0
	s_cbranch_execz .LBB0_57
; %bb.52:                               ;   in Loop: Header=BB0_3 Depth=1
	v_mov_b64_e32 v[24:25], 0
	s_mov_b32 s5, exec_lo
	v_cmpx_ne_u32_e32 0, v6
	s_cbranch_execz .LBB0_56
; %bb.53:                               ;   in Loop: Header=BB0_3 Depth=1
	v_mov_b64_e32 v[24:25], 0
	s_mov_b64 s[0:1], 0
	s_mov_b32 s10, 0
.LBB0_54:                               ;   Parent Loop BB0_3 Depth=1
                                        ; =>  This Inner Loop Header: Depth=2
	global_load_u8 v0, v[26:27], off
	v_dual_mov_b32 v29, s6 :: v_dual_add_nc_u32 v6, -1, v6
	s_wait_xcnt 0x0
	v_add_nc_u64_e32 v[26:27], 1, v[26:27]
	s_delay_alu instid0(VALU_DEP_2) | instskip(SKIP_3) | instid1(VALU_DEP_1)
	v_cmp_eq_u32_e32 vcc_lo, 0, v6
	s_or_b32 s10, vcc_lo, s10
	s_wait_loadcnt 0x0
	v_and_b32_e32 v28, 0xffff, v0
	v_lshlrev_b64_e32 v[28:29], s0, v[28:29]
	s_add_nc_u64 s[0:1], s[0:1], 8
	s_delay_alu instid0(VALU_DEP_1) | instskip(NEXT) | instid1(VALU_DEP_2)
	v_or_b32_e32 v25, v29, v25
	v_or_b32_e32 v24, v28, v24
	s_and_not1_b32 exec_lo, exec_lo, s10
	s_cbranch_execnz .LBB0_54
; %bb.55:                               ;   in Loop: Header=BB0_3 Depth=1
	s_or_b32 exec_lo, exec_lo, s10
.LBB0_56:                               ;   in Loop: Header=BB0_3 Depth=1
	s_delay_alu instid0(SALU_CYCLE_1)
	s_or_b32 exec_lo, exec_lo, s5
                                        ; implicit-def: $vgpr26_vgpr27
.LBB0_57:                               ;   in Loop: Header=BB0_3 Depth=1
	s_and_not1_saveexec_b32 s0, s4
	s_cbranch_execz .LBB0_59
; %bb.58:                               ;   in Loop: Header=BB0_3 Depth=1
	global_load_b64 v[24:25], v[26:27], off
.LBB0_59:                               ;   in Loop: Header=BB0_3 Depth=1
	s_wait_xcnt 0x0
	s_or_b32 exec_lo, exec_lo, s0
	v_readfirstlane_b32 s0, v30
	v_mov_b64_e32 v[36:37], 0
	s_delay_alu instid0(VALU_DEP_2)
	v_cmp_eq_u32_e64 s0, s0, v30
	s_and_saveexec_b32 s1, s0
	s_cbranch_execz .LBB0_65
; %bb.60:                               ;   in Loop: Header=BB0_3 Depth=1
	s_wait_kmcnt 0x0
	global_load_b64 v[28:29], v7, s[2:3] offset:24 scope:SCOPE_SYS
	s_wait_loadcnt 0x0
	global_inv scope:SCOPE_SYS
	s_clause 0x1
	global_load_b64 v[26:27], v7, s[2:3] offset:40
	global_load_b64 v[36:37], v7, s[2:3]
	s_mov_b32 s4, exec_lo
	s_wait_loadcnt 0x1
	v_and_b32_e32 v26, v26, v28
	v_and_b32_e32 v27, v27, v29
	s_delay_alu instid0(VALU_DEP_1) | instskip(SKIP_1) | instid1(VALU_DEP_1)
	v_mul_u64_e32 v[26:27], 24, v[26:27]
	s_wait_loadcnt 0x0
	v_add_nc_u64_e32 v[26:27], v[36:37], v[26:27]
	global_load_b64 v[26:27], v[26:27], off scope:SCOPE_SYS
	s_wait_xcnt 0x0
	s_wait_loadcnt 0x0
	global_atomic_cmpswap_b64 v[36:37], v7, v[26:29], s[2:3] offset:24 th:TH_ATOMIC_RETURN scope:SCOPE_SYS
	s_wait_loadcnt 0x0
	global_inv scope:SCOPE_SYS
	s_wait_xcnt 0x0
	v_cmpx_ne_u64_e64 v[36:37], v[28:29]
	s_cbranch_execz .LBB0_64
; %bb.61:                               ;   in Loop: Header=BB0_3 Depth=1
	s_mov_b32 s5, 0
.LBB0_62:                               ;   Parent Loop BB0_3 Depth=1
                                        ; =>  This Inner Loop Header: Depth=2
	s_sleep 1
	s_clause 0x1
	global_load_b64 v[26:27], v7, s[2:3] offset:40
	global_load_b64 v[38:39], v7, s[2:3]
	v_mov_b64_e32 v[28:29], v[36:37]
	s_wait_loadcnt 0x1
	s_delay_alu instid0(VALU_DEP_1) | instskip(SKIP_1) | instid1(VALU_DEP_1)
	v_and_b32_e32 v0, v26, v28
	s_wait_loadcnt 0x0
	v_mad_nc_u64_u32 v[36:37], v0, 24, v[38:39]
	s_delay_alu instid0(VALU_DEP_3) | instskip(NEXT) | instid1(VALU_DEP_1)
	v_and_b32_e32 v0, v27, v29
	v_mad_u32 v37, v0, 24, v37
	global_load_b64 v[26:27], v[36:37], off scope:SCOPE_SYS
	s_wait_xcnt 0x0
	s_wait_loadcnt 0x0
	global_atomic_cmpswap_b64 v[36:37], v7, v[26:29], s[2:3] offset:24 th:TH_ATOMIC_RETURN scope:SCOPE_SYS
	s_wait_loadcnt 0x0
	global_inv scope:SCOPE_SYS
	v_cmp_eq_u64_e32 vcc_lo, v[36:37], v[28:29]
	s_or_b32 s5, vcc_lo, s5
	s_wait_xcnt 0x0
	s_and_not1_b32 exec_lo, exec_lo, s5
	s_cbranch_execnz .LBB0_62
; %bb.63:                               ;   in Loop: Header=BB0_3 Depth=1
	s_or_b32 exec_lo, exec_lo, s5
.LBB0_64:                               ;   in Loop: Header=BB0_3 Depth=1
	s_delay_alu instid0(SALU_CYCLE_1)
	s_or_b32 exec_lo, exec_lo, s4
.LBB0_65:                               ;   in Loop: Header=BB0_3 Depth=1
	s_delay_alu instid0(SALU_CYCLE_1)
	s_or_b32 exec_lo, exec_lo, s1
	s_wait_kmcnt 0x0
	s_clause 0x1
	global_load_b64 v[38:39], v7, s[2:3] offset:40
	global_load_b128 v[26:29], v7, s[2:3]
	v_readfirstlane_b32 s4, v36
	v_readfirstlane_b32 s5, v37
	s_mov_b32 s1, exec_lo
	s_wait_loadcnt 0x1
	v_and_b32_e32 v38, s4, v38
	v_and_b32_e32 v39, s5, v39
	s_delay_alu instid0(VALU_DEP_1) | instskip(SKIP_1) | instid1(VALU_DEP_1)
	v_mul_u64_e32 v[36:37], 24, v[38:39]
	s_wait_loadcnt 0x0
	v_add_nc_u64_e32 v[36:37], v[26:27], v[36:37]
	s_wait_xcnt 0x0
	s_and_saveexec_b32 s10, s0
	s_cbranch_execz .LBB0_67
; %bb.66:                               ;   in Loop: Header=BB0_3 Depth=1
	v_mov_b32_e32 v6, s1
	global_store_b128 v[36:37], v[6:9], off offset:8
.LBB0_67:                               ;   in Loop: Header=BB0_3 Depth=1
	s_wait_xcnt 0x0
	s_or_b32 exec_lo, exec_lo, s10
	v_cmp_gt_u64_e32 vcc_lo, 57, v[4:5]
	v_lshlrev_b64_e32 v[38:39], 12, v[38:39]
	v_and_b32_e32 v6, 0xffffff1f, v10
	v_lshl_add_u32 v10, v34, 2, 28
	v_cndmask_b32_e32 v0, 0, v2, vcc_lo
	s_delay_alu instid0(VALU_DEP_4) | instskip(NEXT) | instid1(VALU_DEP_2)
	v_add_nc_u64_e32 v[28:29], v[28:29], v[38:39]
	v_dual_lshlrev_b32 v6, 6, v30 :: v_dual_bitop2_b32 v0, v6, v0 bitop3:0x54
	s_delay_alu instid0(VALU_DEP_2) | instskip(NEXT) | instid1(VALU_DEP_3)
	v_readfirstlane_b32 s10, v28
	v_readfirstlane_b32 s11, v29
	s_delay_alu instid0(VALU_DEP_3)
	v_and_or_b32 v10, 0x1e0, v10, v0
	s_clause 0x3
	global_store_b128 v6, v[10:13], s[10:11]
	global_store_b128 v6, v[14:17], s[10:11] offset:16
	global_store_b128 v6, v[18:21], s[10:11] offset:32
	;; [unrolled: 1-line block ×3, first 2 shown]
	s_wait_xcnt 0x0
	s_and_saveexec_b32 s1, s0
	s_cbranch_execz .LBB0_75
; %bb.68:                               ;   in Loop: Header=BB0_3 Depth=1
	s_clause 0x1
	global_load_b64 v[18:19], v7, s[2:3] offset:32 scope:SCOPE_SYS
	global_load_b64 v[10:11], v7, s[2:3] offset:40
	s_mov_b32 s10, exec_lo
	v_dual_mov_b32 v16, s4 :: v_dual_mov_b32 v17, s5
	s_wait_loadcnt 0x0
	v_and_b32_e32 v11, s5, v11
	v_and_b32_e32 v10, s4, v10
	s_delay_alu instid0(VALU_DEP_1) | instskip(NEXT) | instid1(VALU_DEP_1)
	v_mul_u64_e32 v[10:11], 24, v[10:11]
	v_add_nc_u64_e32 v[14:15], v[26:27], v[10:11]
	global_store_b64 v[14:15], v[18:19], off
	global_wb scope:SCOPE_SYS
	s_wait_storecnt 0x0
	s_wait_xcnt 0x0
	global_atomic_cmpswap_b64 v[12:13], v7, v[16:19], s[2:3] offset:32 th:TH_ATOMIC_RETURN scope:SCOPE_SYS
	s_wait_loadcnt 0x0
	v_cmpx_ne_u64_e64 v[12:13], v[18:19]
	s_cbranch_execz .LBB0_71
; %bb.69:                               ;   in Loop: Header=BB0_3 Depth=1
	s_mov_b32 s11, 0
.LBB0_70:                               ;   Parent Loop BB0_3 Depth=1
                                        ; =>  This Inner Loop Header: Depth=2
	v_dual_mov_b32 v10, s4 :: v_dual_mov_b32 v11, s5
	s_sleep 1
	global_store_b64 v[14:15], v[12:13], off
	global_wb scope:SCOPE_SYS
	s_wait_storecnt 0x0
	s_wait_xcnt 0x0
	global_atomic_cmpswap_b64 v[10:11], v7, v[10:13], s[2:3] offset:32 th:TH_ATOMIC_RETURN scope:SCOPE_SYS
	s_wait_loadcnt 0x0
	v_cmp_eq_u64_e32 vcc_lo, v[10:11], v[12:13]
	v_mov_b64_e32 v[12:13], v[10:11]
	s_or_b32 s11, vcc_lo, s11
	s_delay_alu instid0(SALU_CYCLE_1)
	s_and_not1_b32 exec_lo, exec_lo, s11
	s_cbranch_execnz .LBB0_70
.LBB0_71:                               ;   in Loop: Header=BB0_3 Depth=1
	s_or_b32 exec_lo, exec_lo, s10
	global_load_b64 v[10:11], v7, s[2:3] offset:16
	s_mov_b32 s11, exec_lo
	s_mov_b32 s10, exec_lo
	v_mbcnt_lo_u32_b32 v0, s11, 0
	s_wait_xcnt 0x0
	s_delay_alu instid0(VALU_DEP_1)
	v_cmpx_eq_u32_e32 0, v0
	s_cbranch_execz .LBB0_73
; %bb.72:                               ;   in Loop: Header=BB0_3 Depth=1
	s_bcnt1_i32_b32 s11, s11
	s_delay_alu instid0(SALU_CYCLE_1)
	v_dual_mov_b32 v13, v7 :: v_dual_mov_b32 v12, s11
	global_wb scope:SCOPE_SYS
	s_wait_loadcnt 0x0
	s_wait_storecnt 0x0
	global_atomic_add_u64 v[10:11], v[12:13], off offset:8 scope:SCOPE_SYS
.LBB0_73:                               ;   in Loop: Header=BB0_3 Depth=1
	s_wait_xcnt 0x0
	s_or_b32 exec_lo, exec_lo, s10
	s_wait_loadcnt 0x0
	global_load_b64 v[12:13], v[10:11], off offset:16
	s_wait_loadcnt 0x0
	v_cmp_eq_u64_e32 vcc_lo, 0, v[12:13]
	s_cbranch_vccnz .LBB0_75
; %bb.74:                               ;   in Loop: Header=BB0_3 Depth=1
	global_load_b32 v10, v[10:11], off offset:24
	s_wait_xcnt 0x0
	v_mov_b32_e32 v11, v7
	s_wait_loadcnt 0x0
	v_readfirstlane_b32 s10, v10
	global_wb scope:SCOPE_SYS
	s_wait_storecnt 0x0
	global_store_b64 v[12:13], v[10:11], off scope:SCOPE_SYS
	s_and_b32 m0, s10, 0xffffff
	s_sendmsg sendmsg(MSG_INTERRUPT)
.LBB0_75:                               ;   in Loop: Header=BB0_3 Depth=1
	s_wait_xcnt 0x0
	s_or_b32 exec_lo, exec_lo, s1
	v_add_nc_u64_e32 v[10:11], v[28:29], v[6:7]
	s_branch .LBB0_79
.LBB0_76:                               ;   in Loop: Header=BB0_79 Depth=2
	s_wait_xcnt 0x0
	s_or_b32 exec_lo, exec_lo, s1
	s_delay_alu instid0(VALU_DEP_1)
	v_readfirstlane_b32 s1, v0
	s_cmp_eq_u32 s1, 0
	s_cbranch_scc1 .LBB0_78
; %bb.77:                               ;   in Loop: Header=BB0_79 Depth=2
	s_sleep 1
	s_cbranch_execnz .LBB0_79
	s_branch .LBB0_81
.LBB0_78:                               ;   in Loop: Header=BB0_3 Depth=1
	s_branch .LBB0_81
.LBB0_79:                               ;   Parent Loop BB0_3 Depth=1
                                        ; =>  This Inner Loop Header: Depth=2
	v_mov_b32_e32 v0, 1
	s_and_saveexec_b32 s1, s0
	s_cbranch_execz .LBB0_76
; %bb.80:                               ;   in Loop: Header=BB0_79 Depth=2
	global_load_b32 v0, v[36:37], off offset:20 scope:SCOPE_SYS
	s_wait_loadcnt 0x0
	global_inv scope:SCOPE_SYS
	v_and_b32_e32 v0, 1, v0
	s_branch .LBB0_76
.LBB0_81:                               ;   in Loop: Header=BB0_3 Depth=1
	global_load_b128 v[10:13], v[10:11], off
	s_wait_xcnt 0x0
	s_and_saveexec_b32 s10, s0
	s_cbranch_execz .LBB0_2
; %bb.82:                               ;   in Loop: Header=BB0_3 Depth=1
	s_wait_loadcnt 0x0
	s_clause 0x2
	global_load_b64 v[12:13], v7, s[2:3] offset:40
	global_load_b64 v[20:21], v7, s[2:3] offset:24 scope:SCOPE_SYS
	global_load_b64 v[14:15], v7, s[2:3]
	s_wait_loadcnt 0x2
	v_readfirstlane_b32 s12, v12
	v_readfirstlane_b32 s13, v13
	s_add_nc_u64 s[0:1], s[12:13], 1
	s_delay_alu instid0(SALU_CYCLE_1) | instskip(NEXT) | instid1(SALU_CYCLE_1)
	s_add_nc_u64 s[4:5], s[0:1], s[4:5]
	s_cmp_eq_u64 s[4:5], 0
	s_cselect_b32 s1, s1, s5
	s_cselect_b32 s0, s0, s4
	s_delay_alu instid0(SALU_CYCLE_1) | instskip(SKIP_1) | instid1(SALU_CYCLE_1)
	v_dual_mov_b32 v19, s1 :: v_dual_mov_b32 v18, s0
	s_and_b64 s[4:5], s[0:1], s[12:13]
	s_mul_u64 s[4:5], s[4:5], 24
	s_wait_loadcnt 0x0
	v_add_nc_u64_e32 v[16:17], s[4:5], v[14:15]
	global_store_b64 v[16:17], v[20:21], off
	global_wb scope:SCOPE_SYS
	s_wait_storecnt 0x0
	s_wait_xcnt 0x0
	global_atomic_cmpswap_b64 v[14:15], v7, v[18:21], s[2:3] offset:24 th:TH_ATOMIC_RETURN scope:SCOPE_SYS
	s_wait_loadcnt 0x0
	v_cmp_ne_u64_e32 vcc_lo, v[14:15], v[20:21]
	s_and_b32 exec_lo, exec_lo, vcc_lo
	s_cbranch_execz .LBB0_2
; %bb.83:                               ;   in Loop: Header=BB0_3 Depth=1
	s_mov_b32 s4, 0
.LBB0_84:                               ;   Parent Loop BB0_3 Depth=1
                                        ; =>  This Inner Loop Header: Depth=2
	v_dual_mov_b32 v12, s0 :: v_dual_mov_b32 v13, s1
	s_sleep 1
	global_store_b64 v[16:17], v[14:15], off
	global_wb scope:SCOPE_SYS
	s_wait_storecnt 0x0
	s_wait_xcnt 0x0
	global_atomic_cmpswap_b64 v[12:13], v7, v[12:15], s[2:3] offset:24 th:TH_ATOMIC_RETURN scope:SCOPE_SYS
	s_wait_loadcnt 0x0
	v_cmp_eq_u64_e32 vcc_lo, v[12:13], v[14:15]
	v_mov_b64_e32 v[14:15], v[12:13]
	s_or_b32 s4, vcc_lo, s4
	s_delay_alu instid0(SALU_CYCLE_1)
	s_and_not1_b32 exec_lo, exec_lo, s4
	s_cbranch_execnz .LBB0_84
	s_branch .LBB0_2
.LBB0_85:
	s_or_b32 exec_lo, exec_lo, s7
	s_branch .LBB0_114
.LBB0_86:
	s_load_b64 s[2:3], s[8:9], 0x50
	v_readfirstlane_b32 s0, v30
	v_mov_b64_e32 v[8:9], 0
	s_delay_alu instid0(VALU_DEP_2)
	v_cmp_eq_u32_e64 s0, s0, v30
	s_and_saveexec_b32 s1, s0
	s_cbranch_execz .LBB0_92
; %bb.87:
	v_mov_b32_e32 v0, 0
	s_mov_b32 s4, exec_lo
	s_wait_kmcnt 0x0
	global_load_b64 v[6:7], v0, s[2:3] offset:24 scope:SCOPE_SYS
	s_wait_loadcnt 0x0
	global_inv scope:SCOPE_SYS
	s_clause 0x1
	global_load_b64 v[4:5], v0, s[2:3] offset:40
	global_load_b64 v[8:9], v0, s[2:3]
	s_wait_loadcnt 0x1
	v_and_b32_e32 v4, v4, v6
	v_and_b32_e32 v5, v5, v7
	s_delay_alu instid0(VALU_DEP_1) | instskip(SKIP_1) | instid1(VALU_DEP_1)
	v_mul_u64_e32 v[4:5], 24, v[4:5]
	s_wait_loadcnt 0x0
	v_add_nc_u64_e32 v[4:5], v[8:9], v[4:5]
	global_load_b64 v[4:5], v[4:5], off scope:SCOPE_SYS
	s_wait_xcnt 0x0
	s_wait_loadcnt 0x0
	global_atomic_cmpswap_b64 v[8:9], v0, v[4:7], s[2:3] offset:24 th:TH_ATOMIC_RETURN scope:SCOPE_SYS
	s_wait_loadcnt 0x0
	global_inv scope:SCOPE_SYS
	s_wait_xcnt 0x0
	v_cmpx_ne_u64_e64 v[8:9], v[6:7]
	s_cbranch_execz .LBB0_91
; %bb.88:
	s_mov_b32 s5, 0
.LBB0_89:                               ; =>This Inner Loop Header: Depth=1
	s_sleep 1
	s_clause 0x1
	global_load_b64 v[4:5], v0, s[2:3] offset:40
	global_load_b64 v[10:11], v0, s[2:3]
	v_mov_b64_e32 v[6:7], v[8:9]
	s_wait_loadcnt 0x1
	s_delay_alu instid0(VALU_DEP_1) | instskip(SKIP_1) | instid1(VALU_DEP_1)
	v_and_b32_e32 v2, v4, v6
	s_wait_loadcnt 0x0
	v_mad_nc_u64_u32 v[8:9], v2, 24, v[10:11]
	s_delay_alu instid0(VALU_DEP_3) | instskip(NEXT) | instid1(VALU_DEP_1)
	v_and_b32_e32 v2, v5, v7
	v_mad_u32 v9, v2, 24, v9
	global_load_b64 v[4:5], v[8:9], off scope:SCOPE_SYS
	s_wait_xcnt 0x0
	s_wait_loadcnt 0x0
	global_atomic_cmpswap_b64 v[8:9], v0, v[4:7], s[2:3] offset:24 th:TH_ATOMIC_RETURN scope:SCOPE_SYS
	s_wait_loadcnt 0x0
	global_inv scope:SCOPE_SYS
	v_cmp_eq_u64_e32 vcc_lo, v[8:9], v[6:7]
	s_or_b32 s5, vcc_lo, s5
	s_wait_xcnt 0x0
	s_and_not1_b32 exec_lo, exec_lo, s5
	s_cbranch_execnz .LBB0_89
; %bb.90:
	s_or_b32 exec_lo, exec_lo, s5
.LBB0_91:
	s_delay_alu instid0(SALU_CYCLE_1)
	s_or_b32 exec_lo, exec_lo, s4
.LBB0_92:
	s_delay_alu instid0(SALU_CYCLE_1)
	s_or_b32 exec_lo, exec_lo, s1
	v_readfirstlane_b32 s4, v8
	v_mov_b32_e32 v2, 0
	v_readfirstlane_b32 s5, v9
	s_mov_b32 s1, exec_lo
	s_wait_loadcnt 0x0
	s_wait_kmcnt 0x0
	s_clause 0x1
	global_load_b64 v[10:11], v2, s[2:3] offset:40
	global_load_b128 v[4:7], v2, s[2:3]
	s_wait_loadcnt 0x1
	v_and_b32_e32 v10, s4, v10
	v_and_b32_e32 v11, s5, v11
	s_delay_alu instid0(VALU_DEP_1) | instskip(SKIP_1) | instid1(VALU_DEP_1)
	v_mul_u64_e32 v[8:9], 24, v[10:11]
	s_wait_loadcnt 0x0
	v_add_nc_u64_e32 v[8:9], v[4:5], v[8:9]
	s_wait_xcnt 0x0
	s_and_saveexec_b32 s6, s0
	s_cbranch_execz .LBB0_94
; %bb.93:
	v_mov_b64_e32 v[14:15], 0x100000002
	v_dual_mov_b32 v12, s1 :: v_dual_mov_b32 v13, v2
	global_store_b128 v[8:9], v[12:15], off offset:8
.LBB0_94:
	s_wait_xcnt 0x0
	s_or_b32 exec_lo, exec_lo, s6
	v_lshlrev_b64_e32 v[10:11], 12, v[10:11]
	s_mov_b32 s8, 0
	v_and_or_b32 v0, 0xffffff1f, v3, 32
	s_mov_b32 s10, s8
	s_mov_b32 s11, s8
	;; [unrolled: 1-line block ×3, first 2 shown]
	v_dual_mov_b32 v3, v2 :: v_dual_lshlrev_b32 v14, 6, v30
	v_add_nc_u64_e32 v[6:7], v[6:7], v[10:11]
	v_mov_b64_e32 v[12:13], s[10:11]
	v_mov_b64_e32 v[10:11], s[8:9]
	s_delay_alu instid0(VALU_DEP_3) | instskip(NEXT) | instid1(VALU_DEP_4)
	v_readfirstlane_b32 s6, v6
	v_readfirstlane_b32 s7, v7
	s_clause 0x3
	global_store_b128 v14, v[0:3], s[6:7]
	global_store_b128 v14, v[10:13], s[6:7] offset:16
	global_store_b128 v14, v[10:13], s[6:7] offset:32
	;; [unrolled: 1-line block ×3, first 2 shown]
	s_wait_xcnt 0x0
	s_and_saveexec_b32 s1, s0
	s_cbranch_execz .LBB0_102
; %bb.95:
	v_dual_mov_b32 v6, 0 :: v_dual_mov_b32 v11, s5
	s_mov_b32 s6, exec_lo
	s_clause 0x1
	global_load_b64 v[12:13], v6, s[2:3] offset:32 scope:SCOPE_SYS
	global_load_b64 v[0:1], v6, s[2:3] offset:40
	s_wait_loadcnt 0x0
	v_dual_mov_b32 v10, s4 :: v_dual_bitop2_b32 v1, s5, v1 bitop3:0x40
	v_and_b32_e32 v0, s4, v0
	s_delay_alu instid0(VALU_DEP_1) | instskip(NEXT) | instid1(VALU_DEP_1)
	v_mul_u64_e32 v[0:1], 24, v[0:1]
	v_add_nc_u64_e32 v[4:5], v[4:5], v[0:1]
	global_store_b64 v[4:5], v[12:13], off
	global_wb scope:SCOPE_SYS
	s_wait_storecnt 0x0
	s_wait_xcnt 0x0
	global_atomic_cmpswap_b64 v[2:3], v6, v[10:13], s[2:3] offset:32 th:TH_ATOMIC_RETURN scope:SCOPE_SYS
	s_wait_loadcnt 0x0
	v_cmpx_ne_u64_e64 v[2:3], v[12:13]
	s_cbranch_execz .LBB0_98
; %bb.96:
	s_mov_b32 s7, 0
.LBB0_97:                               ; =>This Inner Loop Header: Depth=1
	v_dual_mov_b32 v0, s4 :: v_dual_mov_b32 v1, s5
	s_sleep 1
	global_store_b64 v[4:5], v[2:3], off
	global_wb scope:SCOPE_SYS
	s_wait_storecnt 0x0
	s_wait_xcnt 0x0
	global_atomic_cmpswap_b64 v[0:1], v6, v[0:3], s[2:3] offset:32 th:TH_ATOMIC_RETURN scope:SCOPE_SYS
	s_wait_loadcnt 0x0
	v_cmp_eq_u64_e32 vcc_lo, v[0:1], v[2:3]
	v_mov_b64_e32 v[2:3], v[0:1]
	s_or_b32 s7, vcc_lo, s7
	s_delay_alu instid0(SALU_CYCLE_1)
	s_and_not1_b32 exec_lo, exec_lo, s7
	s_cbranch_execnz .LBB0_97
.LBB0_98:
	s_or_b32 exec_lo, exec_lo, s6
	v_mov_b32_e32 v3, 0
	s_mov_b32 s7, exec_lo
	s_mov_b32 s6, exec_lo
	v_mbcnt_lo_u32_b32 v2, s7, 0
	global_load_b64 v[0:1], v3, s[2:3] offset:16
	s_wait_xcnt 0x0
	v_cmpx_eq_u32_e32 0, v2
	s_cbranch_execz .LBB0_100
; %bb.99:
	s_bcnt1_i32_b32 s7, s7
	s_delay_alu instid0(SALU_CYCLE_1)
	v_mov_b32_e32 v2, s7
	global_wb scope:SCOPE_SYS
	s_wait_loadcnt 0x0
	s_wait_storecnt 0x0
	global_atomic_add_u64 v[0:1], v[2:3], off offset:8 scope:SCOPE_SYS
.LBB0_100:
	s_wait_xcnt 0x0
	s_or_b32 exec_lo, exec_lo, s6
	s_wait_loadcnt 0x0
	global_load_b64 v[2:3], v[0:1], off offset:16
	s_wait_loadcnt 0x0
	v_cmp_eq_u64_e32 vcc_lo, 0, v[2:3]
	s_cbranch_vccnz .LBB0_102
; %bb.101:
	global_load_b32 v0, v[0:1], off offset:24
	s_wait_xcnt 0x0
	v_mov_b32_e32 v1, 0
	s_wait_loadcnt 0x0
	v_readfirstlane_b32 s6, v0
	global_wb scope:SCOPE_SYS
	s_wait_storecnt 0x0
	global_store_b64 v[2:3], v[0:1], off scope:SCOPE_SYS
	s_and_b32 m0, s6, 0xffffff
	s_sendmsg sendmsg(MSG_INTERRUPT)
.LBB0_102:
	s_wait_xcnt 0x0
	s_or_b32 exec_lo, exec_lo, s1
	s_branch .LBB0_106
.LBB0_103:                              ;   in Loop: Header=BB0_106 Depth=1
	s_wait_xcnt 0x0
	s_or_b32 exec_lo, exec_lo, s1
	s_delay_alu instid0(VALU_DEP_1)
	v_readfirstlane_b32 s1, v0
	s_cmp_eq_u32 s1, 0
	s_cbranch_scc1 .LBB0_105
; %bb.104:                              ;   in Loop: Header=BB0_106 Depth=1
	s_sleep 1
	s_cbranch_execnz .LBB0_106
	s_branch .LBB0_108
.LBB0_105:
	s_branch .LBB0_108
.LBB0_106:                              ; =>This Inner Loop Header: Depth=1
	v_mov_b32_e32 v0, 1
	s_and_saveexec_b32 s1, s0
	s_cbranch_execz .LBB0_103
; %bb.107:                              ;   in Loop: Header=BB0_106 Depth=1
	global_load_b32 v0, v[8:9], off offset:20 scope:SCOPE_SYS
	s_wait_loadcnt 0x0
	global_inv scope:SCOPE_SYS
	v_and_b32_e32 v0, 1, v0
	s_branch .LBB0_103
.LBB0_108:
	s_and_saveexec_b32 s6, s0
	s_cbranch_execz .LBB0_112
; %bb.109:
	v_mov_b32_e32 v6, 0
	s_clause 0x2
	global_load_b64 v[0:1], v6, s[2:3] offset:40
	global_load_b64 v[10:11], v6, s[2:3] offset:24 scope:SCOPE_SYS
	global_load_b64 v[2:3], v6, s[2:3]
	s_wait_loadcnt 0x2
	v_readfirstlane_b32 s8, v0
	v_readfirstlane_b32 s9, v1
	s_add_nc_u64 s[0:1], s[8:9], 1
	s_delay_alu instid0(SALU_CYCLE_1) | instskip(NEXT) | instid1(SALU_CYCLE_1)
	s_add_nc_u64 s[4:5], s[0:1], s[4:5]
	s_cmp_eq_u64 s[4:5], 0
	s_cselect_b32 s1, s1, s5
	s_cselect_b32 s0, s0, s4
	v_mov_b32_e32 v9, s1
	s_and_b64 s[4:5], s[0:1], s[8:9]
	v_mov_b32_e32 v8, s0
	s_mul_u64 s[4:5], s[4:5], 24
	s_wait_loadcnt 0x0
	v_add_nc_u64_e32 v[4:5], s[4:5], v[2:3]
	global_store_b64 v[4:5], v[10:11], off
	global_wb scope:SCOPE_SYS
	s_wait_storecnt 0x0
	s_wait_xcnt 0x0
	global_atomic_cmpswap_b64 v[2:3], v6, v[8:11], s[2:3] offset:24 th:TH_ATOMIC_RETURN scope:SCOPE_SYS
	s_wait_loadcnt 0x0
	v_cmp_ne_u64_e32 vcc_lo, v[2:3], v[10:11]
	s_and_b32 exec_lo, exec_lo, vcc_lo
	s_cbranch_execz .LBB0_112
; %bb.110:
	s_mov_b32 s4, 0
.LBB0_111:                              ; =>This Inner Loop Header: Depth=1
	v_dual_mov_b32 v0, s0 :: v_dual_mov_b32 v1, s1
	s_sleep 1
	global_store_b64 v[4:5], v[2:3], off
	global_wb scope:SCOPE_SYS
	s_wait_storecnt 0x0
	s_wait_xcnt 0x0
	global_atomic_cmpswap_b64 v[0:1], v6, v[0:3], s[2:3] offset:24 th:TH_ATOMIC_RETURN scope:SCOPE_SYS
	s_wait_loadcnt 0x0
	v_cmp_eq_u64_e32 vcc_lo, v[0:1], v[2:3]
	v_mov_b64_e32 v[2:3], v[0:1]
	s_or_b32 s4, vcc_lo, s4
	s_delay_alu instid0(SALU_CYCLE_1)
	s_and_not1_b32 exec_lo, exec_lo, s4
	s_cbranch_execnz .LBB0_111
.LBB0_112:
	s_or_b32 exec_lo, exec_lo, s6
	s_wait_loadcnt 0x0
	s_wait_kmcnt 0x0
	s_set_pc_i64 s[30:31]
.LBB0_113:
	s_cbranch_execnz .LBB0_86
.LBB0_114:
	s_wait_loadcnt 0x0
	s_wait_kmcnt 0x0
	s_set_pc_i64 s[30:31]
.Lfunc_end0:
	.size	__ockl_fprintf_append_string_n, .Lfunc_end0-__ockl_fprintf_append_string_n
                                        ; -- End function
	.set .L__ockl_fprintf_append_string_n.num_vgpr, 40
	.set .L__ockl_fprintf_append_string_n.num_agpr, 0
	.set .L__ockl_fprintf_append_string_n.numbered_sgpr, 32
	.set .L__ockl_fprintf_append_string_n.num_named_barrier, 0
	.set .L__ockl_fprintf_append_string_n.private_seg_size, 0
	.set .L__ockl_fprintf_append_string_n.uses_vcc, 1
	.set .L__ockl_fprintf_append_string_n.uses_flat_scratch, 0
	.set .L__ockl_fprintf_append_string_n.has_dyn_sized_stack, 0
	.set .L__ockl_fprintf_append_string_n.has_recursion, 0
	.set .L__ockl_fprintf_append_string_n.has_indirect_call, 0
	.section	.AMDGPU.csdata,"",@progbits
; Function info:
; codeLenInByte = 4324
; TotalNumSgprs: 34
; NumVgprs: 40
; ScratchSize: 0
; MemoryBound: 0
	.text
	.p2align	2                               ; -- Begin function __assert_fail
	.type	__assert_fail,@function
__assert_fail:                          ; @__assert_fail
; %bb.0:
	s_wait_loadcnt_dscnt 0x0
	s_wait_kmcnt 0x0
	s_mov_b32 s20, s33
	s_mov_b32 s33, s32
	s_or_saveexec_b32 s0, -1
	scratch_store_b32 off, v40, s33 offset:48 ; 4-byte Folded Spill
	s_wait_xcnt 0x0
	s_mov_b32 exec_lo, s0
	v_writelane_b32 v40, s30, 0
	s_add_co_i32 s32, s32, 64
	v_writelane_b32 v40, s31, 1
	v_mov_b32_e32 v8, 0
	s_get_pc_i64 s[0:1]
	s_add_nc_u64 s[0:1], s[0:1], __const.__assert_fail.fmt@rel64+35
	v_dual_mov_b32 v5, v1 :: v_dual_mov_b32 v4, v0
	s_get_pc_i64 s[10:11]
	s_add_nc_u64 s[10:11], s[10:11], __const.__assert_fail.fmt@rel64+20
	global_load_b128 v[0:3], v8, s[0:1]
	s_wait_xcnt 0x0
	s_get_pc_i64 s[0:1]
	s_add_nc_u64 s[0:1], s[0:1], __const.__assert_fail.fmt@rel64+4
	s_clause 0x1
	s_load_b128 s[4:7], s[0:1], 0x0
	s_load_b128 s[12:15], s[10:11], 0x0
	s_load_b64 s[2:3], s[8:9], 0x50
	v_mbcnt_lo_u32_b32 v48, -1, 0
	v_mov_b64_e32 v[6:7], 0
	s_wait_xcnt 0x0
	s_delay_alu instid0(VALU_DEP_2) | instskip(NEXT) | instid1(VALU_DEP_1)
	v_readfirstlane_b32 s0, v48
	v_cmp_eq_u32_e64 s0, s0, v48
	s_wait_kmcnt 0x0
	v_mov_b64_e32 v[12:13], s[6:7]
	v_mov_b64_e32 v[10:11], s[4:5]
	;; [unrolled: 1-line block ×4, first 2 shown]
	s_clause 0x1
	scratch_store_b128 off, v[10:13], s33
	scratch_store_b128 off, v[14:17], s33 offset:16
	s_wait_loadcnt 0x0
	scratch_store_b128 off, v[0:3], s33 offset:31
	s_wait_xcnt 0x0
	s_and_saveexec_b32 s1, s0
	s_cbranch_execz .LBB1_6
; %bb.1:
	global_load_b64 v[2:3], v8, s[2:3] offset:24 scope:SCOPE_SYS
	s_wait_loadcnt 0x0
	global_inv scope:SCOPE_SYS
	s_clause 0x1
	global_load_b64 v[0:1], v8, s[2:3] offset:40
	global_load_b64 v[6:7], v8, s[2:3]
	s_mov_b32 s4, exec_lo
	s_wait_loadcnt 0x1
	v_and_b32_e32 v0, v0, v2
	v_and_b32_e32 v1, v1, v3
	s_delay_alu instid0(VALU_DEP_1) | instskip(SKIP_1) | instid1(VALU_DEP_1)
	v_mul_u64_e32 v[0:1], 24, v[0:1]
	s_wait_loadcnt 0x0
	v_add_nc_u64_e32 v[0:1], v[6:7], v[0:1]
	global_load_b64 v[0:1], v[0:1], off scope:SCOPE_SYS
	s_wait_xcnt 0x0
	s_wait_loadcnt 0x0
	global_atomic_cmpswap_b64 v[6:7], v8, v[0:3], s[2:3] offset:24 th:TH_ATOMIC_RETURN scope:SCOPE_SYS
	s_wait_loadcnt 0x0
	global_inv scope:SCOPE_SYS
	s_wait_xcnt 0x0
	v_cmpx_ne_u64_e64 v[6:7], v[2:3]
	s_cbranch_execz .LBB1_5
; %bb.2:
	v_mov_b32_e32 v0, 0
	s_mov_b32 s5, 0
.LBB1_3:                                ; =>This Inner Loop Header: Depth=1
	s_sleep 1
	s_clause 0x1
	global_load_b64 v[2:3], v0, s[2:3] offset:40
	global_load_b64 v[10:11], v0, s[2:3]
	v_mov_b64_e32 v[12:13], v[6:7]
	s_wait_loadcnt 0x1
	s_delay_alu instid0(VALU_DEP_1) | instskip(SKIP_1) | instid1(VALU_DEP_1)
	v_and_b32_e32 v1, v2, v12
	s_wait_loadcnt 0x0
	v_mad_nc_u64_u32 v[6:7], v1, 24, v[10:11]
	s_delay_alu instid0(VALU_DEP_3) | instskip(NEXT) | instid1(VALU_DEP_1)
	v_and_b32_e32 v1, v3, v13
	v_mad_u32 v7, v1, 24, v7
	global_load_b64 v[10:11], v[6:7], off scope:SCOPE_SYS
	s_wait_xcnt 0x0
	s_wait_loadcnt 0x0
	global_atomic_cmpswap_b64 v[6:7], v0, v[10:13], s[2:3] offset:24 th:TH_ATOMIC_RETURN scope:SCOPE_SYS
	s_wait_loadcnt 0x0
	global_inv scope:SCOPE_SYS
	v_cmp_eq_u64_e32 vcc_lo, v[6:7], v[12:13]
	s_or_b32 s5, vcc_lo, s5
	s_wait_xcnt 0x0
	s_and_not1_b32 exec_lo, exec_lo, s5
	s_cbranch_execnz .LBB1_3
; %bb.4:
	s_or_b32 exec_lo, exec_lo, s5
.LBB1_5:
	s_delay_alu instid0(SALU_CYCLE_1)
	s_or_b32 exec_lo, exec_lo, s4
.LBB1_6:
	s_delay_alu instid0(SALU_CYCLE_1)
	s_or_b32 exec_lo, exec_lo, s1
	s_clause 0x1
	global_load_b64 v[10:11], v8, s[2:3] offset:40
	global_load_b128 v[0:3], v8, s[2:3]
	v_readfirstlane_b32 s4, v6
	v_readfirstlane_b32 s5, v7
	s_mov_b32 s1, exec_lo
	s_wait_loadcnt 0x1
	s_wait_xcnt 0x0
	v_and_b32_e32 v8, s4, v10
	v_and_b32_e32 v9, s5, v11
	s_delay_alu instid0(VALU_DEP_1) | instskip(SKIP_1) | instid1(VALU_DEP_1)
	v_mul_u64_e32 v[6:7], 24, v[8:9]
	s_wait_loadcnt 0x0
	v_add_nc_u64_e32 v[6:7], v[0:1], v[6:7]
	s_and_saveexec_b32 s6, s0
	s_cbranch_execz .LBB1_8
; %bb.7:
	v_mov_b64_e32 v[12:13], 0x100000002
	v_dual_mov_b32 v10, s1 :: v_dual_mov_b32 v11, 0
	global_store_b128 v[6:7], v[10:13], off offset:8
.LBB1_8:
	s_wait_xcnt 0x0
	s_or_b32 exec_lo, exec_lo, s6
	v_lshlrev_b64_e32 v[8:9], 12, v[8:9]
	s_mov_b32 s12, 0
	v_dual_mov_b32 v31, 0 :: v_dual_lshlrev_b32 v30, 6, v48
	s_mov_b32 s14, s12
	s_mov_b32 s15, s12
	;; [unrolled: 1-line block ×3, first 2 shown]
	s_delay_alu instid0(VALU_DEP_2)
	v_add_nc_u64_e32 v[8:9], v[2:3], v[8:9]
	v_mov_b64_e32 v[16:17], s[14:15]
	v_mov_b64_e32 v[14:15], s[12:13]
	v_dual_mov_b32 v10, 33 :: v_dual_mov_b32 v12, 1
	v_dual_mov_b32 v11, v31 :: v_dual_mov_b32 v13, v31
	v_readfirstlane_b32 s6, v8
	v_readfirstlane_b32 s7, v9
	s_clause 0x3
	global_store_b128 v30, v[10:13], s[6:7]
	global_store_b128 v30, v[14:17], s[6:7] offset:16
	global_store_b128 v30, v[14:17], s[6:7] offset:32
	;; [unrolled: 1-line block ×3, first 2 shown]
	s_wait_xcnt 0x0
	s_and_saveexec_b32 s1, s0
	s_cbranch_execz .LBB1_16
; %bb.9:
	s_clause 0x1
	global_load_b64 v[14:15], v31, s[2:3] offset:32 scope:SCOPE_SYS
	global_load_b64 v[2:3], v31, s[2:3] offset:40
	s_mov_b32 s6, exec_lo
	v_dual_mov_b32 v12, s4 :: v_dual_mov_b32 v13, s5
	s_wait_loadcnt 0x0
	v_and_b32_e32 v3, s5, v3
	v_and_b32_e32 v2, s4, v2
	s_delay_alu instid0(VALU_DEP_1) | instskip(NEXT) | instid1(VALU_DEP_1)
	v_mul_u64_e32 v[2:3], 24, v[2:3]
	v_add_nc_u64_e32 v[10:11], v[0:1], v[2:3]
	global_store_b64 v[10:11], v[14:15], off
	global_wb scope:SCOPE_SYS
	s_wait_storecnt 0x0
	s_wait_xcnt 0x0
	global_atomic_cmpswap_b64 v[2:3], v31, v[12:15], s[2:3] offset:32 th:TH_ATOMIC_RETURN scope:SCOPE_SYS
	s_wait_loadcnt 0x0
	v_cmpx_ne_u64_e64 v[2:3], v[14:15]
	s_cbranch_execz .LBB1_12
; %bb.10:
	v_mov_b32_e32 v12, 0
	s_mov_b32 s7, 0
.LBB1_11:                               ; =>This Inner Loop Header: Depth=1
	v_dual_mov_b32 v0, s4 :: v_dual_mov_b32 v1, s5
	s_sleep 1
	global_store_b64 v[10:11], v[2:3], off
	global_wb scope:SCOPE_SYS
	s_wait_storecnt 0x0
	s_wait_xcnt 0x0
	global_atomic_cmpswap_b64 v[0:1], v12, v[0:3], s[2:3] offset:32 th:TH_ATOMIC_RETURN scope:SCOPE_SYS
	s_wait_loadcnt 0x0
	v_cmp_eq_u64_e32 vcc_lo, v[0:1], v[2:3]
	v_mov_b64_e32 v[2:3], v[0:1]
	s_or_b32 s7, vcc_lo, s7
	s_delay_alu instid0(SALU_CYCLE_1)
	s_and_not1_b32 exec_lo, exec_lo, s7
	s_cbranch_execnz .LBB1_11
.LBB1_12:
	s_or_b32 exec_lo, exec_lo, s6
	v_mov_b32_e32 v3, 0
	s_mov_b32 s7, exec_lo
	s_mov_b32 s6, exec_lo
	v_mbcnt_lo_u32_b32 v2, s7, 0
	global_load_b64 v[0:1], v3, s[2:3] offset:16
	s_wait_xcnt 0x0
	v_cmpx_eq_u32_e32 0, v2
	s_cbranch_execz .LBB1_14
; %bb.13:
	s_bcnt1_i32_b32 s7, s7
	s_delay_alu instid0(SALU_CYCLE_1)
	v_mov_b32_e32 v2, s7
	global_wb scope:SCOPE_SYS
	s_wait_loadcnt 0x0
	s_wait_storecnt 0x0
	global_atomic_add_u64 v[0:1], v[2:3], off offset:8 scope:SCOPE_SYS
.LBB1_14:
	s_wait_xcnt 0x0
	s_or_b32 exec_lo, exec_lo, s6
	s_wait_loadcnt 0x0
	global_load_b64 v[2:3], v[0:1], off offset:16
	s_wait_loadcnt 0x0
	v_cmp_eq_u64_e32 vcc_lo, 0, v[2:3]
	s_cbranch_vccnz .LBB1_16
; %bb.15:
	global_load_b32 v0, v[0:1], off offset:24
	s_wait_xcnt 0x0
	v_mov_b32_e32 v1, 0
	s_wait_loadcnt 0x0
	v_readfirstlane_b32 s6, v0
	global_wb scope:SCOPE_SYS
	s_wait_storecnt 0x0
	global_store_b64 v[2:3], v[0:1], off scope:SCOPE_SYS
	s_and_b32 m0, s6, 0xffffff
	s_sendmsg sendmsg(MSG_INTERRUPT)
.LBB1_16:
	s_wait_xcnt 0x0
	s_or_b32 exec_lo, exec_lo, s1
	v_add_nc_u64_e32 v[0:1], v[8:9], v[30:31]
	s_branch .LBB1_20
.LBB1_17:                               ;   in Loop: Header=BB1_20 Depth=1
	s_wait_xcnt 0x0
	s_or_b32 exec_lo, exec_lo, s1
	s_delay_alu instid0(VALU_DEP_1)
	v_readfirstlane_b32 s1, v2
	s_cmp_eq_u32 s1, 0
	s_cbranch_scc1 .LBB1_19
; %bb.18:                               ;   in Loop: Header=BB1_20 Depth=1
	s_sleep 1
	s_cbranch_execnz .LBB1_20
	s_branch .LBB1_22
.LBB1_19:
	s_branch .LBB1_22
.LBB1_20:                               ; =>This Inner Loop Header: Depth=1
	v_mov_b32_e32 v2, 1
	s_and_saveexec_b32 s1, s0
	s_cbranch_execz .LBB1_17
; %bb.21:                               ;   in Loop: Header=BB1_20 Depth=1
	global_load_b32 v2, v[6:7], off offset:20 scope:SCOPE_SYS
	s_wait_loadcnt 0x0
	global_inv scope:SCOPE_SYS
	v_and_b32_e32 v2, 1, v2
	s_branch .LBB1_17
.LBB1_22:
	global_load_b64 v[6:7], v[0:1], off
	s_wait_xcnt 0x0
	s_and_saveexec_b32 s6, s0
	s_cbranch_execz .LBB1_26
; %bb.23:
	v_mov_b32_e32 v10, 0
	s_clause 0x2
	global_load_b64 v[0:1], v10, s[2:3] offset:40
	global_load_b64 v[14:15], v10, s[2:3] offset:24 scope:SCOPE_SYS
	global_load_b64 v[2:3], v10, s[2:3]
	s_wait_loadcnt 0x2
	v_readfirstlane_b32 s10, v0
	v_readfirstlane_b32 s11, v1
	s_add_nc_u64 s[0:1], s[10:11], 1
	s_delay_alu instid0(SALU_CYCLE_1) | instskip(NEXT) | instid1(SALU_CYCLE_1)
	s_add_nc_u64 s[4:5], s[0:1], s[4:5]
	s_cmp_eq_u64 s[4:5], 0
	s_cselect_b32 s1, s1, s5
	s_cselect_b32 s0, s0, s4
	v_mov_b32_e32 v13, s1
	s_and_b64 s[4:5], s[0:1], s[10:11]
	v_mov_b32_e32 v12, s0
	s_mul_u64 s[4:5], s[4:5], 24
	s_wait_loadcnt 0x0
	v_add_nc_u64_e32 v[8:9], s[4:5], v[2:3]
	global_store_b64 v[8:9], v[14:15], off
	global_wb scope:SCOPE_SYS
	s_wait_storecnt 0x0
	s_wait_xcnt 0x0
	global_atomic_cmpswap_b64 v[2:3], v10, v[12:15], s[2:3] offset:24 th:TH_ATOMIC_RETURN scope:SCOPE_SYS
	s_wait_loadcnt 0x0
	v_cmp_ne_u64_e32 vcc_lo, v[2:3], v[14:15]
	s_and_b32 exec_lo, exec_lo, vcc_lo
	s_cbranch_execz .LBB1_26
; %bb.24:
	s_mov_b32 s4, 0
.LBB1_25:                               ; =>This Inner Loop Header: Depth=1
	v_dual_mov_b32 v0, s0 :: v_dual_mov_b32 v1, s1
	s_sleep 1
	global_store_b64 v[8:9], v[2:3], off
	global_wb scope:SCOPE_SYS
	s_wait_storecnt 0x0
	s_wait_xcnt 0x0
	global_atomic_cmpswap_b64 v[0:1], v10, v[0:3], s[2:3] offset:24 th:TH_ATOMIC_RETURN scope:SCOPE_SYS
	s_wait_loadcnt 0x0
	v_cmp_eq_u64_e32 vcc_lo, v[0:1], v[2:3]
	v_mov_b64_e32 v[2:3], v[0:1]
	s_or_b32 s4, vcc_lo, s4
	s_delay_alu instid0(SALU_CYCLE_1)
	s_and_not1_b32 exec_lo, exec_lo, s4
	s_cbranch_execnz .LBB1_25
.LBB1_26:
	s_or_b32 exec_lo, exec_lo, s6
	s_mov_b32 s1, s33
	s_mov_b32 s0, 0
.LBB1_27:                               ; =>This Inner Loop Header: Depth=1
	scratch_load_u8 v0, off, s1
	s_wait_xcnt 0x0
	s_add_co_i32 s1, s1, 1
	s_wait_loadcnt 0x0
	v_cmp_eq_u16_e32 vcc_lo, 0, v0
	v_mov_b32_e32 v0, s1
	s_or_b32 s0, vcc_lo, s0
	s_delay_alu instid0(SALU_CYCLE_1)
	s_and_not1_b32 exec_lo, exec_lo, s0
	s_cbranch_execnz .LBB1_27
; %bb.28:
	s_or_b32 exec_lo, exec_lo, s0
	s_cmp_lg_u32 s33, -1
	s_cbranch_scc0 .LBB1_113
; %bb.29:
	s_mov_b64 s[0:1], src_flat_scratch_base_lo
	v_mov_b64_e32 v[10:11], 0x100000002
	v_dual_add_nc_u32 v0, s0, v0 :: v_dual_bitop2_b32 v28, 2, v6 bitop3:0x40
	s_add_co_i32 s0, s33, s0
	v_dual_mov_b32 v31, 0 :: v_dual_mov_b32 v29, s33
	s_delay_alu instid0(VALU_DEP_2) | instskip(SKIP_3) | instid1(VALU_DEP_2)
	v_subrev_nc_u32_e32 v32, s0, v0
	v_dual_mov_b32 v1, v7 :: v_dual_bitop2_b32 v0, -3, v6 bitop3:0x40
	s_mov_b32 s7, 0
	s_mov_b32 s6, 0
	v_ashrrev_i32_e32 v33, 31, v32
	s_branch .LBB1_31
.LBB1_30:                               ;   in Loop: Header=BB1_31 Depth=1
	s_or_b32 exec_lo, exec_lo, s10
	v_sub_nc_u64_e32 v[32:33], v[32:33], v[34:35]
	v_add_nc_u32_e32 v29, v29, v34
	s_delay_alu instid0(VALU_DEP_2) | instskip(SKIP_1) | instid1(SALU_CYCLE_1)
	v_cmp_eq_u64_e32 vcc_lo, 0, v[32:33]
	s_or_b32 s6, vcc_lo, s6
	s_and_not1_b32 exec_lo, exec_lo, s6
	s_cbranch_execz .LBB1_192
.LBB1_31:                               ; =>This Loop Header: Depth=1
                                        ;     Child Loop BB1_34 Depth 2
                                        ;     Child Loop BB1_42 Depth 2
	;; [unrolled: 1-line block ×11, first 2 shown]
	s_delay_alu instid0(VALU_DEP_1)
	v_min_u64 v[34:35], v[32:33], 56
	v_add_nc_u32_e32 v9, 8, v29
	s_mov_b32 s0, exec_lo
	v_cmpx_gt_u64_e32 8, v[32:33]
	s_xor_b32 s4, exec_lo, s0
	s_cbranch_execz .LBB1_37
; %bb.32:                               ;   in Loop: Header=BB1_31 Depth=1
	v_mov_b64_e32 v[2:3], 0
	s_mov_b32 s5, exec_lo
	v_cmpx_ne_u64_e32 0, v[32:33]
	s_cbranch_execz .LBB1_36
; %bb.33:                               ;   in Loop: Header=BB1_31 Depth=1
	v_mov_b64_e32 v[2:3], 0
	v_dual_mov_b32 v9, v29 :: v_dual_lshlrev_b32 v8, 3, v34
	s_mov_b64 s[0:1], 0
	s_mov_b32 s10, 0
.LBB1_34:                               ;   Parent Loop BB1_31 Depth=1
                                        ; =>  This Inner Loop Header: Depth=2
	scratch_load_u8 v12, v9, off
	s_wait_xcnt 0x0
	v_dual_mov_b32 v13, s7 :: v_dual_add_nc_u32 v9, 1, v9
	s_wait_loadcnt 0x0
	v_and_b32_e32 v12, 0xffff, v12
	s_delay_alu instid0(VALU_DEP_1) | instskip(SKIP_1) | instid1(SALU_CYCLE_1)
	v_lshlrev_b64_e32 v[12:13], s0, v[12:13]
	s_add_nc_u64 s[0:1], s[0:1], 8
	v_cmp_eq_u32_e32 vcc_lo, s0, v8
	s_delay_alu instid0(VALU_DEP_2) | instskip(NEXT) | instid1(VALU_DEP_3)
	v_or_b32_e32 v3, v13, v3
	v_or_b32_e32 v2, v12, v2
	s_or_b32 s10, vcc_lo, s10
	s_delay_alu instid0(SALU_CYCLE_1)
	s_and_not1_b32 exec_lo, exec_lo, s10
	s_cbranch_execnz .LBB1_34
; %bb.35:                               ;   in Loop: Header=BB1_31 Depth=1
	s_or_b32 exec_lo, exec_lo, s10
.LBB1_36:                               ;   in Loop: Header=BB1_31 Depth=1
	s_delay_alu instid0(SALU_CYCLE_1)
	s_or_b32 exec_lo, exec_lo, s5
	v_mov_b32_e32 v9, v29
.LBB1_37:                               ;   in Loop: Header=BB1_31 Depth=1
	s_or_saveexec_b32 s0, s4
	v_mov_b32_e32 v14, 0
	s_xor_b32 exec_lo, exec_lo, s0
	s_cbranch_execz .LBB1_39
; %bb.38:                               ;   in Loop: Header=BB1_31 Depth=1
	scratch_load_b64 v[2:3], v29, off
	v_add_nc_u32_e32 v14, -8, v34
.LBB1_39:                               ;   in Loop: Header=BB1_31 Depth=1
	s_wait_xcnt 0x0
	s_or_b32 exec_lo, exec_lo, s0
	v_add_nc_u32_e32 v8, 8, v9
                                        ; implicit-def: $vgpr12_vgpr13
	s_mov_b32 s0, exec_lo
	v_cmpx_gt_u32_e32 8, v14
	s_xor_b32 s4, exec_lo, s0
	s_cbranch_execz .LBB1_45
; %bb.40:                               ;   in Loop: Header=BB1_31 Depth=1
	v_mov_b64_e32 v[12:13], 0
	s_mov_b32 s5, exec_lo
	v_cmpx_ne_u32_e32 0, v14
	s_cbranch_execz .LBB1_44
; %bb.41:                               ;   in Loop: Header=BB1_31 Depth=1
	v_mov_b64_e32 v[12:13], 0
	s_mov_b64 s[0:1], 0
	s_mov_b32 s10, 0
	s_mov_b32 s11, 0
.LBB1_42:                               ;   Parent Loop BB1_31 Depth=1
                                        ; =>  This Inner Loop Header: Depth=2
	scratch_load_u8 v8, v9, s11
	v_mov_b32_e32 v17, s7
	s_wait_xcnt 0x0
	s_add_co_i32 s11, s11, 1
	s_delay_alu instid0(SALU_CYCLE_1) | instskip(SKIP_3) | instid1(VALU_DEP_1)
	v_cmp_eq_u32_e32 vcc_lo, s11, v14
	s_or_b32 s10, vcc_lo, s10
	s_wait_loadcnt 0x0
	v_and_b32_e32 v16, 0xffff, v8
	v_lshlrev_b64_e32 v[16:17], s0, v[16:17]
	s_add_nc_u64 s[0:1], s[0:1], 8
	s_delay_alu instid0(VALU_DEP_1) | instskip(NEXT) | instid1(VALU_DEP_2)
	v_or_b32_e32 v13, v17, v13
	v_or_b32_e32 v12, v16, v12
	s_and_not1_b32 exec_lo, exec_lo, s10
	s_cbranch_execnz .LBB1_42
; %bb.43:                               ;   in Loop: Header=BB1_31 Depth=1
	s_or_b32 exec_lo, exec_lo, s10
.LBB1_44:                               ;   in Loop: Header=BB1_31 Depth=1
	s_delay_alu instid0(SALU_CYCLE_1)
	s_or_b32 exec_lo, exec_lo, s5
	v_mov_b32_e32 v8, v9
                                        ; implicit-def: $vgpr14
.LBB1_45:                               ;   in Loop: Header=BB1_31 Depth=1
	s_or_saveexec_b32 s0, s4
	v_mov_b32_e32 v16, 0
	s_xor_b32 exec_lo, exec_lo, s0
	s_cbranch_execz .LBB1_47
; %bb.46:                               ;   in Loop: Header=BB1_31 Depth=1
	scratch_load_b64 v[12:13], v9, off
	v_add_nc_u32_e32 v16, -8, v14
.LBB1_47:                               ;   in Loop: Header=BB1_31 Depth=1
	s_wait_xcnt 0x0
	s_or_b32 exec_lo, exec_lo, s0
	v_add_nc_u32_e32 v9, 8, v8
	s_mov_b32 s0, exec_lo
	v_cmpx_gt_u32_e32 8, v16
	s_xor_b32 s4, exec_lo, s0
	s_cbranch_execz .LBB1_53
; %bb.48:                               ;   in Loop: Header=BB1_31 Depth=1
	v_mov_b64_e32 v[14:15], 0
	s_mov_b32 s5, exec_lo
	v_cmpx_ne_u32_e32 0, v16
	s_cbranch_execz .LBB1_52
; %bb.49:                               ;   in Loop: Header=BB1_31 Depth=1
	v_mov_b64_e32 v[14:15], 0
	s_mov_b64 s[0:1], 0
	s_mov_b32 s10, 0
	s_mov_b32 s11, 0
.LBB1_50:                               ;   Parent Loop BB1_31 Depth=1
                                        ; =>  This Inner Loop Header: Depth=2
	scratch_load_u8 v9, v8, s11
	v_mov_b32_e32 v19, s7
	s_wait_xcnt 0x0
	s_add_co_i32 s11, s11, 1
	s_delay_alu instid0(SALU_CYCLE_1) | instskip(SKIP_3) | instid1(VALU_DEP_1)
	v_cmp_eq_u32_e32 vcc_lo, s11, v16
	s_or_b32 s10, vcc_lo, s10
	s_wait_loadcnt 0x0
	v_and_b32_e32 v18, 0xffff, v9
	v_lshlrev_b64_e32 v[18:19], s0, v[18:19]
	s_add_nc_u64 s[0:1], s[0:1], 8
	s_delay_alu instid0(VALU_DEP_1) | instskip(NEXT) | instid1(VALU_DEP_2)
	v_or_b32_e32 v15, v19, v15
	v_or_b32_e32 v14, v18, v14
	s_and_not1_b32 exec_lo, exec_lo, s10
	s_cbranch_execnz .LBB1_50
; %bb.51:                               ;   in Loop: Header=BB1_31 Depth=1
	s_or_b32 exec_lo, exec_lo, s10
.LBB1_52:                               ;   in Loop: Header=BB1_31 Depth=1
	s_delay_alu instid0(SALU_CYCLE_1)
	s_or_b32 exec_lo, exec_lo, s5
	v_mov_b32_e32 v9, v8
                                        ; implicit-def: $vgpr16
.LBB1_53:                               ;   in Loop: Header=BB1_31 Depth=1
	s_or_saveexec_b32 s0, s4
	v_mov_b32_e32 v18, 0
	s_xor_b32 exec_lo, exec_lo, s0
	s_cbranch_execz .LBB1_55
; %bb.54:                               ;   in Loop: Header=BB1_31 Depth=1
	scratch_load_b64 v[14:15], v8, off
	v_add_nc_u32_e32 v18, -8, v16
.LBB1_55:                               ;   in Loop: Header=BB1_31 Depth=1
	s_wait_xcnt 0x0
	s_or_b32 exec_lo, exec_lo, s0
	v_add_nc_u32_e32 v8, 8, v9
                                        ; implicit-def: $vgpr16_vgpr17
	s_mov_b32 s0, exec_lo
	v_cmpx_gt_u32_e32 8, v18
	s_xor_b32 s4, exec_lo, s0
	s_cbranch_execz .LBB1_61
; %bb.56:                               ;   in Loop: Header=BB1_31 Depth=1
	v_mov_b64_e32 v[16:17], 0
	s_mov_b32 s5, exec_lo
	v_cmpx_ne_u32_e32 0, v18
	s_cbranch_execz .LBB1_60
; %bb.57:                               ;   in Loop: Header=BB1_31 Depth=1
	v_mov_b64_e32 v[16:17], 0
	s_mov_b64 s[0:1], 0
	s_mov_b32 s10, 0
	s_mov_b32 s11, 0
.LBB1_58:                               ;   Parent Loop BB1_31 Depth=1
                                        ; =>  This Inner Loop Header: Depth=2
	scratch_load_u8 v8, v9, s11
	v_mov_b32_e32 v21, s7
	s_wait_xcnt 0x0
	s_add_co_i32 s11, s11, 1
	s_delay_alu instid0(SALU_CYCLE_1) | instskip(SKIP_3) | instid1(VALU_DEP_1)
	v_cmp_eq_u32_e32 vcc_lo, s11, v18
	s_or_b32 s10, vcc_lo, s10
	s_wait_loadcnt 0x0
	v_and_b32_e32 v20, 0xffff, v8
	v_lshlrev_b64_e32 v[20:21], s0, v[20:21]
	s_add_nc_u64 s[0:1], s[0:1], 8
	s_delay_alu instid0(VALU_DEP_1) | instskip(NEXT) | instid1(VALU_DEP_2)
	v_or_b32_e32 v17, v21, v17
	v_or_b32_e32 v16, v20, v16
	s_and_not1_b32 exec_lo, exec_lo, s10
	s_cbranch_execnz .LBB1_58
; %bb.59:                               ;   in Loop: Header=BB1_31 Depth=1
	s_or_b32 exec_lo, exec_lo, s10
.LBB1_60:                               ;   in Loop: Header=BB1_31 Depth=1
	s_delay_alu instid0(SALU_CYCLE_1)
	s_or_b32 exec_lo, exec_lo, s5
	v_mov_b32_e32 v8, v9
                                        ; implicit-def: $vgpr18
.LBB1_61:                               ;   in Loop: Header=BB1_31 Depth=1
	s_or_saveexec_b32 s0, s4
	v_mov_b32_e32 v20, 0
	s_xor_b32 exec_lo, exec_lo, s0
	s_cbranch_execz .LBB1_63
; %bb.62:                               ;   in Loop: Header=BB1_31 Depth=1
	scratch_load_b64 v[16:17], v9, off
	v_add_nc_u32_e32 v20, -8, v18
.LBB1_63:                               ;   in Loop: Header=BB1_31 Depth=1
	s_wait_xcnt 0x0
	s_or_b32 exec_lo, exec_lo, s0
	v_add_nc_u32_e32 v9, 8, v8
	s_mov_b32 s0, exec_lo
	v_cmpx_gt_u32_e32 8, v20
	s_xor_b32 s4, exec_lo, s0
	s_cbranch_execz .LBB1_69
; %bb.64:                               ;   in Loop: Header=BB1_31 Depth=1
	v_mov_b64_e32 v[18:19], 0
	s_mov_b32 s5, exec_lo
	v_cmpx_ne_u32_e32 0, v20
	s_cbranch_execz .LBB1_68
; %bb.65:                               ;   in Loop: Header=BB1_31 Depth=1
	v_mov_b64_e32 v[18:19], 0
	s_mov_b64 s[0:1], 0
	s_mov_b32 s10, 0
	s_mov_b32 s11, 0
.LBB1_66:                               ;   Parent Loop BB1_31 Depth=1
                                        ; =>  This Inner Loop Header: Depth=2
	scratch_load_u8 v9, v8, s11
	v_mov_b32_e32 v23, s7
	s_wait_xcnt 0x0
	s_add_co_i32 s11, s11, 1
	s_delay_alu instid0(SALU_CYCLE_1) | instskip(SKIP_3) | instid1(VALU_DEP_1)
	v_cmp_eq_u32_e32 vcc_lo, s11, v20
	s_or_b32 s10, vcc_lo, s10
	s_wait_loadcnt 0x0
	v_and_b32_e32 v22, 0xffff, v9
	v_lshlrev_b64_e32 v[22:23], s0, v[22:23]
	s_add_nc_u64 s[0:1], s[0:1], 8
	s_delay_alu instid0(VALU_DEP_1) | instskip(NEXT) | instid1(VALU_DEP_2)
	v_or_b32_e32 v19, v23, v19
	v_or_b32_e32 v18, v22, v18
	s_and_not1_b32 exec_lo, exec_lo, s10
	s_cbranch_execnz .LBB1_66
; %bb.67:                               ;   in Loop: Header=BB1_31 Depth=1
	s_or_b32 exec_lo, exec_lo, s10
.LBB1_68:                               ;   in Loop: Header=BB1_31 Depth=1
	s_delay_alu instid0(SALU_CYCLE_1)
	s_or_b32 exec_lo, exec_lo, s5
	v_mov_b32_e32 v9, v8
                                        ; implicit-def: $vgpr20
.LBB1_69:                               ;   in Loop: Header=BB1_31 Depth=1
	s_or_saveexec_b32 s0, s4
	v_mov_b32_e32 v22, 0
	s_xor_b32 exec_lo, exec_lo, s0
	s_cbranch_execz .LBB1_71
; %bb.70:                               ;   in Loop: Header=BB1_31 Depth=1
	scratch_load_b64 v[18:19], v8, off
	v_add_nc_u32_e32 v22, -8, v20
.LBB1_71:                               ;   in Loop: Header=BB1_31 Depth=1
	s_wait_xcnt 0x0
	s_or_b32 exec_lo, exec_lo, s0
	v_add_nc_u32_e32 v8, 8, v9
                                        ; implicit-def: $vgpr20_vgpr21
	s_mov_b32 s0, exec_lo
	v_cmpx_gt_u32_e32 8, v22
	s_xor_b32 s4, exec_lo, s0
	s_cbranch_execz .LBB1_77
; %bb.72:                               ;   in Loop: Header=BB1_31 Depth=1
	v_mov_b64_e32 v[20:21], 0
	s_mov_b32 s5, exec_lo
	v_cmpx_ne_u32_e32 0, v22
	s_cbranch_execz .LBB1_76
; %bb.73:                               ;   in Loop: Header=BB1_31 Depth=1
	v_mov_b64_e32 v[20:21], 0
	s_mov_b64 s[0:1], 0
	s_mov_b32 s10, 0
	s_mov_b32 s11, 0
.LBB1_74:                               ;   Parent Loop BB1_31 Depth=1
                                        ; =>  This Inner Loop Header: Depth=2
	scratch_load_u8 v8, v9, s11
	v_mov_b32_e32 v25, s7
	s_wait_xcnt 0x0
	s_add_co_i32 s11, s11, 1
	s_delay_alu instid0(SALU_CYCLE_1) | instskip(SKIP_3) | instid1(VALU_DEP_1)
	v_cmp_eq_u32_e32 vcc_lo, s11, v22
	s_or_b32 s10, vcc_lo, s10
	s_wait_loadcnt 0x0
	v_and_b32_e32 v24, 0xffff, v8
	v_lshlrev_b64_e32 v[24:25], s0, v[24:25]
	s_add_nc_u64 s[0:1], s[0:1], 8
	s_delay_alu instid0(VALU_DEP_1) | instskip(NEXT) | instid1(VALU_DEP_2)
	v_or_b32_e32 v21, v25, v21
	v_or_b32_e32 v20, v24, v20
	s_and_not1_b32 exec_lo, exec_lo, s10
	s_cbranch_execnz .LBB1_74
; %bb.75:                               ;   in Loop: Header=BB1_31 Depth=1
	s_or_b32 exec_lo, exec_lo, s10
.LBB1_76:                               ;   in Loop: Header=BB1_31 Depth=1
	s_delay_alu instid0(SALU_CYCLE_1)
	s_or_b32 exec_lo, exec_lo, s5
	v_mov_b32_e32 v8, v9
                                        ; implicit-def: $vgpr22
.LBB1_77:                               ;   in Loop: Header=BB1_31 Depth=1
	s_or_saveexec_b32 s0, s4
	v_mov_b32_e32 v24, 0
	s_xor_b32 exec_lo, exec_lo, s0
	s_cbranch_execz .LBB1_79
; %bb.78:                               ;   in Loop: Header=BB1_31 Depth=1
	scratch_load_b64 v[20:21], v9, off
	v_add_nc_u32_e32 v24, -8, v22
.LBB1_79:                               ;   in Loop: Header=BB1_31 Depth=1
	s_wait_xcnt 0x0
	s_or_b32 exec_lo, exec_lo, s0
	s_delay_alu instid0(SALU_CYCLE_1) | instskip(NEXT) | instid1(VALU_DEP_1)
	s_mov_b32 s0, exec_lo
	v_cmpx_gt_u32_e32 8, v24
	s_xor_b32 s4, exec_lo, s0
	s_cbranch_execz .LBB1_85
; %bb.80:                               ;   in Loop: Header=BB1_31 Depth=1
	v_mov_b64_e32 v[22:23], 0
	s_mov_b32 s5, exec_lo
	v_cmpx_ne_u32_e32 0, v24
	s_cbranch_execz .LBB1_84
; %bb.81:                               ;   in Loop: Header=BB1_31 Depth=1
	v_mov_b64_e32 v[22:23], 0
	s_mov_b64 s[0:1], 0
	s_mov_b32 s10, 0
.LBB1_82:                               ;   Parent Loop BB1_31 Depth=1
                                        ; =>  This Inner Loop Header: Depth=2
	scratch_load_u8 v9, v8, off
	v_dual_mov_b32 v27, s7 :: v_dual_add_nc_u32 v24, -1, v24
	s_delay_alu instid0(VALU_DEP_1) | instskip(SKIP_3) | instid1(VALU_DEP_1)
	v_cmp_eq_u32_e32 vcc_lo, 0, v24
	s_or_b32 s10, vcc_lo, s10
	s_wait_loadcnt 0x0
	v_and_b32_e32 v26, 0xffff, v9
	v_lshlrev_b64_e32 v[26:27], s0, v[26:27]
	s_wait_xcnt 0x0
	v_add_nc_u32_e32 v8, 1, v8
	s_add_nc_u64 s[0:1], s[0:1], 8
	s_delay_alu instid0(VALU_DEP_2) | instskip(NEXT) | instid1(VALU_DEP_3)
	v_or_b32_e32 v23, v27, v23
	v_or_b32_e32 v22, v26, v22
	s_and_not1_b32 exec_lo, exec_lo, s10
	s_cbranch_execnz .LBB1_82
; %bb.83:                               ;   in Loop: Header=BB1_31 Depth=1
	s_or_b32 exec_lo, exec_lo, s10
.LBB1_84:                               ;   in Loop: Header=BB1_31 Depth=1
	s_delay_alu instid0(SALU_CYCLE_1)
	s_or_b32 exec_lo, exec_lo, s5
                                        ; implicit-def: $vgpr8
.LBB1_85:                               ;   in Loop: Header=BB1_31 Depth=1
	s_and_not1_saveexec_b32 s0, s4
	s_cbranch_execz .LBB1_87
; %bb.86:                               ;   in Loop: Header=BB1_31 Depth=1
	scratch_load_b64 v[22:23], v8, off
.LBB1_87:                               ;   in Loop: Header=BB1_31 Depth=1
	s_wait_xcnt 0x0
	s_or_b32 exec_lo, exec_lo, s0
	v_readfirstlane_b32 s0, v48
	v_mov_b64_e32 v[8:9], 0
	s_delay_alu instid0(VALU_DEP_2)
	v_cmp_eq_u32_e64 s0, s0, v48
	s_and_saveexec_b32 s1, s0
	s_cbranch_execz .LBB1_93
; %bb.88:                               ;   in Loop: Header=BB1_31 Depth=1
	global_load_b64 v[26:27], v31, s[2:3] offset:24 scope:SCOPE_SYS
	s_wait_loadcnt 0x0
	global_inv scope:SCOPE_SYS
	s_clause 0x1
	global_load_b64 v[8:9], v31, s[2:3] offset:40
	global_load_b64 v[24:25], v31, s[2:3]
	s_mov_b32 s4, exec_lo
	s_wait_loadcnt 0x1
	v_and_b32_e32 v8, v8, v26
	v_and_b32_e32 v9, v9, v27
	s_delay_alu instid0(VALU_DEP_1) | instskip(SKIP_1) | instid1(VALU_DEP_1)
	v_mul_u64_e32 v[8:9], 24, v[8:9]
	s_wait_loadcnt 0x0
	v_add_nc_u64_e32 v[8:9], v[24:25], v[8:9]
	global_load_b64 v[24:25], v[8:9], off scope:SCOPE_SYS
	s_wait_xcnt 0x0
	s_wait_loadcnt 0x0
	global_atomic_cmpswap_b64 v[8:9], v31, v[24:27], s[2:3] offset:24 th:TH_ATOMIC_RETURN scope:SCOPE_SYS
	s_wait_loadcnt 0x0
	global_inv scope:SCOPE_SYS
	s_wait_xcnt 0x0
	v_cmpx_ne_u64_e64 v[8:9], v[26:27]
	s_cbranch_execz .LBB1_92
; %bb.89:                               ;   in Loop: Header=BB1_31 Depth=1
	s_mov_b32 s5, 0
.LBB1_90:                               ;   Parent Loop BB1_31 Depth=1
                                        ; =>  This Inner Loop Header: Depth=2
	s_sleep 1
	s_clause 0x1
	global_load_b64 v[24:25], v31, s[2:3] offset:40
	global_load_b64 v[36:37], v31, s[2:3]
	v_mov_b64_e32 v[26:27], v[8:9]
	s_wait_loadcnt 0x1
	s_delay_alu instid0(VALU_DEP_1) | instskip(NEXT) | instid1(VALU_DEP_2)
	v_and_b32_e32 v8, v24, v26
	v_and_b32_e32 v24, v25, v27
	s_wait_loadcnt 0x0
	s_delay_alu instid0(VALU_DEP_2) | instskip(NEXT) | instid1(VALU_DEP_1)
	v_mad_nc_u64_u32 v[8:9], v8, 24, v[36:37]
	v_mad_u32 v9, v24, 24, v9
	global_load_b64 v[24:25], v[8:9], off scope:SCOPE_SYS
	s_wait_xcnt 0x0
	s_wait_loadcnt 0x0
	global_atomic_cmpswap_b64 v[8:9], v31, v[24:27], s[2:3] offset:24 th:TH_ATOMIC_RETURN scope:SCOPE_SYS
	s_wait_loadcnt 0x0
	global_inv scope:SCOPE_SYS
	v_cmp_eq_u64_e32 vcc_lo, v[8:9], v[26:27]
	s_or_b32 s5, vcc_lo, s5
	s_wait_xcnt 0x0
	s_and_not1_b32 exec_lo, exec_lo, s5
	s_cbranch_execnz .LBB1_90
; %bb.91:                               ;   in Loop: Header=BB1_31 Depth=1
	s_or_b32 exec_lo, exec_lo, s5
.LBB1_92:                               ;   in Loop: Header=BB1_31 Depth=1
	s_delay_alu instid0(SALU_CYCLE_1)
	s_or_b32 exec_lo, exec_lo, s4
.LBB1_93:                               ;   in Loop: Header=BB1_31 Depth=1
	s_delay_alu instid0(SALU_CYCLE_1)
	s_or_b32 exec_lo, exec_lo, s1
	s_clause 0x1
	global_load_b64 v[36:37], v31, s[2:3] offset:40
	global_load_b128 v[24:27], v31, s[2:3]
	v_readfirstlane_b32 s4, v8
	v_readfirstlane_b32 s5, v9
	s_mov_b32 s1, exec_lo
	s_wait_loadcnt 0x1
	v_and_b32_e32 v38, s4, v36
	v_and_b32_e32 v39, s5, v37
	s_delay_alu instid0(VALU_DEP_1) | instskip(SKIP_1) | instid1(VALU_DEP_1)
	v_mul_u64_e32 v[8:9], 24, v[38:39]
	s_wait_loadcnt 0x0
	v_add_nc_u64_e32 v[36:37], v[24:25], v[8:9]
	s_wait_xcnt 0x0
	s_and_saveexec_b32 s10, s0
	s_cbranch_execz .LBB1_95
; %bb.94:                               ;   in Loop: Header=BB1_31 Depth=1
	v_dual_mov_b32 v8, s1 :: v_dual_mov_b32 v9, v31
	global_store_b128 v[36:37], v[8:11], off offset:8
.LBB1_95:                               ;   in Loop: Header=BB1_31 Depth=1
	s_wait_xcnt 0x0
	s_or_b32 exec_lo, exec_lo, s10
	v_cmp_gt_u64_e32 vcc_lo, 57, v[32:33]
	v_lshlrev_b64_e32 v[8:9], 12, v[38:39]
	v_and_b32_e32 v0, 0xffffff1f, v0
	v_lshl_add_u32 v39, v34, 2, 28
	v_cndmask_b32_e32 v38, 0, v28, vcc_lo
	s_delay_alu instid0(VALU_DEP_4) | instskip(NEXT) | instid1(VALU_DEP_2)
	v_add_nc_u64_e32 v[8:9], v[26:27], v[8:9]
	v_or_b32_e32 v0, v0, v38
	s_delay_alu instid0(VALU_DEP_2) | instskip(NEXT) | instid1(VALU_DEP_3)
	v_readfirstlane_b32 s10, v8
	v_readfirstlane_b32 s11, v9
	s_delay_alu instid0(VALU_DEP_3)
	v_and_or_b32 v0, 0x1e0, v39, v0
	s_clause 0x3
	global_store_b128 v30, v[0:3], s[10:11]
	global_store_b128 v30, v[12:15], s[10:11] offset:16
	global_store_b128 v30, v[16:19], s[10:11] offset:32
	;; [unrolled: 1-line block ×3, first 2 shown]
	s_wait_xcnt 0x0
	s_and_saveexec_b32 s1, s0
	s_cbranch_execz .LBB1_103
; %bb.96:                               ;   in Loop: Header=BB1_31 Depth=1
	s_clause 0x1
	global_load_b64 v[16:17], v31, s[2:3] offset:32 scope:SCOPE_SYS
	global_load_b64 v[0:1], v31, s[2:3] offset:40
	s_mov_b32 s10, exec_lo
	v_dual_mov_b32 v14, s4 :: v_dual_mov_b32 v15, s5
	s_wait_loadcnt 0x0
	v_and_b32_e32 v1, s5, v1
	v_and_b32_e32 v0, s4, v0
	s_delay_alu instid0(VALU_DEP_1) | instskip(NEXT) | instid1(VALU_DEP_1)
	v_mul_u64_e32 v[0:1], 24, v[0:1]
	v_add_nc_u64_e32 v[12:13], v[24:25], v[0:1]
	global_store_b64 v[12:13], v[16:17], off
	global_wb scope:SCOPE_SYS
	s_wait_storecnt 0x0
	s_wait_xcnt 0x0
	global_atomic_cmpswap_b64 v[2:3], v31, v[14:17], s[2:3] offset:32 th:TH_ATOMIC_RETURN scope:SCOPE_SYS
	s_wait_loadcnt 0x0
	v_cmpx_ne_u64_e64 v[2:3], v[16:17]
	s_cbranch_execz .LBB1_99
; %bb.97:                               ;   in Loop: Header=BB1_31 Depth=1
	s_mov_b32 s11, 0
.LBB1_98:                               ;   Parent Loop BB1_31 Depth=1
                                        ; =>  This Inner Loop Header: Depth=2
	v_dual_mov_b32 v0, s4 :: v_dual_mov_b32 v1, s5
	s_sleep 1
	global_store_b64 v[12:13], v[2:3], off
	global_wb scope:SCOPE_SYS
	s_wait_storecnt 0x0
	s_wait_xcnt 0x0
	global_atomic_cmpswap_b64 v[0:1], v31, v[0:3], s[2:3] offset:32 th:TH_ATOMIC_RETURN scope:SCOPE_SYS
	s_wait_loadcnt 0x0
	v_cmp_eq_u64_e32 vcc_lo, v[0:1], v[2:3]
	v_mov_b64_e32 v[2:3], v[0:1]
	s_or_b32 s11, vcc_lo, s11
	s_delay_alu instid0(SALU_CYCLE_1)
	s_and_not1_b32 exec_lo, exec_lo, s11
	s_cbranch_execnz .LBB1_98
.LBB1_99:                               ;   in Loop: Header=BB1_31 Depth=1
	s_or_b32 exec_lo, exec_lo, s10
	global_load_b64 v[0:1], v31, s[2:3] offset:16
	s_mov_b32 s11, exec_lo
	s_mov_b32 s10, exec_lo
	v_mbcnt_lo_u32_b32 v2, s11, 0
	s_wait_xcnt 0x0
	s_delay_alu instid0(VALU_DEP_1)
	v_cmpx_eq_u32_e32 0, v2
	s_cbranch_execz .LBB1_101
; %bb.100:                              ;   in Loop: Header=BB1_31 Depth=1
	s_bcnt1_i32_b32 s11, s11
	s_delay_alu instid0(SALU_CYCLE_1)
	v_dual_mov_b32 v3, v31 :: v_dual_mov_b32 v2, s11
	global_wb scope:SCOPE_SYS
	s_wait_loadcnt 0x0
	s_wait_storecnt 0x0
	global_atomic_add_u64 v[0:1], v[2:3], off offset:8 scope:SCOPE_SYS
.LBB1_101:                              ;   in Loop: Header=BB1_31 Depth=1
	s_wait_xcnt 0x0
	s_or_b32 exec_lo, exec_lo, s10
	s_wait_loadcnt 0x0
	global_load_b64 v[2:3], v[0:1], off offset:16
	s_wait_loadcnt 0x0
	v_cmp_eq_u64_e32 vcc_lo, 0, v[2:3]
	s_cbranch_vccnz .LBB1_103
; %bb.102:                              ;   in Loop: Header=BB1_31 Depth=1
	global_load_b32 v0, v[0:1], off offset:24
	s_wait_xcnt 0x0
	v_mov_b32_e32 v1, v31
	s_wait_loadcnt 0x0
	v_readfirstlane_b32 s10, v0
	global_wb scope:SCOPE_SYS
	s_wait_storecnt 0x0
	global_store_b64 v[2:3], v[0:1], off scope:SCOPE_SYS
	s_and_b32 m0, s10, 0xffffff
	s_sendmsg sendmsg(MSG_INTERRUPT)
.LBB1_103:                              ;   in Loop: Header=BB1_31 Depth=1
	s_wait_xcnt 0x0
	s_or_b32 exec_lo, exec_lo, s1
	v_add_nc_u64_e32 v[0:1], v[8:9], v[30:31]
	s_branch .LBB1_107
.LBB1_104:                              ;   in Loop: Header=BB1_107 Depth=2
	s_wait_xcnt 0x0
	s_or_b32 exec_lo, exec_lo, s1
	s_delay_alu instid0(VALU_DEP_1)
	v_readfirstlane_b32 s1, v2
	s_cmp_eq_u32 s1, 0
	s_cbranch_scc1 .LBB1_106
; %bb.105:                              ;   in Loop: Header=BB1_107 Depth=2
	s_sleep 1
	s_cbranch_execnz .LBB1_107
	s_branch .LBB1_109
.LBB1_106:                              ;   in Loop: Header=BB1_31 Depth=1
	s_branch .LBB1_109
.LBB1_107:                              ;   Parent Loop BB1_31 Depth=1
                                        ; =>  This Inner Loop Header: Depth=2
	v_mov_b32_e32 v2, 1
	s_and_saveexec_b32 s1, s0
	s_cbranch_execz .LBB1_104
; %bb.108:                              ;   in Loop: Header=BB1_107 Depth=2
	global_load_b32 v2, v[36:37], off offset:20 scope:SCOPE_SYS
	s_wait_loadcnt 0x0
	global_inv scope:SCOPE_SYS
	v_and_b32_e32 v2, 1, v2
	s_branch .LBB1_104
.LBB1_109:                              ;   in Loop: Header=BB1_31 Depth=1
	global_load_b64 v[0:1], v[0:1], off
	s_wait_xcnt 0x0
	s_and_saveexec_b32 s10, s0
	s_cbranch_execz .LBB1_30
; %bb.110:                              ;   in Loop: Header=BB1_31 Depth=1
	s_clause 0x2
	global_load_b64 v[2:3], v31, s[2:3] offset:40
	global_load_b64 v[16:17], v31, s[2:3] offset:24 scope:SCOPE_SYS
	global_load_b64 v[8:9], v31, s[2:3]
	s_wait_loadcnt 0x2
	v_readfirstlane_b32 s12, v2
	v_readfirstlane_b32 s13, v3
	s_add_nc_u64 s[0:1], s[12:13], 1
	s_delay_alu instid0(SALU_CYCLE_1) | instskip(NEXT) | instid1(SALU_CYCLE_1)
	s_add_nc_u64 s[4:5], s[0:1], s[4:5]
	s_cmp_eq_u64 s[4:5], 0
	s_cselect_b32 s1, s1, s5
	s_cselect_b32 s0, s0, s4
	s_delay_alu instid0(SALU_CYCLE_1) | instskip(SKIP_1) | instid1(SALU_CYCLE_1)
	v_dual_mov_b32 v15, s1 :: v_dual_mov_b32 v14, s0
	s_and_b64 s[4:5], s[0:1], s[12:13]
	s_mul_u64 s[4:5], s[4:5], 24
	s_wait_loadcnt 0x0
	v_add_nc_u64_e32 v[2:3], s[4:5], v[8:9]
	global_store_b64 v[2:3], v[16:17], off
	global_wb scope:SCOPE_SYS
	s_wait_storecnt 0x0
	s_wait_xcnt 0x0
	global_atomic_cmpswap_b64 v[14:15], v31, v[14:17], s[2:3] offset:24 th:TH_ATOMIC_RETURN scope:SCOPE_SYS
	s_wait_loadcnt 0x0
	v_cmp_ne_u64_e32 vcc_lo, v[14:15], v[16:17]
	s_and_b32 exec_lo, exec_lo, vcc_lo
	s_cbranch_execz .LBB1_30
; %bb.111:                              ;   in Loop: Header=BB1_31 Depth=1
	s_mov_b32 s4, 0
.LBB1_112:                              ;   Parent Loop BB1_31 Depth=1
                                        ; =>  This Inner Loop Header: Depth=2
	v_dual_mov_b32 v12, s0 :: v_dual_mov_b32 v13, s1
	s_sleep 1
	global_store_b64 v[2:3], v[14:15], off
	global_wb scope:SCOPE_SYS
	s_wait_storecnt 0x0
	s_wait_xcnt 0x0
	global_atomic_cmpswap_b64 v[8:9], v31, v[12:15], s[2:3] offset:24 th:TH_ATOMIC_RETURN scope:SCOPE_SYS
	s_wait_loadcnt 0x0
	v_cmp_eq_u64_e32 vcc_lo, v[8:9], v[14:15]
	v_mov_b64_e32 v[14:15], v[8:9]
	s_or_b32 s4, vcc_lo, s4
	s_delay_alu instid0(SALU_CYCLE_1)
	s_and_not1_b32 exec_lo, exec_lo, s4
	s_cbranch_execnz .LBB1_112
	s_branch .LBB1_30
.LBB1_113:
                                        ; implicit-def: $vgpr0_vgpr1
	s_cbranch_execnz .LBB1_193
.LBB1_114:
	s_get_pc_i64 s[4:5]
	s_add_nc_u64 s[4:5], s[4:5], .str.4@rel64+4
	s_delay_alu instid0(SALU_CYCLE_1)
	s_cmp_lg_u64 s[4:5], 0
	s_cbranch_scc0 .LBB1_221
.LBB1_115:
	v_mov_b64_e32 v[12:13], 0x100000002
	s_get_pc_i64 s[0:1]
	s_add_nc_u64 s[0:1], s[0:1], .str.4@rel64+80
	s_wait_loadcnt 0x0
	v_dual_mov_b32 v11, 0 :: v_dual_bitop2_b32 v2, 2, v0 bitop3:0x40
	v_dual_mov_b32 v7, v1 :: v_dual_bitop2_b32 v6, -3, v0 bitop3:0x40
	s_sub_co_i32 s6, s0, s4
	s_delay_alu instid0(SALU_CYCLE_1)
	s_ashr_i32 s7, s6, 31
	s_branch .LBB1_117
.LBB1_116:                              ;   in Loop: Header=BB1_117 Depth=1
	s_or_b32 exec_lo, exec_lo, s14
	s_sub_nc_u64 s[6:7], s[6:7], s[10:11]
	s_add_nc_u64 s[4:5], s[4:5], s[10:11]
	s_cmp_lg_u64 s[6:7], 0
	s_cbranch_scc0 .LBB1_215
.LBB1_117:                              ; =>This Loop Header: Depth=1
                                        ;     Child Loop BB1_120 Depth 2
                                        ;     Child Loop BB1_127 Depth 2
	;; [unrolled: 1-line block ×11, first 2 shown]
	v_min_u64 v[8:9], s[6:7], 56
	v_cmp_gt_u64_e64 s0, s[6:7], 7
	s_and_b32 vcc_lo, exec_lo, s0
	v_readfirstlane_b32 s10, v8
	v_readfirstlane_b32 s11, v9
	s_cbranch_vccnz .LBB1_122
; %bb.118:                              ;   in Loop: Header=BB1_117 Depth=1
	v_mov_b64_e32 v[8:9], 0
	s_cmp_eq_u64 s[6:7], 0
	s_cbranch_scc1 .LBB1_121
; %bb.119:                              ;   in Loop: Header=BB1_117 Depth=1
	s_mov_b64 s[0:1], 0
	s_mov_b64 s[12:13], 0
.LBB1_120:                              ;   Parent Loop BB1_117 Depth=1
                                        ; =>  This Inner Loop Header: Depth=2
	s_wait_xcnt 0x0
	s_add_nc_u64 s[14:15], s[4:5], s[12:13]
	s_add_nc_u64 s[12:13], s[12:13], 1
	global_load_u8 v3, v11, s[14:15]
	s_cmp_lg_u32 s10, s12
	s_wait_loadcnt 0x0
	v_and_b32_e32 v10, 0xffff, v3
	s_delay_alu instid0(VALU_DEP_1) | instskip(SKIP_1) | instid1(VALU_DEP_1)
	v_lshlrev_b64_e32 v[14:15], s0, v[10:11]
	s_add_nc_u64 s[0:1], s[0:1], 8
	v_or_b32_e32 v8, v14, v8
	s_delay_alu instid0(VALU_DEP_2)
	v_or_b32_e32 v9, v15, v9
	s_cbranch_scc1 .LBB1_120
.LBB1_121:                              ;   in Loop: Header=BB1_117 Depth=1
	s_mov_b64 s[12:13], s[4:5]
	s_mov_b32 s16, 0
	s_cbranch_execz .LBB1_123
	s_branch .LBB1_124
.LBB1_122:                              ;   in Loop: Header=BB1_117 Depth=1
	s_add_nc_u64 s[12:13], s[4:5], 8
	s_mov_b32 s16, 0
.LBB1_123:                              ;   in Loop: Header=BB1_117 Depth=1
	global_load_b64 v[8:9], v11, s[4:5]
	s_add_co_i32 s16, s10, -8
.LBB1_124:                              ;   in Loop: Header=BB1_117 Depth=1
	s_delay_alu instid0(SALU_CYCLE_1)
	s_cmp_gt_u32 s16, 7
	s_cbranch_scc1 .LBB1_129
; %bb.125:                              ;   in Loop: Header=BB1_117 Depth=1
	v_mov_b64_e32 v[14:15], 0
	s_cmp_eq_u32 s16, 0
	s_cbranch_scc1 .LBB1_128
; %bb.126:                              ;   in Loop: Header=BB1_117 Depth=1
	s_mov_b64 s[0:1], 0
	s_wait_xcnt 0x0
	s_mov_b64 s[14:15], 0
.LBB1_127:                              ;   Parent Loop BB1_117 Depth=1
                                        ; =>  This Inner Loop Header: Depth=2
	s_wait_xcnt 0x0
	s_add_nc_u64 s[18:19], s[12:13], s[14:15]
	s_add_nc_u64 s[14:15], s[14:15], 1
	global_load_u8 v3, v11, s[18:19]
	s_cmp_lg_u32 s16, s14
	s_wait_loadcnt 0x0
	v_and_b32_e32 v10, 0xffff, v3
	s_delay_alu instid0(VALU_DEP_1) | instskip(SKIP_1) | instid1(VALU_DEP_1)
	v_lshlrev_b64_e32 v[16:17], s0, v[10:11]
	s_add_nc_u64 s[0:1], s[0:1], 8
	v_or_b32_e32 v14, v16, v14
	s_delay_alu instid0(VALU_DEP_2)
	v_or_b32_e32 v15, v17, v15
	s_cbranch_scc1 .LBB1_127
.LBB1_128:                              ;   in Loop: Header=BB1_117 Depth=1
	s_wait_xcnt 0x0
	s_mov_b64 s[0:1], s[12:13]
	s_mov_b32 s17, 0
	s_cbranch_execz .LBB1_130
	s_branch .LBB1_131
.LBB1_129:                              ;   in Loop: Header=BB1_117 Depth=1
	s_add_nc_u64 s[0:1], s[12:13], 8
	s_wait_xcnt 0x0
                                        ; implicit-def: $vgpr14_vgpr15
	s_mov_b32 s17, 0
.LBB1_130:                              ;   in Loop: Header=BB1_117 Depth=1
	global_load_b64 v[14:15], v11, s[12:13]
	s_add_co_i32 s17, s16, -8
.LBB1_131:                              ;   in Loop: Header=BB1_117 Depth=1
	s_delay_alu instid0(SALU_CYCLE_1)
	s_cmp_gt_u32 s17, 7
	s_cbranch_scc1 .LBB1_136
; %bb.132:                              ;   in Loop: Header=BB1_117 Depth=1
	v_mov_b64_e32 v[16:17], 0
	s_cmp_eq_u32 s17, 0
	s_cbranch_scc1 .LBB1_135
; %bb.133:                              ;   in Loop: Header=BB1_117 Depth=1
	s_wait_xcnt 0x0
	s_mov_b64 s[12:13], 0
	s_mov_b64 s[14:15], 0
.LBB1_134:                              ;   Parent Loop BB1_117 Depth=1
                                        ; =>  This Inner Loop Header: Depth=2
	s_wait_xcnt 0x0
	s_add_nc_u64 s[18:19], s[0:1], s[14:15]
	s_add_nc_u64 s[14:15], s[14:15], 1
	global_load_u8 v3, v11, s[18:19]
	s_cmp_lg_u32 s17, s14
	s_wait_loadcnt 0x0
	v_and_b32_e32 v10, 0xffff, v3
	s_delay_alu instid0(VALU_DEP_1) | instskip(SKIP_1) | instid1(VALU_DEP_1)
	v_lshlrev_b64_e32 v[18:19], s12, v[10:11]
	s_add_nc_u64 s[12:13], s[12:13], 8
	v_or_b32_e32 v16, v18, v16
	s_delay_alu instid0(VALU_DEP_2)
	v_or_b32_e32 v17, v19, v17
	s_cbranch_scc1 .LBB1_134
.LBB1_135:                              ;   in Loop: Header=BB1_117 Depth=1
	s_wait_xcnt 0x0
	s_mov_b64 s[12:13], s[0:1]
	s_mov_b32 s16, 0
	s_cbranch_execz .LBB1_137
	s_branch .LBB1_138
.LBB1_136:                              ;   in Loop: Header=BB1_117 Depth=1
	s_wait_xcnt 0x0
	s_add_nc_u64 s[12:13], s[0:1], 8
	s_mov_b32 s16, 0
.LBB1_137:                              ;   in Loop: Header=BB1_117 Depth=1
	global_load_b64 v[16:17], v11, s[0:1]
	s_add_co_i32 s16, s17, -8
.LBB1_138:                              ;   in Loop: Header=BB1_117 Depth=1
	s_delay_alu instid0(SALU_CYCLE_1)
	s_cmp_gt_u32 s16, 7
	s_cbranch_scc1 .LBB1_143
; %bb.139:                              ;   in Loop: Header=BB1_117 Depth=1
	v_mov_b64_e32 v[18:19], 0
	s_cmp_eq_u32 s16, 0
	s_cbranch_scc1 .LBB1_142
; %bb.140:                              ;   in Loop: Header=BB1_117 Depth=1
	s_wait_xcnt 0x0
	s_mov_b64 s[0:1], 0
	s_mov_b64 s[14:15], 0
.LBB1_141:                              ;   Parent Loop BB1_117 Depth=1
                                        ; =>  This Inner Loop Header: Depth=2
	s_wait_xcnt 0x0
	s_add_nc_u64 s[18:19], s[12:13], s[14:15]
	s_add_nc_u64 s[14:15], s[14:15], 1
	global_load_u8 v3, v11, s[18:19]
	s_cmp_lg_u32 s16, s14
	s_wait_loadcnt 0x0
	v_and_b32_e32 v10, 0xffff, v3
	s_delay_alu instid0(VALU_DEP_1) | instskip(SKIP_1) | instid1(VALU_DEP_1)
	v_lshlrev_b64_e32 v[20:21], s0, v[10:11]
	s_add_nc_u64 s[0:1], s[0:1], 8
	v_or_b32_e32 v18, v20, v18
	s_delay_alu instid0(VALU_DEP_2)
	v_or_b32_e32 v19, v21, v19
	s_cbranch_scc1 .LBB1_141
.LBB1_142:                              ;   in Loop: Header=BB1_117 Depth=1
	s_wait_xcnt 0x0
	s_mov_b64 s[0:1], s[12:13]
	s_mov_b32 s17, 0
	s_cbranch_execz .LBB1_144
	s_branch .LBB1_145
.LBB1_143:                              ;   in Loop: Header=BB1_117 Depth=1
	s_wait_xcnt 0x0
	s_add_nc_u64 s[0:1], s[12:13], 8
                                        ; implicit-def: $vgpr18_vgpr19
	s_mov_b32 s17, 0
.LBB1_144:                              ;   in Loop: Header=BB1_117 Depth=1
	global_load_b64 v[18:19], v11, s[12:13]
	s_add_co_i32 s17, s16, -8
.LBB1_145:                              ;   in Loop: Header=BB1_117 Depth=1
	s_delay_alu instid0(SALU_CYCLE_1)
	s_cmp_gt_u32 s17, 7
	s_cbranch_scc1 .LBB1_150
; %bb.146:                              ;   in Loop: Header=BB1_117 Depth=1
	v_mov_b64_e32 v[20:21], 0
	s_cmp_eq_u32 s17, 0
	s_cbranch_scc1 .LBB1_149
; %bb.147:                              ;   in Loop: Header=BB1_117 Depth=1
	s_wait_xcnt 0x0
	s_mov_b64 s[12:13], 0
	s_mov_b64 s[14:15], 0
.LBB1_148:                              ;   Parent Loop BB1_117 Depth=1
                                        ; =>  This Inner Loop Header: Depth=2
	s_wait_xcnt 0x0
	s_add_nc_u64 s[18:19], s[0:1], s[14:15]
	s_add_nc_u64 s[14:15], s[14:15], 1
	global_load_u8 v3, v11, s[18:19]
	s_cmp_lg_u32 s17, s14
	s_wait_loadcnt 0x0
	v_and_b32_e32 v10, 0xffff, v3
	s_delay_alu instid0(VALU_DEP_1) | instskip(SKIP_1) | instid1(VALU_DEP_1)
	v_lshlrev_b64_e32 v[22:23], s12, v[10:11]
	s_add_nc_u64 s[12:13], s[12:13], 8
	v_or_b32_e32 v20, v22, v20
	s_delay_alu instid0(VALU_DEP_2)
	v_or_b32_e32 v21, v23, v21
	s_cbranch_scc1 .LBB1_148
.LBB1_149:                              ;   in Loop: Header=BB1_117 Depth=1
	s_wait_xcnt 0x0
	s_mov_b64 s[12:13], s[0:1]
	s_mov_b32 s16, 0
	s_cbranch_execz .LBB1_151
	s_branch .LBB1_152
.LBB1_150:                              ;   in Loop: Header=BB1_117 Depth=1
	s_wait_xcnt 0x0
	s_add_nc_u64 s[12:13], s[0:1], 8
	s_mov_b32 s16, 0
.LBB1_151:                              ;   in Loop: Header=BB1_117 Depth=1
	global_load_b64 v[20:21], v11, s[0:1]
	s_add_co_i32 s16, s17, -8
.LBB1_152:                              ;   in Loop: Header=BB1_117 Depth=1
	s_delay_alu instid0(SALU_CYCLE_1)
	s_cmp_gt_u32 s16, 7
	s_cbranch_scc1 .LBB1_157
; %bb.153:                              ;   in Loop: Header=BB1_117 Depth=1
	v_mov_b64_e32 v[22:23], 0
	s_cmp_eq_u32 s16, 0
	s_cbranch_scc1 .LBB1_156
; %bb.154:                              ;   in Loop: Header=BB1_117 Depth=1
	s_wait_xcnt 0x0
	s_mov_b64 s[0:1], 0
	s_mov_b64 s[14:15], 0
.LBB1_155:                              ;   Parent Loop BB1_117 Depth=1
                                        ; =>  This Inner Loop Header: Depth=2
	s_wait_xcnt 0x0
	s_add_nc_u64 s[18:19], s[12:13], s[14:15]
	s_add_nc_u64 s[14:15], s[14:15], 1
	global_load_u8 v3, v11, s[18:19]
	s_cmp_lg_u32 s16, s14
	s_wait_loadcnt 0x0
	v_and_b32_e32 v10, 0xffff, v3
	s_delay_alu instid0(VALU_DEP_1) | instskip(SKIP_1) | instid1(VALU_DEP_1)
	v_lshlrev_b64_e32 v[24:25], s0, v[10:11]
	s_add_nc_u64 s[0:1], s[0:1], 8
	v_or_b32_e32 v22, v24, v22
	s_delay_alu instid0(VALU_DEP_2)
	v_or_b32_e32 v23, v25, v23
	s_cbranch_scc1 .LBB1_155
.LBB1_156:                              ;   in Loop: Header=BB1_117 Depth=1
	s_wait_xcnt 0x0
	s_mov_b64 s[0:1], s[12:13]
	s_mov_b32 s17, 0
	s_cbranch_execz .LBB1_158
	s_branch .LBB1_159
.LBB1_157:                              ;   in Loop: Header=BB1_117 Depth=1
	s_wait_xcnt 0x0
	s_add_nc_u64 s[0:1], s[12:13], 8
                                        ; implicit-def: $vgpr22_vgpr23
	s_mov_b32 s17, 0
.LBB1_158:                              ;   in Loop: Header=BB1_117 Depth=1
	global_load_b64 v[22:23], v11, s[12:13]
	s_add_co_i32 s17, s16, -8
.LBB1_159:                              ;   in Loop: Header=BB1_117 Depth=1
	s_delay_alu instid0(SALU_CYCLE_1)
	s_cmp_gt_u32 s17, 7
	s_cbranch_scc1 .LBB1_164
; %bb.160:                              ;   in Loop: Header=BB1_117 Depth=1
	v_mov_b64_e32 v[24:25], 0
	s_cmp_eq_u32 s17, 0
	s_cbranch_scc1 .LBB1_163
; %bb.161:                              ;   in Loop: Header=BB1_117 Depth=1
	s_wait_xcnt 0x0
	s_mov_b64 s[12:13], 0
	s_mov_b64 s[14:15], s[0:1]
.LBB1_162:                              ;   Parent Loop BB1_117 Depth=1
                                        ; =>  This Inner Loop Header: Depth=2
	global_load_u8 v3, v11, s[14:15]
	s_add_co_i32 s17, s17, -1
	s_wait_xcnt 0x0
	s_add_nc_u64 s[14:15], s[14:15], 1
	s_cmp_lg_u32 s17, 0
	s_wait_loadcnt 0x0
	v_and_b32_e32 v10, 0xffff, v3
	s_delay_alu instid0(VALU_DEP_1) | instskip(SKIP_1) | instid1(VALU_DEP_1)
	v_lshlrev_b64_e32 v[26:27], s12, v[10:11]
	s_add_nc_u64 s[12:13], s[12:13], 8
	v_or_b32_e32 v24, v26, v24
	s_delay_alu instid0(VALU_DEP_2)
	v_or_b32_e32 v25, v27, v25
	s_cbranch_scc1 .LBB1_162
.LBB1_163:                              ;   in Loop: Header=BB1_117 Depth=1
	s_wait_xcnt 0x0
	s_cbranch_execz .LBB1_165
	s_branch .LBB1_166
.LBB1_164:                              ;   in Loop: Header=BB1_117 Depth=1
	s_wait_xcnt 0x0
.LBB1_165:                              ;   in Loop: Header=BB1_117 Depth=1
	global_load_b64 v[24:25], v11, s[0:1]
.LBB1_166:                              ;   in Loop: Header=BB1_117 Depth=1
	s_wait_xcnt 0x0
	v_readfirstlane_b32 s0, v48
	v_mov_b64_e32 v[32:33], 0
	s_delay_alu instid0(VALU_DEP_2)
	v_cmp_eq_u32_e64 s0, s0, v48
	s_and_saveexec_b32 s1, s0
	s_cbranch_execz .LBB1_172
; %bb.167:                              ;   in Loop: Header=BB1_117 Depth=1
	global_load_b64 v[28:29], v11, s[2:3] offset:24 scope:SCOPE_SYS
	s_wait_loadcnt 0x0
	global_inv scope:SCOPE_SYS
	s_clause 0x1
	global_load_b64 v[26:27], v11, s[2:3] offset:40
	global_load_b64 v[32:33], v11, s[2:3]
	s_mov_b32 s12, exec_lo
	s_wait_loadcnt 0x1
	v_and_b32_e32 v26, v26, v28
	v_and_b32_e32 v27, v27, v29
	s_delay_alu instid0(VALU_DEP_1) | instskip(SKIP_1) | instid1(VALU_DEP_1)
	v_mul_u64_e32 v[26:27], 24, v[26:27]
	s_wait_loadcnt 0x0
	v_add_nc_u64_e32 v[26:27], v[32:33], v[26:27]
	global_load_b64 v[26:27], v[26:27], off scope:SCOPE_SYS
	s_wait_xcnt 0x0
	s_wait_loadcnt 0x0
	global_atomic_cmpswap_b64 v[32:33], v11, v[26:29], s[2:3] offset:24 th:TH_ATOMIC_RETURN scope:SCOPE_SYS
	s_wait_loadcnt 0x0
	global_inv scope:SCOPE_SYS
	s_wait_xcnt 0x0
	v_cmpx_ne_u64_e64 v[32:33], v[28:29]
	s_cbranch_execz .LBB1_171
; %bb.168:                              ;   in Loop: Header=BB1_117 Depth=1
	s_mov_b32 s13, 0
.LBB1_169:                              ;   Parent Loop BB1_117 Depth=1
                                        ; =>  This Inner Loop Header: Depth=2
	s_sleep 1
	s_clause 0x1
	global_load_b64 v[26:27], v11, s[2:3] offset:40
	global_load_b64 v[34:35], v11, s[2:3]
	v_mov_b64_e32 v[28:29], v[32:33]
	s_wait_loadcnt 0x1
	s_delay_alu instid0(VALU_DEP_1) | instskip(SKIP_1) | instid1(VALU_DEP_1)
	v_and_b32_e32 v3, v26, v28
	s_wait_loadcnt 0x0
	v_mad_nc_u64_u32 v[32:33], v3, 24, v[34:35]
	s_delay_alu instid0(VALU_DEP_3) | instskip(NEXT) | instid1(VALU_DEP_1)
	v_and_b32_e32 v3, v27, v29
	v_mad_u32 v33, v3, 24, v33
	global_load_b64 v[26:27], v[32:33], off scope:SCOPE_SYS
	s_wait_xcnt 0x0
	s_wait_loadcnt 0x0
	global_atomic_cmpswap_b64 v[32:33], v11, v[26:29], s[2:3] offset:24 th:TH_ATOMIC_RETURN scope:SCOPE_SYS
	s_wait_loadcnt 0x0
	global_inv scope:SCOPE_SYS
	v_cmp_eq_u64_e32 vcc_lo, v[32:33], v[28:29]
	s_or_b32 s13, vcc_lo, s13
	s_wait_xcnt 0x0
	s_and_not1_b32 exec_lo, exec_lo, s13
	s_cbranch_execnz .LBB1_169
; %bb.170:                              ;   in Loop: Header=BB1_117 Depth=1
	s_or_b32 exec_lo, exec_lo, s13
.LBB1_171:                              ;   in Loop: Header=BB1_117 Depth=1
	s_delay_alu instid0(SALU_CYCLE_1)
	s_or_b32 exec_lo, exec_lo, s12
.LBB1_172:                              ;   in Loop: Header=BB1_117 Depth=1
	s_delay_alu instid0(SALU_CYCLE_1)
	s_or_b32 exec_lo, exec_lo, s1
	s_clause 0x1
	global_load_b64 v[34:35], v11, s[2:3] offset:40
	global_load_b128 v[26:29], v11, s[2:3]
	v_readfirstlane_b32 s12, v32
	v_readfirstlane_b32 s13, v33
	s_mov_b32 s1, exec_lo
	s_wait_loadcnt 0x1
	v_and_b32_e32 v34, s12, v34
	v_and_b32_e32 v35, s13, v35
	s_delay_alu instid0(VALU_DEP_1) | instskip(SKIP_1) | instid1(VALU_DEP_1)
	v_mul_u64_e32 v[32:33], 24, v[34:35]
	s_wait_loadcnt 0x0
	v_add_nc_u64_e32 v[32:33], v[26:27], v[32:33]
	s_wait_xcnt 0x0
	s_and_saveexec_b32 s14, s0
	s_cbranch_execz .LBB1_174
; %bb.173:                              ;   in Loop: Header=BB1_117 Depth=1
	v_mov_b32_e32 v10, s1
	global_store_b128 v[32:33], v[10:13], off offset:8
.LBB1_174:                              ;   in Loop: Header=BB1_117 Depth=1
	s_wait_xcnt 0x0
	s_or_b32 exec_lo, exec_lo, s14
	v_cmp_lt_u64_e64 vcc_lo, s[6:7], 57
	v_lshlrev_b64_e32 v[34:35], 12, v[34:35]
	v_and_b32_e32 v6, 0xffffff1f, v6
	s_lshl_b32 s1, s10, 2
	s_delay_alu instid0(SALU_CYCLE_1) | instskip(SKIP_1) | instid1(VALU_DEP_3)
	s_add_co_i32 s1, s1, 28
	v_cndmask_b32_e32 v3, 0, v2, vcc_lo
	v_add_nc_u64_e32 v[28:29], v[28:29], v[34:35]
	s_delay_alu instid0(VALU_DEP_2) | instskip(NEXT) | instid1(VALU_DEP_2)
	v_or_b32_e32 v3, v6, v3
	v_readfirstlane_b32 s14, v28
	s_delay_alu instid0(VALU_DEP_3) | instskip(NEXT) | instid1(VALU_DEP_3)
	v_readfirstlane_b32 s15, v29
	v_and_or_b32 v6, 0x1e0, s1, v3
	s_clause 0x3
	global_store_b128 v30, v[6:9], s[14:15]
	global_store_b128 v30, v[14:17], s[14:15] offset:16
	global_store_b128 v30, v[18:21], s[14:15] offset:32
	;; [unrolled: 1-line block ×3, first 2 shown]
	s_wait_xcnt 0x0
	s_and_saveexec_b32 s1, s0
	s_cbranch_execz .LBB1_182
; %bb.175:                              ;   in Loop: Header=BB1_117 Depth=1
	s_clause 0x1
	global_load_b64 v[18:19], v11, s[2:3] offset:32 scope:SCOPE_SYS
	global_load_b64 v[6:7], v11, s[2:3] offset:40
	s_mov_b32 s14, exec_lo
	v_dual_mov_b32 v16, s12 :: v_dual_mov_b32 v17, s13
	s_wait_loadcnt 0x0
	v_and_b32_e32 v7, s13, v7
	v_and_b32_e32 v6, s12, v6
	s_delay_alu instid0(VALU_DEP_1) | instskip(NEXT) | instid1(VALU_DEP_1)
	v_mul_u64_e32 v[6:7], 24, v[6:7]
	v_add_nc_u64_e32 v[14:15], v[26:27], v[6:7]
	global_store_b64 v[14:15], v[18:19], off
	global_wb scope:SCOPE_SYS
	s_wait_storecnt 0x0
	s_wait_xcnt 0x0
	global_atomic_cmpswap_b64 v[8:9], v11, v[16:19], s[2:3] offset:32 th:TH_ATOMIC_RETURN scope:SCOPE_SYS
	s_wait_loadcnt 0x0
	v_cmpx_ne_u64_e64 v[8:9], v[18:19]
	s_cbranch_execz .LBB1_178
; %bb.176:                              ;   in Loop: Header=BB1_117 Depth=1
	s_mov_b32 s15, 0
.LBB1_177:                              ;   Parent Loop BB1_117 Depth=1
                                        ; =>  This Inner Loop Header: Depth=2
	v_dual_mov_b32 v6, s12 :: v_dual_mov_b32 v7, s13
	s_sleep 1
	global_store_b64 v[14:15], v[8:9], off
	global_wb scope:SCOPE_SYS
	s_wait_storecnt 0x0
	s_wait_xcnt 0x0
	global_atomic_cmpswap_b64 v[6:7], v11, v[6:9], s[2:3] offset:32 th:TH_ATOMIC_RETURN scope:SCOPE_SYS
	s_wait_loadcnt 0x0
	v_cmp_eq_u64_e32 vcc_lo, v[6:7], v[8:9]
	v_mov_b64_e32 v[8:9], v[6:7]
	s_or_b32 s15, vcc_lo, s15
	s_delay_alu instid0(SALU_CYCLE_1)
	s_and_not1_b32 exec_lo, exec_lo, s15
	s_cbranch_execnz .LBB1_177
.LBB1_178:                              ;   in Loop: Header=BB1_117 Depth=1
	s_or_b32 exec_lo, exec_lo, s14
	global_load_b64 v[6:7], v11, s[2:3] offset:16
	s_mov_b32 s15, exec_lo
	s_mov_b32 s14, exec_lo
	v_mbcnt_lo_u32_b32 v3, s15, 0
	s_wait_xcnt 0x0
	s_delay_alu instid0(VALU_DEP_1)
	v_cmpx_eq_u32_e32 0, v3
	s_cbranch_execz .LBB1_180
; %bb.179:                              ;   in Loop: Header=BB1_117 Depth=1
	s_bcnt1_i32_b32 s15, s15
	s_delay_alu instid0(SALU_CYCLE_1)
	v_mov_b32_e32 v10, s15
	global_wb scope:SCOPE_SYS
	s_wait_loadcnt 0x0
	s_wait_storecnt 0x0
	global_atomic_add_u64 v[6:7], v[10:11], off offset:8 scope:SCOPE_SYS
.LBB1_180:                              ;   in Loop: Header=BB1_117 Depth=1
	s_wait_xcnt 0x0
	s_or_b32 exec_lo, exec_lo, s14
	s_wait_loadcnt 0x0
	global_load_b64 v[8:9], v[6:7], off offset:16
	s_wait_loadcnt 0x0
	v_cmp_eq_u64_e32 vcc_lo, 0, v[8:9]
	s_cbranch_vccnz .LBB1_182
; %bb.181:                              ;   in Loop: Header=BB1_117 Depth=1
	global_load_b32 v10, v[6:7], off offset:24
	s_wait_loadcnt 0x0
	v_readfirstlane_b32 s14, v10
	global_wb scope:SCOPE_SYS
	s_wait_storecnt 0x0
	s_wait_xcnt 0x0
	global_store_b64 v[8:9], v[10:11], off scope:SCOPE_SYS
	s_and_b32 m0, s14, 0xffffff
	s_sendmsg sendmsg(MSG_INTERRUPT)
.LBB1_182:                              ;   in Loop: Header=BB1_117 Depth=1
	s_wait_xcnt 0x0
	s_or_b32 exec_lo, exec_lo, s1
	v_mov_b32_e32 v31, v11
	s_delay_alu instid0(VALU_DEP_1)
	v_add_nc_u64_e32 v[6:7], v[28:29], v[30:31]
	s_branch .LBB1_186
.LBB1_183:                              ;   in Loop: Header=BB1_186 Depth=2
	s_wait_xcnt 0x0
	s_or_b32 exec_lo, exec_lo, s1
	s_delay_alu instid0(VALU_DEP_1)
	v_readfirstlane_b32 s1, v3
	s_cmp_eq_u32 s1, 0
	s_cbranch_scc1 .LBB1_185
; %bb.184:                              ;   in Loop: Header=BB1_186 Depth=2
	s_sleep 1
	s_cbranch_execnz .LBB1_186
	s_branch .LBB1_188
.LBB1_185:                              ;   in Loop: Header=BB1_117 Depth=1
	s_branch .LBB1_188
.LBB1_186:                              ;   Parent Loop BB1_117 Depth=1
                                        ; =>  This Inner Loop Header: Depth=2
	v_mov_b32_e32 v3, 1
	s_and_saveexec_b32 s1, s0
	s_cbranch_execz .LBB1_183
; %bb.187:                              ;   in Loop: Header=BB1_186 Depth=2
	global_load_b32 v3, v[32:33], off offset:20 scope:SCOPE_SYS
	s_wait_loadcnt 0x0
	global_inv scope:SCOPE_SYS
	v_and_b32_e32 v3, 1, v3
	s_branch .LBB1_183
.LBB1_188:                              ;   in Loop: Header=BB1_117 Depth=1
	global_load_b64 v[6:7], v[6:7], off
	s_wait_xcnt 0x0
	s_and_saveexec_b32 s14, s0
	s_cbranch_execz .LBB1_116
; %bb.189:                              ;   in Loop: Header=BB1_117 Depth=1
	s_clause 0x2
	global_load_b64 v[8:9], v11, s[2:3] offset:40
	global_load_b64 v[18:19], v11, s[2:3] offset:24 scope:SCOPE_SYS
	global_load_b64 v[14:15], v11, s[2:3]
	s_wait_loadcnt 0x2
	v_readfirstlane_b32 s16, v8
	v_readfirstlane_b32 s17, v9
	s_add_nc_u64 s[0:1], s[16:17], 1
	s_delay_alu instid0(SALU_CYCLE_1) | instskip(NEXT) | instid1(SALU_CYCLE_1)
	s_add_nc_u64 s[12:13], s[0:1], s[12:13]
	s_cmp_eq_u64 s[12:13], 0
	s_cselect_b32 s1, s1, s13
	s_cselect_b32 s0, s0, s12
	s_delay_alu instid0(SALU_CYCLE_1) | instskip(SKIP_1) | instid1(SALU_CYCLE_1)
	v_dual_mov_b32 v17, s1 :: v_dual_mov_b32 v16, s0
	s_and_b64 s[12:13], s[0:1], s[16:17]
	s_mul_u64 s[12:13], s[12:13], 24
	s_wait_loadcnt 0x0
	v_add_nc_u64_e32 v[8:9], s[12:13], v[14:15]
	global_store_b64 v[8:9], v[18:19], off
	global_wb scope:SCOPE_SYS
	s_wait_storecnt 0x0
	s_wait_xcnt 0x0
	global_atomic_cmpswap_b64 v[16:17], v11, v[16:19], s[2:3] offset:24 th:TH_ATOMIC_RETURN scope:SCOPE_SYS
	s_wait_loadcnt 0x0
	v_cmp_ne_u64_e32 vcc_lo, v[16:17], v[18:19]
	s_and_b32 exec_lo, exec_lo, vcc_lo
	s_cbranch_execz .LBB1_116
; %bb.190:                              ;   in Loop: Header=BB1_117 Depth=1
	s_mov_b32 s12, 0
.LBB1_191:                              ;   Parent Loop BB1_117 Depth=1
                                        ; =>  This Inner Loop Header: Depth=2
	v_dual_mov_b32 v14, s0 :: v_dual_mov_b32 v15, s1
	s_sleep 1
	global_store_b64 v[8:9], v[16:17], off
	global_wb scope:SCOPE_SYS
	s_wait_storecnt 0x0
	s_wait_xcnt 0x0
	global_atomic_cmpswap_b64 v[14:15], v11, v[14:17], s[2:3] offset:24 th:TH_ATOMIC_RETURN scope:SCOPE_SYS
	s_wait_loadcnt 0x0
	v_cmp_eq_u64_e32 vcc_lo, v[14:15], v[16:17]
	v_mov_b64_e32 v[16:17], v[14:15]
	s_or_b32 s12, vcc_lo, s12
	s_delay_alu instid0(SALU_CYCLE_1)
	s_and_not1_b32 exec_lo, exec_lo, s12
	s_cbranch_execnz .LBB1_191
	s_branch .LBB1_116
.LBB1_192:
	s_or_b32 exec_lo, exec_lo, s6
	s_branch .LBB1_114
.LBB1_193:
	v_readfirstlane_b32 s0, v48
	v_mov_b64_e32 v[8:9], 0
	s_delay_alu instid0(VALU_DEP_2)
	v_cmp_eq_u32_e64 s0, s0, v48
	s_and_saveexec_b32 s1, s0
	s_cbranch_execz .LBB1_199
; %bb.194:
	s_wait_loadcnt 0x0
	v_mov_b32_e32 v0, 0
	s_mov_b32 s4, exec_lo
	global_load_b64 v[10:11], v0, s[2:3] offset:24 scope:SCOPE_SYS
	s_wait_loadcnt 0x0
	global_inv scope:SCOPE_SYS
	s_clause 0x1
	global_load_b64 v[2:3], v0, s[2:3] offset:40
	global_load_b64 v[8:9], v0, s[2:3]
	s_wait_loadcnt 0x1
	v_and_b32_e32 v2, v2, v10
	v_and_b32_e32 v3, v3, v11
	s_delay_alu instid0(VALU_DEP_1) | instskip(SKIP_1) | instid1(VALU_DEP_1)
	v_mul_u64_e32 v[2:3], 24, v[2:3]
	s_wait_loadcnt 0x0
	v_add_nc_u64_e32 v[2:3], v[8:9], v[2:3]
	global_load_b64 v[8:9], v[2:3], off scope:SCOPE_SYS
	s_wait_xcnt 0x0
	s_wait_loadcnt 0x0
	global_atomic_cmpswap_b64 v[8:9], v0, v[8:11], s[2:3] offset:24 th:TH_ATOMIC_RETURN scope:SCOPE_SYS
	s_wait_loadcnt 0x0
	global_inv scope:SCOPE_SYS
	s_wait_xcnt 0x0
	v_cmpx_ne_u64_e64 v[8:9], v[10:11]
	s_cbranch_execz .LBB1_198
; %bb.195:
	s_mov_b32 s5, 0
.LBB1_196:                              ; =>This Inner Loop Header: Depth=1
	s_sleep 1
	s_clause 0x1
	global_load_b64 v[2:3], v0, s[2:3] offset:40
	global_load_b64 v[12:13], v0, s[2:3]
	v_mov_b64_e32 v[10:11], v[8:9]
	s_wait_loadcnt 0x1
	s_delay_alu instid0(VALU_DEP_1) | instskip(SKIP_1) | instid1(VALU_DEP_1)
	v_and_b32_e32 v1, v2, v10
	s_wait_loadcnt 0x0
	v_mad_nc_u64_u32 v[8:9], v1, 24, v[12:13]
	s_delay_alu instid0(VALU_DEP_3) | instskip(NEXT) | instid1(VALU_DEP_1)
	v_and_b32_e32 v1, v3, v11
	v_mad_u32 v9, v1, 24, v9
	global_load_b64 v[8:9], v[8:9], off scope:SCOPE_SYS
	s_wait_xcnt 0x0
	s_wait_loadcnt 0x0
	global_atomic_cmpswap_b64 v[8:9], v0, v[8:11], s[2:3] offset:24 th:TH_ATOMIC_RETURN scope:SCOPE_SYS
	s_wait_loadcnt 0x0
	global_inv scope:SCOPE_SYS
	v_cmp_eq_u64_e32 vcc_lo, v[8:9], v[10:11]
	s_or_b32 s5, vcc_lo, s5
	s_wait_xcnt 0x0
	s_and_not1_b32 exec_lo, exec_lo, s5
	s_cbranch_execnz .LBB1_196
; %bb.197:
	s_or_b32 exec_lo, exec_lo, s5
.LBB1_198:
	s_delay_alu instid0(SALU_CYCLE_1)
	s_or_b32 exec_lo, exec_lo, s4
.LBB1_199:
	s_delay_alu instid0(SALU_CYCLE_1)
	s_or_b32 exec_lo, exec_lo, s1
	v_readfirstlane_b32 s4, v8
	v_mov_b32_e32 v31, 0
	v_readfirstlane_b32 s5, v9
	s_mov_b32 s1, exec_lo
	global_load_b64 v[10:11], v31, s[2:3] offset:40
	s_wait_loadcnt 0x1
	global_load_b128 v[0:3], v31, s[2:3]
	s_wait_loadcnt 0x1
	v_and_b32_e32 v8, s4, v10
	v_and_b32_e32 v9, s5, v11
	s_delay_alu instid0(VALU_DEP_1) | instskip(SKIP_1) | instid1(VALU_DEP_1)
	v_mul_u64_e32 v[10:11], 24, v[8:9]
	s_wait_loadcnt 0x0
	v_add_nc_u64_e32 v[10:11], v[0:1], v[10:11]
	s_wait_xcnt 0x0
	s_and_saveexec_b32 s6, s0
	s_cbranch_execz .LBB1_201
; %bb.200:
	v_mov_b64_e32 v[14:15], 0x100000002
	v_dual_mov_b32 v12, s1 :: v_dual_mov_b32 v13, v31
	global_store_b128 v[10:11], v[12:15], off offset:8
.LBB1_201:
	s_wait_xcnt 0x0
	s_or_b32 exec_lo, exec_lo, s6
	v_lshlrev_b64_e32 v[8:9], 12, v[8:9]
	s_mov_b32 s12, 0
	v_and_or_b32 v6, 0xffffff1f, v6, 32
	s_mov_b32 s14, s12
	s_mov_b32 s15, s12
	;; [unrolled: 1-line block ×3, first 2 shown]
	v_mov_b64_e32 v[16:17], s[14:15]
	v_add_nc_u64_e32 v[12:13], v[2:3], v[8:9]
	v_mov_b64_e32 v[14:15], s[12:13]
	v_dual_mov_b32 v8, v31 :: v_dual_mov_b32 v9, v31
	s_delay_alu instid0(VALU_DEP_3) | instskip(NEXT) | instid1(VALU_DEP_4)
	v_readfirstlane_b32 s6, v12
	v_readfirstlane_b32 s7, v13
	s_clause 0x3
	global_store_b128 v30, v[6:9], s[6:7]
	global_store_b128 v30, v[14:17], s[6:7] offset:16
	global_store_b128 v30, v[14:17], s[6:7] offset:32
	;; [unrolled: 1-line block ×3, first 2 shown]
	s_wait_xcnt 0x0
	s_and_saveexec_b32 s1, s0
	s_cbranch_execz .LBB1_209
; %bb.202:
	v_dual_mov_b32 v8, 0 :: v_dual_mov_b32 v15, s5
	s_mov_b32 s6, exec_lo
	s_clause 0x1
	global_load_b64 v[16:17], v8, s[2:3] offset:32 scope:SCOPE_SYS
	global_load_b64 v[2:3], v8, s[2:3] offset:40
	s_wait_loadcnt 0x0
	v_dual_mov_b32 v14, s4 :: v_dual_bitop2_b32 v3, s5, v3 bitop3:0x40
	v_and_b32_e32 v2, s4, v2
	s_delay_alu instid0(VALU_DEP_1) | instskip(NEXT) | instid1(VALU_DEP_1)
	v_mul_u64_e32 v[2:3], 24, v[2:3]
	v_add_nc_u64_e32 v[6:7], v[0:1], v[2:3]
	global_store_b64 v[6:7], v[16:17], off
	global_wb scope:SCOPE_SYS
	s_wait_storecnt 0x0
	s_wait_xcnt 0x0
	global_atomic_cmpswap_b64 v[2:3], v8, v[14:17], s[2:3] offset:32 th:TH_ATOMIC_RETURN scope:SCOPE_SYS
	s_wait_loadcnt 0x0
	v_cmpx_ne_u64_e64 v[2:3], v[16:17]
	s_cbranch_execz .LBB1_205
; %bb.203:
	s_mov_b32 s7, 0
.LBB1_204:                              ; =>This Inner Loop Header: Depth=1
	v_dual_mov_b32 v0, s4 :: v_dual_mov_b32 v1, s5
	s_sleep 1
	global_store_b64 v[6:7], v[2:3], off
	global_wb scope:SCOPE_SYS
	s_wait_storecnt 0x0
	s_wait_xcnt 0x0
	global_atomic_cmpswap_b64 v[0:1], v8, v[0:3], s[2:3] offset:32 th:TH_ATOMIC_RETURN scope:SCOPE_SYS
	s_wait_loadcnt 0x0
	v_cmp_eq_u64_e32 vcc_lo, v[0:1], v[2:3]
	v_mov_b64_e32 v[2:3], v[0:1]
	s_or_b32 s7, vcc_lo, s7
	s_delay_alu instid0(SALU_CYCLE_1)
	s_and_not1_b32 exec_lo, exec_lo, s7
	s_cbranch_execnz .LBB1_204
.LBB1_205:
	s_or_b32 exec_lo, exec_lo, s6
	v_mov_b32_e32 v3, 0
	s_mov_b32 s7, exec_lo
	s_mov_b32 s6, exec_lo
	v_mbcnt_lo_u32_b32 v2, s7, 0
	global_load_b64 v[0:1], v3, s[2:3] offset:16
	s_wait_xcnt 0x0
	v_cmpx_eq_u32_e32 0, v2
	s_cbranch_execz .LBB1_207
; %bb.206:
	s_bcnt1_i32_b32 s7, s7
	s_delay_alu instid0(SALU_CYCLE_1)
	v_mov_b32_e32 v2, s7
	global_wb scope:SCOPE_SYS
	s_wait_loadcnt 0x0
	s_wait_storecnt 0x0
	global_atomic_add_u64 v[0:1], v[2:3], off offset:8 scope:SCOPE_SYS
.LBB1_207:
	s_wait_xcnt 0x0
	s_or_b32 exec_lo, exec_lo, s6
	s_wait_loadcnt 0x0
	global_load_b64 v[2:3], v[0:1], off offset:16
	s_wait_loadcnt 0x0
	v_cmp_eq_u64_e32 vcc_lo, 0, v[2:3]
	s_cbranch_vccnz .LBB1_209
; %bb.208:
	global_load_b32 v0, v[0:1], off offset:24
	s_wait_xcnt 0x0
	v_mov_b32_e32 v1, 0
	s_wait_loadcnt 0x0
	v_readfirstlane_b32 s6, v0
	global_wb scope:SCOPE_SYS
	s_wait_storecnt 0x0
	global_store_b64 v[2:3], v[0:1], off scope:SCOPE_SYS
	s_and_b32 m0, s6, 0xffffff
	s_sendmsg sendmsg(MSG_INTERRUPT)
.LBB1_209:
	s_wait_xcnt 0x0
	s_or_b32 exec_lo, exec_lo, s1
	v_add_nc_u64_e32 v[0:1], v[12:13], v[30:31]
	s_branch .LBB1_213
.LBB1_210:                              ;   in Loop: Header=BB1_213 Depth=1
	s_wait_xcnt 0x0
	s_or_b32 exec_lo, exec_lo, s1
	s_delay_alu instid0(VALU_DEP_1)
	v_readfirstlane_b32 s1, v2
	s_cmp_eq_u32 s1, 0
	s_cbranch_scc1 .LBB1_212
; %bb.211:                              ;   in Loop: Header=BB1_213 Depth=1
	s_sleep 1
	s_cbranch_execnz .LBB1_213
	s_branch .LBB1_216
.LBB1_212:
	s_branch .LBB1_216
.LBB1_213:                              ; =>This Inner Loop Header: Depth=1
	v_mov_b32_e32 v2, 1
	s_and_saveexec_b32 s1, s0
	s_cbranch_execz .LBB1_210
; %bb.214:                              ;   in Loop: Header=BB1_213 Depth=1
	global_load_b32 v2, v[10:11], off offset:20 scope:SCOPE_SYS
	s_wait_loadcnt 0x0
	global_inv scope:SCOPE_SYS
	v_and_b32_e32 v2, 1, v2
	s_branch .LBB1_210
.LBB1_215:
	s_branch .LBB1_249
.LBB1_216:
	global_load_b64 v[0:1], v[0:1], off
	s_wait_xcnt 0x0
	s_and_saveexec_b32 s6, s0
	s_cbranch_execz .LBB1_220
; %bb.217:
	v_mov_b32_e32 v10, 0
	s_clause 0x2
	global_load_b64 v[2:3], v10, s[2:3] offset:40
	global_load_b64 v[14:15], v10, s[2:3] offset:24 scope:SCOPE_SYS
	global_load_b64 v[6:7], v10, s[2:3]
	s_wait_loadcnt 0x2
	v_readfirstlane_b32 s10, v2
	v_readfirstlane_b32 s11, v3
	s_add_nc_u64 s[0:1], s[10:11], 1
	s_delay_alu instid0(SALU_CYCLE_1) | instskip(NEXT) | instid1(SALU_CYCLE_1)
	s_add_nc_u64 s[4:5], s[0:1], s[4:5]
	s_cmp_eq_u64 s[4:5], 0
	s_cselect_b32 s1, s1, s5
	s_cselect_b32 s0, s0, s4
	v_mov_b32_e32 v13, s1
	s_and_b64 s[4:5], s[0:1], s[10:11]
	v_mov_b32_e32 v12, s0
	s_mul_u64 s[4:5], s[4:5], 24
	s_wait_loadcnt 0x0
	v_add_nc_u64_e32 v[2:3], s[4:5], v[6:7]
	global_store_b64 v[2:3], v[14:15], off
	global_wb scope:SCOPE_SYS
	s_wait_storecnt 0x0
	s_wait_xcnt 0x0
	global_atomic_cmpswap_b64 v[8:9], v10, v[12:15], s[2:3] offset:24 th:TH_ATOMIC_RETURN scope:SCOPE_SYS
	s_wait_loadcnt 0x0
	v_cmp_ne_u64_e32 vcc_lo, v[8:9], v[14:15]
	s_and_b32 exec_lo, exec_lo, vcc_lo
	s_cbranch_execz .LBB1_220
; %bb.218:
	s_mov_b32 s4, 0
.LBB1_219:                              ; =>This Inner Loop Header: Depth=1
	v_dual_mov_b32 v6, s0 :: v_dual_mov_b32 v7, s1
	s_sleep 1
	global_store_b64 v[2:3], v[8:9], off
	global_wb scope:SCOPE_SYS
	s_wait_storecnt 0x0
	s_wait_xcnt 0x0
	global_atomic_cmpswap_b64 v[6:7], v10, v[6:9], s[2:3] offset:24 th:TH_ATOMIC_RETURN scope:SCOPE_SYS
	s_wait_loadcnt 0x0
	v_cmp_eq_u64_e32 vcc_lo, v[6:7], v[8:9]
	v_mov_b64_e32 v[8:9], v[6:7]
	s_or_b32 s4, vcc_lo, s4
	s_delay_alu instid0(SALU_CYCLE_1)
	s_and_not1_b32 exec_lo, exec_lo, s4
	s_cbranch_execnz .LBB1_219
.LBB1_220:
	s_or_b32 exec_lo, exec_lo, s6
	s_get_pc_i64 s[4:5]
	s_add_nc_u64 s[4:5], s[4:5], .str.4@rel64+4
	s_delay_alu instid0(SALU_CYCLE_1)
	s_cmp_lg_u64 s[4:5], 0
	s_cbranch_scc1 .LBB1_115
.LBB1_221:
                                        ; implicit-def: $vgpr6_vgpr7
	s_cbranch_execz .LBB1_249
; %bb.222:
	v_readfirstlane_b32 s0, v48
	v_mov_b64_e32 v[2:3], 0
	s_delay_alu instid0(VALU_DEP_2)
	v_cmp_eq_u32_e64 s0, s0, v48
	s_and_saveexec_b32 s1, s0
	s_cbranch_execz .LBB1_228
; %bb.223:
	s_wait_loadcnt 0x0
	v_mov_b32_e32 v6, 0
	s_mov_b32 s4, exec_lo
	global_load_b64 v[10:11], v6, s[2:3] offset:24 scope:SCOPE_SYS
	s_wait_loadcnt 0x0
	global_inv scope:SCOPE_SYS
	s_clause 0x1
	global_load_b64 v[2:3], v6, s[2:3] offset:40
	global_load_b64 v[8:9], v6, s[2:3]
	s_wait_loadcnt 0x1
	v_and_b32_e32 v2, v2, v10
	v_and_b32_e32 v3, v3, v11
	s_delay_alu instid0(VALU_DEP_1) | instskip(SKIP_1) | instid1(VALU_DEP_1)
	v_mul_u64_e32 v[2:3], 24, v[2:3]
	s_wait_loadcnt 0x0
	v_add_nc_u64_e32 v[2:3], v[8:9], v[2:3]
	global_load_b64 v[8:9], v[2:3], off scope:SCOPE_SYS
	s_wait_xcnt 0x0
	s_wait_loadcnt 0x0
	global_atomic_cmpswap_b64 v[2:3], v6, v[8:11], s[2:3] offset:24 th:TH_ATOMIC_RETURN scope:SCOPE_SYS
	s_wait_loadcnt 0x0
	global_inv scope:SCOPE_SYS
	s_wait_xcnt 0x0
	v_cmpx_ne_u64_e64 v[2:3], v[10:11]
	s_cbranch_execz .LBB1_227
; %bb.224:
	s_mov_b32 s5, 0
.LBB1_225:                              ; =>This Inner Loop Header: Depth=1
	s_sleep 1
	s_clause 0x1
	global_load_b64 v[8:9], v6, s[2:3] offset:40
	global_load_b64 v[12:13], v6, s[2:3]
	v_mov_b64_e32 v[10:11], v[2:3]
	s_wait_loadcnt 0x1
	s_delay_alu instid0(VALU_DEP_1) | instskip(NEXT) | instid1(VALU_DEP_2)
	v_and_b32_e32 v2, v8, v10
	v_and_b32_e32 v7, v9, v11
	s_wait_loadcnt 0x0
	s_delay_alu instid0(VALU_DEP_2) | instskip(NEXT) | instid1(VALU_DEP_1)
	v_mad_nc_u64_u32 v[2:3], v2, 24, v[12:13]
	v_mad_u32 v3, v7, 24, v3
	global_load_b64 v[8:9], v[2:3], off scope:SCOPE_SYS
	s_wait_xcnt 0x0
	s_wait_loadcnt 0x0
	global_atomic_cmpswap_b64 v[2:3], v6, v[8:11], s[2:3] offset:24 th:TH_ATOMIC_RETURN scope:SCOPE_SYS
	s_wait_loadcnt 0x0
	global_inv scope:SCOPE_SYS
	v_cmp_eq_u64_e32 vcc_lo, v[2:3], v[10:11]
	s_or_b32 s5, vcc_lo, s5
	s_wait_xcnt 0x0
	s_and_not1_b32 exec_lo, exec_lo, s5
	s_cbranch_execnz .LBB1_225
; %bb.226:
	s_or_b32 exec_lo, exec_lo, s5
.LBB1_227:
	s_delay_alu instid0(SALU_CYCLE_1)
	s_or_b32 exec_lo, exec_lo, s4
.LBB1_228:
	s_delay_alu instid0(SALU_CYCLE_1)
	s_or_b32 exec_lo, exec_lo, s1
	v_readfirstlane_b32 s4, v2
	v_mov_b32_e32 v31, 0
	v_readfirstlane_b32 s5, v3
	s_mov_b32 s1, exec_lo
	global_load_b64 v[10:11], v31, s[2:3] offset:40
	s_wait_loadcnt 0x1
	global_load_b128 v[6:9], v31, s[2:3]
	s_wait_loadcnt 0x1
	v_and_b32_e32 v2, s4, v10
	v_and_b32_e32 v3, s5, v11
	s_delay_alu instid0(VALU_DEP_1) | instskip(SKIP_1) | instid1(VALU_DEP_1)
	v_mul_u64_e32 v[10:11], 24, v[2:3]
	s_wait_loadcnt 0x0
	v_add_nc_u64_e32 v[10:11], v[6:7], v[10:11]
	s_wait_xcnt 0x0
	s_and_saveexec_b32 s6, s0
	s_cbranch_execz .LBB1_230
; %bb.229:
	v_mov_b64_e32 v[14:15], 0x100000002
	v_dual_mov_b32 v12, s1 :: v_dual_mov_b32 v13, v31
	global_store_b128 v[10:11], v[12:15], off offset:8
.LBB1_230:
	s_wait_xcnt 0x0
	s_or_b32 exec_lo, exec_lo, s6
	v_lshlrev_b64_e32 v[2:3], 12, v[2:3]
	s_mov_b32 s12, 0
	v_and_or_b32 v0, 0xffffff1f, v0, 32
	s_mov_b32 s13, s12
	s_mov_b32 s14, s12
	;; [unrolled: 1-line block ×3, first 2 shown]
	v_mov_b64_e32 v[12:13], s[12:13]
	v_add_nc_u64_e32 v[8:9], v[8:9], v[2:3]
	v_mov_b64_e32 v[14:15], s[14:15]
	v_dual_mov_b32 v2, v31 :: v_dual_mov_b32 v3, v31
	s_delay_alu instid0(VALU_DEP_3) | instskip(NEXT) | instid1(VALU_DEP_4)
	v_readfirstlane_b32 s6, v8
	v_readfirstlane_b32 s7, v9
	s_clause 0x3
	global_store_b128 v30, v[0:3], s[6:7]
	global_store_b128 v30, v[12:15], s[6:7] offset:16
	global_store_b128 v30, v[12:15], s[6:7] offset:32
	;; [unrolled: 1-line block ×3, first 2 shown]
	s_wait_xcnt 0x0
	s_and_saveexec_b32 s1, s0
	s_cbranch_execz .LBB1_238
; %bb.231:
	v_dual_mov_b32 v12, 0 :: v_dual_mov_b32 v15, s5
	s_mov_b32 s6, exec_lo
	s_clause 0x1
	global_load_b64 v[16:17], v12, s[2:3] offset:32 scope:SCOPE_SYS
	global_load_b64 v[0:1], v12, s[2:3] offset:40
	s_wait_loadcnt 0x0
	v_dual_mov_b32 v14, s4 :: v_dual_bitop2_b32 v1, s5, v1 bitop3:0x40
	v_and_b32_e32 v0, s4, v0
	s_delay_alu instid0(VALU_DEP_1) | instskip(NEXT) | instid1(VALU_DEP_1)
	v_mul_u64_e32 v[0:1], 24, v[0:1]
	v_add_nc_u64_e32 v[6:7], v[6:7], v[0:1]
	global_store_b64 v[6:7], v[16:17], off
	global_wb scope:SCOPE_SYS
	s_wait_storecnt 0x0
	s_wait_xcnt 0x0
	global_atomic_cmpswap_b64 v[2:3], v12, v[14:17], s[2:3] offset:32 th:TH_ATOMIC_RETURN scope:SCOPE_SYS
	s_wait_loadcnt 0x0
	v_cmpx_ne_u64_e64 v[2:3], v[16:17]
	s_cbranch_execz .LBB1_234
; %bb.232:
	s_mov_b32 s7, 0
.LBB1_233:                              ; =>This Inner Loop Header: Depth=1
	v_dual_mov_b32 v0, s4 :: v_dual_mov_b32 v1, s5
	s_sleep 1
	global_store_b64 v[6:7], v[2:3], off
	global_wb scope:SCOPE_SYS
	s_wait_storecnt 0x0
	s_wait_xcnt 0x0
	global_atomic_cmpswap_b64 v[0:1], v12, v[0:3], s[2:3] offset:32 th:TH_ATOMIC_RETURN scope:SCOPE_SYS
	s_wait_loadcnt 0x0
	v_cmp_eq_u64_e32 vcc_lo, v[0:1], v[2:3]
	v_mov_b64_e32 v[2:3], v[0:1]
	s_or_b32 s7, vcc_lo, s7
	s_delay_alu instid0(SALU_CYCLE_1)
	s_and_not1_b32 exec_lo, exec_lo, s7
	s_cbranch_execnz .LBB1_233
.LBB1_234:
	s_or_b32 exec_lo, exec_lo, s6
	v_mov_b32_e32 v3, 0
	s_mov_b32 s7, exec_lo
	s_mov_b32 s6, exec_lo
	v_mbcnt_lo_u32_b32 v2, s7, 0
	global_load_b64 v[0:1], v3, s[2:3] offset:16
	s_wait_xcnt 0x0
	v_cmpx_eq_u32_e32 0, v2
	s_cbranch_execz .LBB1_236
; %bb.235:
	s_bcnt1_i32_b32 s7, s7
	s_delay_alu instid0(SALU_CYCLE_1)
	v_mov_b32_e32 v2, s7
	global_wb scope:SCOPE_SYS
	s_wait_loadcnt 0x0
	s_wait_storecnt 0x0
	global_atomic_add_u64 v[0:1], v[2:3], off offset:8 scope:SCOPE_SYS
.LBB1_236:
	s_wait_xcnt 0x0
	s_or_b32 exec_lo, exec_lo, s6
	s_wait_loadcnt 0x0
	global_load_b64 v[2:3], v[0:1], off offset:16
	s_wait_loadcnt 0x0
	v_cmp_eq_u64_e32 vcc_lo, 0, v[2:3]
	s_cbranch_vccnz .LBB1_238
; %bb.237:
	global_load_b32 v0, v[0:1], off offset:24
	s_wait_xcnt 0x0
	v_mov_b32_e32 v1, 0
	s_wait_loadcnt 0x0
	v_readfirstlane_b32 s6, v0
	global_wb scope:SCOPE_SYS
	s_wait_storecnt 0x0
	global_store_b64 v[2:3], v[0:1], off scope:SCOPE_SYS
	s_and_b32 m0, s6, 0xffffff
	s_sendmsg sendmsg(MSG_INTERRUPT)
.LBB1_238:
	s_wait_xcnt 0x0
	s_or_b32 exec_lo, exec_lo, s1
	v_add_nc_u64_e32 v[0:1], v[8:9], v[30:31]
	s_branch .LBB1_242
.LBB1_239:                              ;   in Loop: Header=BB1_242 Depth=1
	s_wait_xcnt 0x0
	s_or_b32 exec_lo, exec_lo, s1
	s_delay_alu instid0(VALU_DEP_1)
	v_readfirstlane_b32 s1, v2
	s_cmp_eq_u32 s1, 0
	s_cbranch_scc1 .LBB1_241
; %bb.240:                              ;   in Loop: Header=BB1_242 Depth=1
	s_sleep 1
	s_cbranch_execnz .LBB1_242
	s_branch .LBB1_244
.LBB1_241:
	s_branch .LBB1_244
.LBB1_242:                              ; =>This Inner Loop Header: Depth=1
	v_mov_b32_e32 v2, 1
	s_and_saveexec_b32 s1, s0
	s_cbranch_execz .LBB1_239
; %bb.243:                              ;   in Loop: Header=BB1_242 Depth=1
	global_load_b32 v2, v[10:11], off offset:20 scope:SCOPE_SYS
	s_wait_loadcnt 0x0
	global_inv scope:SCOPE_SYS
	v_and_b32_e32 v2, 1, v2
	s_branch .LBB1_239
.LBB1_244:
	global_load_b64 v[6:7], v[0:1], off
	s_wait_xcnt 0x0
	s_and_saveexec_b32 s6, s0
	s_cbranch_execz .LBB1_248
; %bb.245:
	v_mov_b32_e32 v10, 0
	s_clause 0x2
	global_load_b64 v[0:1], v10, s[2:3] offset:40
	global_load_b64 v[14:15], v10, s[2:3] offset:24 scope:SCOPE_SYS
	global_load_b64 v[2:3], v10, s[2:3]
	s_wait_loadcnt 0x2
	v_readfirstlane_b32 s10, v0
	v_readfirstlane_b32 s11, v1
	s_add_nc_u64 s[0:1], s[10:11], 1
	s_delay_alu instid0(SALU_CYCLE_1) | instskip(NEXT) | instid1(SALU_CYCLE_1)
	s_add_nc_u64 s[4:5], s[0:1], s[4:5]
	s_cmp_eq_u64 s[4:5], 0
	s_cselect_b32 s1, s1, s5
	s_cselect_b32 s0, s0, s4
	v_mov_b32_e32 v13, s1
	s_and_b64 s[4:5], s[0:1], s[10:11]
	v_mov_b32_e32 v12, s0
	s_mul_u64 s[4:5], s[4:5], 24
	s_wait_loadcnt 0x0
	v_add_nc_u64_e32 v[8:9], s[4:5], v[2:3]
	global_store_b64 v[8:9], v[14:15], off
	global_wb scope:SCOPE_SYS
	s_wait_storecnt 0x0
	s_wait_xcnt 0x0
	global_atomic_cmpswap_b64 v[2:3], v10, v[12:15], s[2:3] offset:24 th:TH_ATOMIC_RETURN scope:SCOPE_SYS
	s_wait_loadcnt 0x0
	v_cmp_ne_u64_e32 vcc_lo, v[2:3], v[14:15]
	s_and_b32 exec_lo, exec_lo, vcc_lo
	s_cbranch_execz .LBB1_248
; %bb.246:
	s_mov_b32 s4, 0
.LBB1_247:                              ; =>This Inner Loop Header: Depth=1
	v_dual_mov_b32 v0, s0 :: v_dual_mov_b32 v1, s1
	s_sleep 1
	global_store_b64 v[8:9], v[2:3], off
	global_wb scope:SCOPE_SYS
	s_wait_storecnt 0x0
	s_wait_xcnt 0x0
	global_atomic_cmpswap_b64 v[0:1], v10, v[0:3], s[2:3] offset:24 th:TH_ATOMIC_RETURN scope:SCOPE_SYS
	s_wait_loadcnt 0x0
	v_cmp_eq_u64_e32 vcc_lo, v[0:1], v[2:3]
	v_mov_b64_e32 v[2:3], v[0:1]
	s_or_b32 s4, vcc_lo, s4
	s_delay_alu instid0(SALU_CYCLE_1)
	s_and_not1_b32 exec_lo, exec_lo, s4
	s_cbranch_execnz .LBB1_247
.LBB1_248:
	s_or_b32 exec_lo, exec_lo, s6
.LBB1_249:
	v_readfirstlane_b32 s0, v48
	v_mov_b64_e32 v[8:9], 0
	s_delay_alu instid0(VALU_DEP_2)
	v_cmp_eq_u32_e64 s0, s0, v48
	s_and_saveexec_b32 s1, s0
	s_cbranch_execz .LBB1_255
; %bb.250:
	s_wait_loadcnt 0x0
	v_mov_b32_e32 v0, 0
	s_mov_b32 s4, exec_lo
	global_load_b64 v[10:11], v0, s[2:3] offset:24 scope:SCOPE_SYS
	s_wait_loadcnt 0x0
	global_inv scope:SCOPE_SYS
	s_clause 0x1
	global_load_b64 v[2:3], v0, s[2:3] offset:40
	global_load_b64 v[8:9], v0, s[2:3]
	s_wait_loadcnt 0x1
	v_and_b32_e32 v2, v2, v10
	v_and_b32_e32 v3, v3, v11
	s_delay_alu instid0(VALU_DEP_1) | instskip(SKIP_1) | instid1(VALU_DEP_1)
	v_mul_u64_e32 v[2:3], 24, v[2:3]
	s_wait_loadcnt 0x0
	v_add_nc_u64_e32 v[2:3], v[8:9], v[2:3]
	global_load_b64 v[8:9], v[2:3], off scope:SCOPE_SYS
	s_wait_xcnt 0x0
	s_wait_loadcnt 0x0
	global_atomic_cmpswap_b64 v[8:9], v0, v[8:11], s[2:3] offset:24 th:TH_ATOMIC_RETURN scope:SCOPE_SYS
	s_wait_loadcnt 0x0
	global_inv scope:SCOPE_SYS
	s_wait_xcnt 0x0
	v_cmpx_ne_u64_e64 v[8:9], v[10:11]
	s_cbranch_execz .LBB1_254
; %bb.251:
	s_mov_b32 s5, 0
.LBB1_252:                              ; =>This Inner Loop Header: Depth=1
	s_sleep 1
	s_clause 0x1
	global_load_b64 v[2:3], v0, s[2:3] offset:40
	global_load_b64 v[12:13], v0, s[2:3]
	v_mov_b64_e32 v[10:11], v[8:9]
	s_wait_loadcnt 0x1
	s_delay_alu instid0(VALU_DEP_1) | instskip(SKIP_1) | instid1(VALU_DEP_1)
	v_and_b32_e32 v1, v2, v10
	s_wait_loadcnt 0x0
	v_mad_nc_u64_u32 v[8:9], v1, 24, v[12:13]
	s_delay_alu instid0(VALU_DEP_3) | instskip(NEXT) | instid1(VALU_DEP_1)
	v_and_b32_e32 v1, v3, v11
	v_mad_u32 v9, v1, 24, v9
	global_load_b64 v[8:9], v[8:9], off scope:SCOPE_SYS
	s_wait_xcnt 0x0
	s_wait_loadcnt 0x0
	global_atomic_cmpswap_b64 v[8:9], v0, v[8:11], s[2:3] offset:24 th:TH_ATOMIC_RETURN scope:SCOPE_SYS
	s_wait_loadcnt 0x0
	global_inv scope:SCOPE_SYS
	v_cmp_eq_u64_e32 vcc_lo, v[8:9], v[10:11]
	s_or_b32 s5, vcc_lo, s5
	s_wait_xcnt 0x0
	s_and_not1_b32 exec_lo, exec_lo, s5
	s_cbranch_execnz .LBB1_252
; %bb.253:
	s_or_b32 exec_lo, exec_lo, s5
.LBB1_254:
	s_delay_alu instid0(SALU_CYCLE_1)
	s_or_b32 exec_lo, exec_lo, s4
.LBB1_255:
	s_delay_alu instid0(SALU_CYCLE_1)
	s_or_b32 exec_lo, exec_lo, s1
	v_readfirstlane_b32 s4, v8
	v_mov_b32_e32 v31, 0
	v_readfirstlane_b32 s5, v9
	s_mov_b32 s1, exec_lo
	global_load_b64 v[10:11], v31, s[2:3] offset:40
	s_wait_loadcnt 0x1
	global_load_b128 v[0:3], v31, s[2:3]
	s_wait_loadcnt 0x1
	v_and_b32_e32 v8, s4, v10
	v_and_b32_e32 v9, s5, v11
	s_delay_alu instid0(VALU_DEP_1) | instskip(SKIP_1) | instid1(VALU_DEP_1)
	v_mul_u64_e32 v[10:11], 24, v[8:9]
	s_wait_loadcnt 0x0
	v_add_nc_u64_e32 v[10:11], v[0:1], v[10:11]
	s_wait_xcnt 0x0
	s_and_saveexec_b32 s6, s0
	s_cbranch_execz .LBB1_257
; %bb.256:
	v_mov_b64_e32 v[14:15], 0x100000002
	v_dual_mov_b32 v12, s1 :: v_dual_mov_b32 v13, v31
	global_store_b128 v[10:11], v[12:15], off offset:8
.LBB1_257:
	s_wait_xcnt 0x0
	s_or_b32 exec_lo, exec_lo, s6
	v_lshlrev_b64_e32 v[8:9], 12, v[8:9]
	s_mov_b32 s12, 0
	v_and_or_b32 v6, 0xffffff1f, v6, 32
	s_mov_b32 s14, s12
	s_mov_b32 s15, s12
	s_mov_b32 s13, s12
	v_mov_b64_e32 v[16:17], s[14:15]
	v_add_nc_u64_e32 v[12:13], v[2:3], v[8:9]
	v_mov_b64_e32 v[14:15], s[12:13]
	v_dual_mov_b32 v8, 0x331 :: v_dual_mov_b32 v9, v31
	s_delay_alu instid0(VALU_DEP_3) | instskip(NEXT) | instid1(VALU_DEP_4)
	v_readfirstlane_b32 s6, v12
	v_readfirstlane_b32 s7, v13
	s_clause 0x3
	global_store_b128 v30, v[6:9], s[6:7]
	global_store_b128 v30, v[14:17], s[6:7] offset:16
	global_store_b128 v30, v[14:17], s[6:7] offset:32
	;; [unrolled: 1-line block ×3, first 2 shown]
	s_wait_xcnt 0x0
	s_and_saveexec_b32 s1, s0
	s_cbranch_execz .LBB1_265
; %bb.258:
	v_dual_mov_b32 v8, 0 :: v_dual_mov_b32 v15, s5
	s_mov_b32 s6, exec_lo
	s_clause 0x1
	global_load_b64 v[16:17], v8, s[2:3] offset:32 scope:SCOPE_SYS
	global_load_b64 v[2:3], v8, s[2:3] offset:40
	s_wait_loadcnt 0x0
	v_dual_mov_b32 v14, s4 :: v_dual_bitop2_b32 v3, s5, v3 bitop3:0x40
	v_and_b32_e32 v2, s4, v2
	s_delay_alu instid0(VALU_DEP_1) | instskip(NEXT) | instid1(VALU_DEP_1)
	v_mul_u64_e32 v[2:3], 24, v[2:3]
	v_add_nc_u64_e32 v[6:7], v[0:1], v[2:3]
	global_store_b64 v[6:7], v[16:17], off
	global_wb scope:SCOPE_SYS
	s_wait_storecnt 0x0
	s_wait_xcnt 0x0
	global_atomic_cmpswap_b64 v[2:3], v8, v[14:17], s[2:3] offset:32 th:TH_ATOMIC_RETURN scope:SCOPE_SYS
	s_wait_loadcnt 0x0
	v_cmpx_ne_u64_e64 v[2:3], v[16:17]
	s_cbranch_execz .LBB1_261
; %bb.259:
	s_mov_b32 s7, 0
.LBB1_260:                              ; =>This Inner Loop Header: Depth=1
	v_dual_mov_b32 v0, s4 :: v_dual_mov_b32 v1, s5
	s_sleep 1
	global_store_b64 v[6:7], v[2:3], off
	global_wb scope:SCOPE_SYS
	s_wait_storecnt 0x0
	s_wait_xcnt 0x0
	global_atomic_cmpswap_b64 v[0:1], v8, v[0:3], s[2:3] offset:32 th:TH_ATOMIC_RETURN scope:SCOPE_SYS
	s_wait_loadcnt 0x0
	v_cmp_eq_u64_e32 vcc_lo, v[0:1], v[2:3]
	v_mov_b64_e32 v[2:3], v[0:1]
	s_or_b32 s7, vcc_lo, s7
	s_delay_alu instid0(SALU_CYCLE_1)
	s_and_not1_b32 exec_lo, exec_lo, s7
	s_cbranch_execnz .LBB1_260
.LBB1_261:
	s_or_b32 exec_lo, exec_lo, s6
	v_mov_b32_e32 v3, 0
	s_mov_b32 s7, exec_lo
	s_mov_b32 s6, exec_lo
	v_mbcnt_lo_u32_b32 v2, s7, 0
	global_load_b64 v[0:1], v3, s[2:3] offset:16
	s_wait_xcnt 0x0
	v_cmpx_eq_u32_e32 0, v2
	s_cbranch_execz .LBB1_263
; %bb.262:
	s_bcnt1_i32_b32 s7, s7
	s_delay_alu instid0(SALU_CYCLE_1)
	v_mov_b32_e32 v2, s7
	global_wb scope:SCOPE_SYS
	s_wait_loadcnt 0x0
	s_wait_storecnt 0x0
	global_atomic_add_u64 v[0:1], v[2:3], off offset:8 scope:SCOPE_SYS
.LBB1_263:
	s_wait_xcnt 0x0
	s_or_b32 exec_lo, exec_lo, s6
	s_wait_loadcnt 0x0
	global_load_b64 v[2:3], v[0:1], off offset:16
	s_wait_loadcnt 0x0
	v_cmp_eq_u64_e32 vcc_lo, 0, v[2:3]
	s_cbranch_vccnz .LBB1_265
; %bb.264:
	global_load_b32 v0, v[0:1], off offset:24
	s_wait_xcnt 0x0
	v_mov_b32_e32 v1, 0
	s_wait_loadcnt 0x0
	v_readfirstlane_b32 s6, v0
	global_wb scope:SCOPE_SYS
	s_wait_storecnt 0x0
	global_store_b64 v[2:3], v[0:1], off scope:SCOPE_SYS
	s_and_b32 m0, s6, 0xffffff
	s_sendmsg sendmsg(MSG_INTERRUPT)
.LBB1_265:
	s_wait_xcnt 0x0
	s_or_b32 exec_lo, exec_lo, s1
	v_add_nc_u64_e32 v[0:1], v[12:13], v[30:31]
	s_branch .LBB1_269
.LBB1_266:                              ;   in Loop: Header=BB1_269 Depth=1
	s_wait_xcnt 0x0
	s_or_b32 exec_lo, exec_lo, s1
	s_delay_alu instid0(VALU_DEP_1)
	v_readfirstlane_b32 s1, v2
	s_cmp_eq_u32 s1, 0
	s_cbranch_scc1 .LBB1_268
; %bb.267:                              ;   in Loop: Header=BB1_269 Depth=1
	s_sleep 1
	s_cbranch_execnz .LBB1_269
	s_branch .LBB1_271
.LBB1_268:
	s_branch .LBB1_271
.LBB1_269:                              ; =>This Inner Loop Header: Depth=1
	v_mov_b32_e32 v2, 1
	s_and_saveexec_b32 s1, s0
	s_cbranch_execz .LBB1_266
; %bb.270:                              ;   in Loop: Header=BB1_269 Depth=1
	global_load_b32 v2, v[10:11], off offset:20 scope:SCOPE_SYS
	s_wait_loadcnt 0x0
	global_inv scope:SCOPE_SYS
	v_and_b32_e32 v2, 1, v2
	s_branch .LBB1_266
.LBB1_271:
	global_load_b64 v[0:1], v[0:1], off
	s_wait_xcnt 0x0
	s_and_saveexec_b32 s6, s0
	s_cbranch_execz .LBB1_275
; %bb.272:
	v_mov_b32_e32 v10, 0
	s_clause 0x2
	global_load_b64 v[2:3], v10, s[2:3] offset:40
	global_load_b64 v[14:15], v10, s[2:3] offset:24 scope:SCOPE_SYS
	global_load_b64 v[6:7], v10, s[2:3]
	s_wait_loadcnt 0x2
	v_readfirstlane_b32 s10, v2
	v_readfirstlane_b32 s11, v3
	s_add_nc_u64 s[0:1], s[10:11], 1
	s_delay_alu instid0(SALU_CYCLE_1) | instskip(NEXT) | instid1(SALU_CYCLE_1)
	s_add_nc_u64 s[4:5], s[0:1], s[4:5]
	s_cmp_eq_u64 s[4:5], 0
	s_cselect_b32 s1, s1, s5
	s_cselect_b32 s0, s0, s4
	v_mov_b32_e32 v13, s1
	s_and_b64 s[4:5], s[0:1], s[10:11]
	v_mov_b32_e32 v12, s0
	s_mul_u64 s[4:5], s[4:5], 24
	s_wait_loadcnt 0x0
	v_add_nc_u64_e32 v[2:3], s[4:5], v[6:7]
	global_store_b64 v[2:3], v[14:15], off
	global_wb scope:SCOPE_SYS
	s_wait_storecnt 0x0
	s_wait_xcnt 0x0
	global_atomic_cmpswap_b64 v[8:9], v10, v[12:15], s[2:3] offset:24 th:TH_ATOMIC_RETURN scope:SCOPE_SYS
	s_wait_loadcnt 0x0
	v_cmp_ne_u64_e32 vcc_lo, v[8:9], v[14:15]
	s_and_b32 exec_lo, exec_lo, vcc_lo
	s_cbranch_execz .LBB1_275
; %bb.273:
	s_mov_b32 s4, 0
.LBB1_274:                              ; =>This Inner Loop Header: Depth=1
	v_dual_mov_b32 v6, s0 :: v_dual_mov_b32 v7, s1
	s_sleep 1
	global_store_b64 v[2:3], v[8:9], off
	global_wb scope:SCOPE_SYS
	s_wait_storecnt 0x0
	s_wait_xcnt 0x0
	global_atomic_cmpswap_b64 v[6:7], v10, v[6:9], s[2:3] offset:24 th:TH_ATOMIC_RETURN scope:SCOPE_SYS
	s_wait_loadcnt 0x0
	v_cmp_eq_u64_e32 vcc_lo, v[6:7], v[8:9]
	v_mov_b64_e32 v[8:9], v[6:7]
	s_or_b32 s4, vcc_lo, s4
	s_delay_alu instid0(SALU_CYCLE_1)
	s_and_not1_b32 exec_lo, exec_lo, s4
	s_cbranch_execnz .LBB1_274
.LBB1_275:
	s_or_b32 exec_lo, exec_lo, s6
	v_mov_b64_e32 v[2:3], v[4:5]
	s_mov_b32 s0, 0
.LBB1_276:                              ; =>This Inner Loop Header: Depth=1
	global_load_u8 v6, v[2:3], off
	s_wait_xcnt 0x0
	v_add_nc_u64_e32 v[2:3], 1, v[2:3]
	s_wait_loadcnt 0x0
	v_cmp_eq_u16_e32 vcc_lo, 0, v6
	s_or_b32 s0, vcc_lo, s0
	s_delay_alu instid0(SALU_CYCLE_1)
	s_and_not1_b32 exec_lo, exec_lo, s0
	s_cbranch_execnz .LBB1_276
; %bb.277:
	s_or_b32 exec_lo, exec_lo, s0
	s_delay_alu instid0(SALU_CYCLE_1)
	s_mov_b32 s0, exec_lo
	v_cmpx_ne_u64_e32 0, v[4:5]
	s_xor_b32 s6, exec_lo, s0
	s_cbranch_execz .LBB1_363
; %bb.278:
	v_dual_mov_b32 v31, 0 :: v_dual_sub_nc_u32 v26, v2, v4
	v_mov_b64_e32 v[8:9], 0x100000002
	v_and_b32_e32 v28, 2, v0
	s_delay_alu instid0(VALU_DEP_3)
	v_dual_ashrrev_i32 v27, 31, v26 :: v_dual_bitop2_b32 v0, -3, v0 bitop3:0x40
	s_mov_b32 s10, 0
	s_mov_b32 s7, 0
	s_branch .LBB1_280
.LBB1_279:                              ;   in Loop: Header=BB1_280 Depth=1
	s_or_b32 exec_lo, exec_lo, s11
	v_sub_nc_u64_e32 v[26:27], v[26:27], v[32:33]
	v_add_nc_u64_e32 v[4:5], v[4:5], v[32:33]
	s_delay_alu instid0(VALU_DEP_2) | instskip(SKIP_1) | instid1(SALU_CYCLE_1)
	v_cmp_eq_u64_e32 vcc_lo, 0, v[26:27]
	s_or_b32 s7, vcc_lo, s7
	s_and_not1_b32 exec_lo, exec_lo, s7
	s_cbranch_execz .LBB1_362
.LBB1_280:                              ; =>This Loop Header: Depth=1
                                        ;     Child Loop BB1_283 Depth 2
                                        ;     Child Loop BB1_291 Depth 2
	;; [unrolled: 1-line block ×11, first 2 shown]
	s_delay_alu instid0(VALU_DEP_1) | instskip(NEXT) | instid1(VALU_DEP_3)
	v_min_u64 v[32:33], v[26:27], 56
	v_add_nc_u64_e32 v[12:13], 8, v[4:5]
	s_mov_b32 s0, exec_lo
	v_cmpx_gt_u64_e32 8, v[26:27]
	s_xor_b32 s4, exec_lo, s0
	s_cbranch_execz .LBB1_286
; %bb.281:                              ;   in Loop: Header=BB1_280 Depth=1
	v_mov_b64_e32 v[2:3], 0
	s_mov_b32 s5, exec_lo
	v_cmpx_ne_u64_e32 0, v[26:27]
	s_cbranch_execz .LBB1_285
; %bb.282:                              ;   in Loop: Header=BB1_280 Depth=1
	v_mov_b64_e32 v[2:3], 0
	v_mov_b64_e32 v[10:11], v[4:5]
	v_lshlrev_b32_e32 v6, 3, v32
	s_mov_b64 s[0:1], 0
	s_mov_b32 s11, 0
.LBB1_283:                              ;   Parent Loop BB1_280 Depth=1
                                        ; =>  This Inner Loop Header: Depth=2
	global_load_u8 v7, v[10:11], off
	v_mov_b32_e32 v13, s10
	s_wait_xcnt 0x0
	v_add_nc_u64_e32 v[10:11], 1, v[10:11]
	s_wait_loadcnt 0x0
	v_and_b32_e32 v12, 0xffff, v7
	s_delay_alu instid0(VALU_DEP_1) | instskip(SKIP_1) | instid1(SALU_CYCLE_1)
	v_lshlrev_b64_e32 v[12:13], s0, v[12:13]
	s_add_nc_u64 s[0:1], s[0:1], 8
	v_cmp_eq_u32_e32 vcc_lo, s0, v6
	s_delay_alu instid0(VALU_DEP_2) | instskip(NEXT) | instid1(VALU_DEP_3)
	v_or_b32_e32 v3, v13, v3
	v_or_b32_e32 v2, v12, v2
	s_or_b32 s11, vcc_lo, s11
	s_delay_alu instid0(SALU_CYCLE_1)
	s_and_not1_b32 exec_lo, exec_lo, s11
	s_cbranch_execnz .LBB1_283
; %bb.284:                              ;   in Loop: Header=BB1_280 Depth=1
	s_or_b32 exec_lo, exec_lo, s11
.LBB1_285:                              ;   in Loop: Header=BB1_280 Depth=1
	s_delay_alu instid0(SALU_CYCLE_1)
	s_or_b32 exec_lo, exec_lo, s5
	v_mov_b64_e32 v[12:13], v[4:5]
.LBB1_286:                              ;   in Loop: Header=BB1_280 Depth=1
	s_or_saveexec_b32 s0, s4
	v_mov_b32_e32 v14, 0
	s_xor_b32 exec_lo, exec_lo, s0
	s_cbranch_execz .LBB1_288
; %bb.287:                              ;   in Loop: Header=BB1_280 Depth=1
	global_load_b64 v[2:3], v[4:5], off
	v_add_nc_u32_e32 v14, -8, v32
.LBB1_288:                              ;   in Loop: Header=BB1_280 Depth=1
	s_wait_xcnt 0x0
	s_or_b32 exec_lo, exec_lo, s0
	v_add_nc_u64_e32 v[6:7], 8, v[12:13]
                                        ; implicit-def: $vgpr10_vgpr11
	s_mov_b32 s0, exec_lo
	v_cmpx_gt_u32_e32 8, v14
	s_xor_b32 s11, exec_lo, s0
	s_cbranch_execz .LBB1_294
; %bb.289:                              ;   in Loop: Header=BB1_280 Depth=1
	v_mov_b64_e32 v[10:11], 0
	s_mov_b32 s12, exec_lo
	v_cmpx_ne_u32_e32 0, v14
	s_cbranch_execz .LBB1_293
; %bb.290:                              ;   in Loop: Header=BB1_280 Depth=1
	v_mov_b64_e32 v[10:11], 0
	s_mov_b64 s[0:1], 0
	s_mov_b32 s13, 0
	s_mov_b64 s[4:5], 0
.LBB1_291:                              ;   Parent Loop BB1_280 Depth=1
                                        ; =>  This Inner Loop Header: Depth=2
	s_delay_alu instid0(SALU_CYCLE_1) | instskip(SKIP_1) | instid1(SALU_CYCLE_1)
	v_add_nc_u64_e32 v[6:7], s[4:5], v[12:13]
	s_add_nc_u64 s[4:5], s[4:5], 1
	v_cmp_eq_u32_e32 vcc_lo, s4, v14
	global_load_u8 v6, v[6:7], off
	s_wait_xcnt 0x0
	v_mov_b32_e32 v7, s10
	s_or_b32 s13, vcc_lo, s13
	s_wait_loadcnt 0x0
	v_and_b32_e32 v6, 0xffff, v6
	s_delay_alu instid0(VALU_DEP_1) | instskip(SKIP_1) | instid1(VALU_DEP_1)
	v_lshlrev_b64_e32 v[6:7], s0, v[6:7]
	s_add_nc_u64 s[0:1], s[0:1], 8
	v_or_b32_e32 v11, v7, v11
	s_delay_alu instid0(VALU_DEP_2)
	v_or_b32_e32 v10, v6, v10
	s_and_not1_b32 exec_lo, exec_lo, s13
	s_cbranch_execnz .LBB1_291
; %bb.292:                              ;   in Loop: Header=BB1_280 Depth=1
	s_or_b32 exec_lo, exec_lo, s13
.LBB1_293:                              ;   in Loop: Header=BB1_280 Depth=1
	s_delay_alu instid0(SALU_CYCLE_1)
	s_or_b32 exec_lo, exec_lo, s12
	v_mov_b64_e32 v[6:7], v[12:13]
                                        ; implicit-def: $vgpr14
.LBB1_294:                              ;   in Loop: Header=BB1_280 Depth=1
	s_or_saveexec_b32 s0, s11
	v_mov_b32_e32 v15, 0
	s_xor_b32 exec_lo, exec_lo, s0
	s_cbranch_execz .LBB1_296
; %bb.295:                              ;   in Loop: Header=BB1_280 Depth=1
	global_load_b64 v[10:11], v[12:13], off
	v_add_nc_u32_e32 v15, -8, v14
.LBB1_296:                              ;   in Loop: Header=BB1_280 Depth=1
	s_wait_xcnt 0x0
	s_or_b32 exec_lo, exec_lo, s0
	v_add_nc_u64_e32 v[16:17], 8, v[6:7]
	s_mov_b32 s0, exec_lo
	v_cmpx_gt_u32_e32 8, v15
	s_xor_b32 s11, exec_lo, s0
	s_cbranch_execz .LBB1_302
; %bb.297:                              ;   in Loop: Header=BB1_280 Depth=1
	v_mov_b64_e32 v[12:13], 0
	s_mov_b32 s12, exec_lo
	v_cmpx_ne_u32_e32 0, v15
	s_cbranch_execz .LBB1_301
; %bb.298:                              ;   in Loop: Header=BB1_280 Depth=1
	v_mov_b64_e32 v[12:13], 0
	s_mov_b64 s[0:1], 0
	s_mov_b32 s13, 0
	s_mov_b64 s[4:5], 0
.LBB1_299:                              ;   Parent Loop BB1_280 Depth=1
                                        ; =>  This Inner Loop Header: Depth=2
	s_delay_alu instid0(SALU_CYCLE_1) | instskip(SKIP_1) | instid1(SALU_CYCLE_1)
	v_add_nc_u64_e32 v[16:17], s[4:5], v[6:7]
	s_add_nc_u64 s[4:5], s[4:5], 1
	v_cmp_eq_u32_e32 vcc_lo, s4, v15
	global_load_u8 v14, v[16:17], off
	s_wait_xcnt 0x0
	v_mov_b32_e32 v17, s10
	s_or_b32 s13, vcc_lo, s13
	s_wait_loadcnt 0x0
	v_and_b32_e32 v16, 0xffff, v14
	s_delay_alu instid0(VALU_DEP_1) | instskip(SKIP_1) | instid1(VALU_DEP_1)
	v_lshlrev_b64_e32 v[16:17], s0, v[16:17]
	s_add_nc_u64 s[0:1], s[0:1], 8
	v_or_b32_e32 v13, v17, v13
	s_delay_alu instid0(VALU_DEP_2)
	v_or_b32_e32 v12, v16, v12
	s_and_not1_b32 exec_lo, exec_lo, s13
	s_cbranch_execnz .LBB1_299
; %bb.300:                              ;   in Loop: Header=BB1_280 Depth=1
	s_or_b32 exec_lo, exec_lo, s13
.LBB1_301:                              ;   in Loop: Header=BB1_280 Depth=1
	s_delay_alu instid0(SALU_CYCLE_1)
	s_or_b32 exec_lo, exec_lo, s12
	v_mov_b64_e32 v[16:17], v[6:7]
                                        ; implicit-def: $vgpr15
.LBB1_302:                              ;   in Loop: Header=BB1_280 Depth=1
	s_or_saveexec_b32 s0, s11
	v_mov_b32_e32 v18, 0
	s_xor_b32 exec_lo, exec_lo, s0
	s_cbranch_execz .LBB1_304
; %bb.303:                              ;   in Loop: Header=BB1_280 Depth=1
	global_load_b64 v[12:13], v[6:7], off
	v_add_nc_u32_e32 v18, -8, v15
.LBB1_304:                              ;   in Loop: Header=BB1_280 Depth=1
	s_wait_xcnt 0x0
	s_or_b32 exec_lo, exec_lo, s0
	v_add_nc_u64_e32 v[6:7], 8, v[16:17]
                                        ; implicit-def: $vgpr14_vgpr15
	s_mov_b32 s0, exec_lo
	v_cmpx_gt_u32_e32 8, v18
	s_xor_b32 s11, exec_lo, s0
	s_cbranch_execz .LBB1_310
; %bb.305:                              ;   in Loop: Header=BB1_280 Depth=1
	v_mov_b64_e32 v[14:15], 0
	s_mov_b32 s12, exec_lo
	v_cmpx_ne_u32_e32 0, v18
	s_cbranch_execz .LBB1_309
; %bb.306:                              ;   in Loop: Header=BB1_280 Depth=1
	v_mov_b64_e32 v[14:15], 0
	s_mov_b64 s[0:1], 0
	s_mov_b32 s13, 0
	s_mov_b64 s[4:5], 0
.LBB1_307:                              ;   Parent Loop BB1_280 Depth=1
                                        ; =>  This Inner Loop Header: Depth=2
	s_delay_alu instid0(SALU_CYCLE_1) | instskip(SKIP_1) | instid1(SALU_CYCLE_1)
	v_add_nc_u64_e32 v[6:7], s[4:5], v[16:17]
	s_add_nc_u64 s[4:5], s[4:5], 1
	v_cmp_eq_u32_e32 vcc_lo, s4, v18
	global_load_u8 v6, v[6:7], off
	s_wait_xcnt 0x0
	v_mov_b32_e32 v7, s10
	s_or_b32 s13, vcc_lo, s13
	s_wait_loadcnt 0x0
	v_and_b32_e32 v6, 0xffff, v6
	s_delay_alu instid0(VALU_DEP_1) | instskip(SKIP_1) | instid1(VALU_DEP_1)
	v_lshlrev_b64_e32 v[6:7], s0, v[6:7]
	s_add_nc_u64 s[0:1], s[0:1], 8
	v_or_b32_e32 v15, v7, v15
	s_delay_alu instid0(VALU_DEP_2)
	v_or_b32_e32 v14, v6, v14
	s_and_not1_b32 exec_lo, exec_lo, s13
	s_cbranch_execnz .LBB1_307
; %bb.308:                              ;   in Loop: Header=BB1_280 Depth=1
	s_or_b32 exec_lo, exec_lo, s13
.LBB1_309:                              ;   in Loop: Header=BB1_280 Depth=1
	s_delay_alu instid0(SALU_CYCLE_1)
	s_or_b32 exec_lo, exec_lo, s12
	v_mov_b64_e32 v[6:7], v[16:17]
                                        ; implicit-def: $vgpr18
.LBB1_310:                              ;   in Loop: Header=BB1_280 Depth=1
	s_or_saveexec_b32 s0, s11
	v_mov_b32_e32 v19, 0
	s_xor_b32 exec_lo, exec_lo, s0
	s_cbranch_execz .LBB1_312
; %bb.311:                              ;   in Loop: Header=BB1_280 Depth=1
	global_load_b64 v[14:15], v[16:17], off
	v_add_nc_u32_e32 v19, -8, v18
.LBB1_312:                              ;   in Loop: Header=BB1_280 Depth=1
	s_wait_xcnt 0x0
	s_or_b32 exec_lo, exec_lo, s0
	v_add_nc_u64_e32 v[20:21], 8, v[6:7]
	s_mov_b32 s0, exec_lo
	v_cmpx_gt_u32_e32 8, v19
	s_xor_b32 s11, exec_lo, s0
	s_cbranch_execz .LBB1_318
; %bb.313:                              ;   in Loop: Header=BB1_280 Depth=1
	v_mov_b64_e32 v[16:17], 0
	s_mov_b32 s12, exec_lo
	v_cmpx_ne_u32_e32 0, v19
	s_cbranch_execz .LBB1_317
; %bb.314:                              ;   in Loop: Header=BB1_280 Depth=1
	v_mov_b64_e32 v[16:17], 0
	s_mov_b64 s[0:1], 0
	s_mov_b32 s13, 0
	s_mov_b64 s[4:5], 0
.LBB1_315:                              ;   Parent Loop BB1_280 Depth=1
                                        ; =>  This Inner Loop Header: Depth=2
	s_delay_alu instid0(SALU_CYCLE_1) | instskip(SKIP_1) | instid1(SALU_CYCLE_1)
	v_add_nc_u64_e32 v[20:21], s[4:5], v[6:7]
	s_add_nc_u64 s[4:5], s[4:5], 1
	v_cmp_eq_u32_e32 vcc_lo, s4, v19
	global_load_u8 v18, v[20:21], off
	s_wait_xcnt 0x0
	v_mov_b32_e32 v21, s10
	s_or_b32 s13, vcc_lo, s13
	s_wait_loadcnt 0x0
	v_and_b32_e32 v20, 0xffff, v18
	s_delay_alu instid0(VALU_DEP_1) | instskip(SKIP_1) | instid1(VALU_DEP_1)
	v_lshlrev_b64_e32 v[20:21], s0, v[20:21]
	s_add_nc_u64 s[0:1], s[0:1], 8
	v_or_b32_e32 v17, v21, v17
	s_delay_alu instid0(VALU_DEP_2)
	v_or_b32_e32 v16, v20, v16
	s_and_not1_b32 exec_lo, exec_lo, s13
	s_cbranch_execnz .LBB1_315
; %bb.316:                              ;   in Loop: Header=BB1_280 Depth=1
	s_or_b32 exec_lo, exec_lo, s13
.LBB1_317:                              ;   in Loop: Header=BB1_280 Depth=1
	s_delay_alu instid0(SALU_CYCLE_1)
	s_or_b32 exec_lo, exec_lo, s12
	v_mov_b64_e32 v[20:21], v[6:7]
                                        ; implicit-def: $vgpr19
.LBB1_318:                              ;   in Loop: Header=BB1_280 Depth=1
	s_or_saveexec_b32 s0, s11
	v_mov_b32_e32 v22, 0
	s_xor_b32 exec_lo, exec_lo, s0
	s_cbranch_execz .LBB1_320
; %bb.319:                              ;   in Loop: Header=BB1_280 Depth=1
	global_load_b64 v[16:17], v[6:7], off
	v_add_nc_u32_e32 v22, -8, v19
.LBB1_320:                              ;   in Loop: Header=BB1_280 Depth=1
	s_wait_xcnt 0x0
	s_or_b32 exec_lo, exec_lo, s0
	v_add_nc_u64_e32 v[6:7], 8, v[20:21]
                                        ; implicit-def: $vgpr18_vgpr19
	s_mov_b32 s0, exec_lo
	v_cmpx_gt_u32_e32 8, v22
	s_xor_b32 s11, exec_lo, s0
	s_cbranch_execz .LBB1_326
; %bb.321:                              ;   in Loop: Header=BB1_280 Depth=1
	v_mov_b64_e32 v[18:19], 0
	s_mov_b32 s12, exec_lo
	v_cmpx_ne_u32_e32 0, v22
	s_cbranch_execz .LBB1_325
; %bb.322:                              ;   in Loop: Header=BB1_280 Depth=1
	v_mov_b64_e32 v[18:19], 0
	s_mov_b64 s[0:1], 0
	s_mov_b32 s13, 0
	s_mov_b64 s[4:5], 0
.LBB1_323:                              ;   Parent Loop BB1_280 Depth=1
                                        ; =>  This Inner Loop Header: Depth=2
	s_delay_alu instid0(SALU_CYCLE_1) | instskip(SKIP_1) | instid1(SALU_CYCLE_1)
	v_add_nc_u64_e32 v[6:7], s[4:5], v[20:21]
	s_add_nc_u64 s[4:5], s[4:5], 1
	v_cmp_eq_u32_e32 vcc_lo, s4, v22
	global_load_u8 v6, v[6:7], off
	s_wait_xcnt 0x0
	v_mov_b32_e32 v7, s10
	s_or_b32 s13, vcc_lo, s13
	s_wait_loadcnt 0x0
	v_and_b32_e32 v6, 0xffff, v6
	s_delay_alu instid0(VALU_DEP_1) | instskip(SKIP_1) | instid1(VALU_DEP_1)
	v_lshlrev_b64_e32 v[6:7], s0, v[6:7]
	s_add_nc_u64 s[0:1], s[0:1], 8
	v_or_b32_e32 v19, v7, v19
	s_delay_alu instid0(VALU_DEP_2)
	v_or_b32_e32 v18, v6, v18
	s_and_not1_b32 exec_lo, exec_lo, s13
	s_cbranch_execnz .LBB1_323
; %bb.324:                              ;   in Loop: Header=BB1_280 Depth=1
	s_or_b32 exec_lo, exec_lo, s13
.LBB1_325:                              ;   in Loop: Header=BB1_280 Depth=1
	s_delay_alu instid0(SALU_CYCLE_1)
	s_or_b32 exec_lo, exec_lo, s12
	v_mov_b64_e32 v[6:7], v[20:21]
                                        ; implicit-def: $vgpr22
.LBB1_326:                              ;   in Loop: Header=BB1_280 Depth=1
	s_or_saveexec_b32 s0, s11
	v_mov_b32_e32 v23, 0
	s_xor_b32 exec_lo, exec_lo, s0
	s_cbranch_execz .LBB1_328
; %bb.327:                              ;   in Loop: Header=BB1_280 Depth=1
	global_load_b64 v[18:19], v[20:21], off
	v_add_nc_u32_e32 v23, -8, v22
.LBB1_328:                              ;   in Loop: Header=BB1_280 Depth=1
	s_wait_xcnt 0x0
	s_or_b32 exec_lo, exec_lo, s0
	s_delay_alu instid0(SALU_CYCLE_1) | instskip(NEXT) | instid1(VALU_DEP_1)
	s_mov_b32 s0, exec_lo
	v_cmpx_gt_u32_e32 8, v23
	s_xor_b32 s4, exec_lo, s0
	s_cbranch_execz .LBB1_334
; %bb.329:                              ;   in Loop: Header=BB1_280 Depth=1
	v_mov_b64_e32 v[20:21], 0
	s_mov_b32 s5, exec_lo
	v_cmpx_ne_u32_e32 0, v23
	s_cbranch_execz .LBB1_333
; %bb.330:                              ;   in Loop: Header=BB1_280 Depth=1
	v_mov_b64_e32 v[20:21], 0
	s_mov_b64 s[0:1], 0
	s_mov_b32 s11, 0
.LBB1_331:                              ;   Parent Loop BB1_280 Depth=1
                                        ; =>  This Inner Loop Header: Depth=2
	global_load_u8 v22, v[6:7], off
	v_dual_mov_b32 v25, s10 :: v_dual_add_nc_u32 v23, -1, v23
	s_wait_xcnt 0x0
	v_add_nc_u64_e32 v[6:7], 1, v[6:7]
	s_delay_alu instid0(VALU_DEP_2) | instskip(SKIP_3) | instid1(VALU_DEP_1)
	v_cmp_eq_u32_e32 vcc_lo, 0, v23
	s_or_b32 s11, vcc_lo, s11
	s_wait_loadcnt 0x0
	v_and_b32_e32 v24, 0xffff, v22
	v_lshlrev_b64_e32 v[24:25], s0, v[24:25]
	s_add_nc_u64 s[0:1], s[0:1], 8
	s_delay_alu instid0(VALU_DEP_1) | instskip(NEXT) | instid1(VALU_DEP_2)
	v_or_b32_e32 v21, v25, v21
	v_or_b32_e32 v20, v24, v20
	s_and_not1_b32 exec_lo, exec_lo, s11
	s_cbranch_execnz .LBB1_331
; %bb.332:                              ;   in Loop: Header=BB1_280 Depth=1
	s_or_b32 exec_lo, exec_lo, s11
.LBB1_333:                              ;   in Loop: Header=BB1_280 Depth=1
	s_delay_alu instid0(SALU_CYCLE_1)
	s_or_b32 exec_lo, exec_lo, s5
                                        ; implicit-def: $vgpr6_vgpr7
.LBB1_334:                              ;   in Loop: Header=BB1_280 Depth=1
	s_and_not1_saveexec_b32 s0, s4
	s_cbranch_execz .LBB1_336
; %bb.335:                              ;   in Loop: Header=BB1_280 Depth=1
	global_load_b64 v[20:21], v[6:7], off
.LBB1_336:                              ;   in Loop: Header=BB1_280 Depth=1
	s_wait_xcnt 0x0
	s_or_b32 exec_lo, exec_lo, s0
	v_readfirstlane_b32 s0, v48
	v_mov_b64_e32 v[6:7], 0
	s_delay_alu instid0(VALU_DEP_2)
	v_cmp_eq_u32_e64 s0, s0, v48
	s_and_saveexec_b32 s1, s0
	s_cbranch_execz .LBB1_342
; %bb.337:                              ;   in Loop: Header=BB1_280 Depth=1
	global_load_b64 v[24:25], v31, s[2:3] offset:24 scope:SCOPE_SYS
	s_wait_loadcnt 0x0
	global_inv scope:SCOPE_SYS
	s_clause 0x1
	global_load_b64 v[6:7], v31, s[2:3] offset:40
	global_load_b64 v[22:23], v31, s[2:3]
	s_mov_b32 s4, exec_lo
	s_wait_loadcnt 0x1
	v_and_b32_e32 v6, v6, v24
	v_and_b32_e32 v7, v7, v25
	s_delay_alu instid0(VALU_DEP_1) | instskip(SKIP_1) | instid1(VALU_DEP_1)
	v_mul_u64_e32 v[6:7], 24, v[6:7]
	s_wait_loadcnt 0x0
	v_add_nc_u64_e32 v[6:7], v[22:23], v[6:7]
	global_load_b64 v[22:23], v[6:7], off scope:SCOPE_SYS
	s_wait_xcnt 0x0
	s_wait_loadcnt 0x0
	global_atomic_cmpswap_b64 v[6:7], v31, v[22:25], s[2:3] offset:24 th:TH_ATOMIC_RETURN scope:SCOPE_SYS
	s_wait_loadcnt 0x0
	global_inv scope:SCOPE_SYS
	s_wait_xcnt 0x0
	v_cmpx_ne_u64_e64 v[6:7], v[24:25]
	s_cbranch_execz .LBB1_341
; %bb.338:                              ;   in Loop: Header=BB1_280 Depth=1
	s_mov_b32 s5, 0
.LBB1_339:                              ;   Parent Loop BB1_280 Depth=1
                                        ; =>  This Inner Loop Header: Depth=2
	s_sleep 1
	s_clause 0x1
	global_load_b64 v[22:23], v31, s[2:3] offset:40
	global_load_b64 v[34:35], v31, s[2:3]
	v_mov_b64_e32 v[24:25], v[6:7]
	s_wait_loadcnt 0x1
	s_delay_alu instid0(VALU_DEP_1) | instskip(NEXT) | instid1(VALU_DEP_2)
	v_and_b32_e32 v6, v22, v24
	v_and_b32_e32 v22, v23, v25
	s_wait_loadcnt 0x0
	s_delay_alu instid0(VALU_DEP_2) | instskip(NEXT) | instid1(VALU_DEP_1)
	v_mad_nc_u64_u32 v[6:7], v6, 24, v[34:35]
	v_mad_u32 v7, v22, 24, v7
	global_load_b64 v[22:23], v[6:7], off scope:SCOPE_SYS
	s_wait_xcnt 0x0
	s_wait_loadcnt 0x0
	global_atomic_cmpswap_b64 v[6:7], v31, v[22:25], s[2:3] offset:24 th:TH_ATOMIC_RETURN scope:SCOPE_SYS
	s_wait_loadcnt 0x0
	global_inv scope:SCOPE_SYS
	v_cmp_eq_u64_e32 vcc_lo, v[6:7], v[24:25]
	s_or_b32 s5, vcc_lo, s5
	s_wait_xcnt 0x0
	s_and_not1_b32 exec_lo, exec_lo, s5
	s_cbranch_execnz .LBB1_339
; %bb.340:                              ;   in Loop: Header=BB1_280 Depth=1
	s_or_b32 exec_lo, exec_lo, s5
.LBB1_341:                              ;   in Loop: Header=BB1_280 Depth=1
	s_delay_alu instid0(SALU_CYCLE_1)
	s_or_b32 exec_lo, exec_lo, s4
.LBB1_342:                              ;   in Loop: Header=BB1_280 Depth=1
	s_delay_alu instid0(SALU_CYCLE_1)
	s_or_b32 exec_lo, exec_lo, s1
	s_clause 0x1
	global_load_b64 v[34:35], v31, s[2:3] offset:40
	global_load_b128 v[22:25], v31, s[2:3]
	v_readfirstlane_b32 s4, v6
	v_readfirstlane_b32 s5, v7
	s_mov_b32 s1, exec_lo
	s_wait_loadcnt 0x1
	v_and_b32_e32 v36, s4, v34
	v_and_b32_e32 v37, s5, v35
	s_delay_alu instid0(VALU_DEP_1) | instskip(SKIP_1) | instid1(VALU_DEP_1)
	v_mul_u64_e32 v[6:7], 24, v[36:37]
	s_wait_loadcnt 0x0
	v_add_nc_u64_e32 v[34:35], v[22:23], v[6:7]
	s_wait_xcnt 0x0
	s_and_saveexec_b32 s11, s0
	s_cbranch_execz .LBB1_344
; %bb.343:                              ;   in Loop: Header=BB1_280 Depth=1
	v_dual_mov_b32 v6, s1 :: v_dual_mov_b32 v7, v31
	global_store_b128 v[34:35], v[6:9], off offset:8
.LBB1_344:                              ;   in Loop: Header=BB1_280 Depth=1
	s_wait_xcnt 0x0
	s_or_b32 exec_lo, exec_lo, s11
	v_cmp_gt_u64_e32 vcc_lo, 57, v[26:27]
	v_lshlrev_b64_e32 v[6:7], 12, v[36:37]
	v_and_b32_e32 v0, 0xffffff1f, v0
	v_lshl_add_u32 v36, v32, 2, 28
	v_cndmask_b32_e32 v29, 0, v28, vcc_lo
	s_delay_alu instid0(VALU_DEP_4) | instskip(NEXT) | instid1(VALU_DEP_2)
	v_add_nc_u64_e32 v[6:7], v[24:25], v[6:7]
	v_or_b32_e32 v0, v0, v29
	s_delay_alu instid0(VALU_DEP_2) | instskip(NEXT) | instid1(VALU_DEP_3)
	v_readfirstlane_b32 s12, v6
	v_readfirstlane_b32 s13, v7
	s_delay_alu instid0(VALU_DEP_3)
	v_and_or_b32 v0, 0x1e0, v36, v0
	s_clause 0x3
	global_store_b128 v30, v[0:3], s[12:13]
	global_store_b128 v30, v[10:13], s[12:13] offset:16
	global_store_b128 v30, v[14:17], s[12:13] offset:32
	;; [unrolled: 1-line block ×3, first 2 shown]
	s_wait_xcnt 0x0
	s_and_saveexec_b32 s1, s0
	s_cbranch_execz .LBB1_352
; %bb.345:                              ;   in Loop: Header=BB1_280 Depth=1
	s_clause 0x1
	global_load_b64 v[14:15], v31, s[2:3] offset:32 scope:SCOPE_SYS
	global_load_b64 v[0:1], v31, s[2:3] offset:40
	s_mov_b32 s11, exec_lo
	v_dual_mov_b32 v12, s4 :: v_dual_mov_b32 v13, s5
	s_wait_loadcnt 0x0
	v_and_b32_e32 v1, s5, v1
	v_and_b32_e32 v0, s4, v0
	s_delay_alu instid0(VALU_DEP_1) | instskip(NEXT) | instid1(VALU_DEP_1)
	v_mul_u64_e32 v[0:1], 24, v[0:1]
	v_add_nc_u64_e32 v[10:11], v[22:23], v[0:1]
	global_store_b64 v[10:11], v[14:15], off
	global_wb scope:SCOPE_SYS
	s_wait_storecnt 0x0
	s_wait_xcnt 0x0
	global_atomic_cmpswap_b64 v[2:3], v31, v[12:15], s[2:3] offset:32 th:TH_ATOMIC_RETURN scope:SCOPE_SYS
	s_wait_loadcnt 0x0
	v_cmpx_ne_u64_e64 v[2:3], v[14:15]
	s_cbranch_execz .LBB1_348
; %bb.346:                              ;   in Loop: Header=BB1_280 Depth=1
	s_mov_b32 s12, 0
.LBB1_347:                              ;   Parent Loop BB1_280 Depth=1
                                        ; =>  This Inner Loop Header: Depth=2
	v_dual_mov_b32 v0, s4 :: v_dual_mov_b32 v1, s5
	s_sleep 1
	global_store_b64 v[10:11], v[2:3], off
	global_wb scope:SCOPE_SYS
	s_wait_storecnt 0x0
	s_wait_xcnt 0x0
	global_atomic_cmpswap_b64 v[0:1], v31, v[0:3], s[2:3] offset:32 th:TH_ATOMIC_RETURN scope:SCOPE_SYS
	s_wait_loadcnt 0x0
	v_cmp_eq_u64_e32 vcc_lo, v[0:1], v[2:3]
	v_mov_b64_e32 v[2:3], v[0:1]
	s_or_b32 s12, vcc_lo, s12
	s_delay_alu instid0(SALU_CYCLE_1)
	s_and_not1_b32 exec_lo, exec_lo, s12
	s_cbranch_execnz .LBB1_347
.LBB1_348:                              ;   in Loop: Header=BB1_280 Depth=1
	s_or_b32 exec_lo, exec_lo, s11
	global_load_b64 v[0:1], v31, s[2:3] offset:16
	s_mov_b32 s12, exec_lo
	s_mov_b32 s11, exec_lo
	v_mbcnt_lo_u32_b32 v2, s12, 0
	s_wait_xcnt 0x0
	s_delay_alu instid0(VALU_DEP_1)
	v_cmpx_eq_u32_e32 0, v2
	s_cbranch_execz .LBB1_350
; %bb.349:                              ;   in Loop: Header=BB1_280 Depth=1
	s_bcnt1_i32_b32 s12, s12
	s_delay_alu instid0(SALU_CYCLE_1)
	v_dual_mov_b32 v3, v31 :: v_dual_mov_b32 v2, s12
	global_wb scope:SCOPE_SYS
	s_wait_loadcnt 0x0
	s_wait_storecnt 0x0
	global_atomic_add_u64 v[0:1], v[2:3], off offset:8 scope:SCOPE_SYS
.LBB1_350:                              ;   in Loop: Header=BB1_280 Depth=1
	s_wait_xcnt 0x0
	s_or_b32 exec_lo, exec_lo, s11
	s_wait_loadcnt 0x0
	global_load_b64 v[2:3], v[0:1], off offset:16
	s_wait_loadcnt 0x0
	v_cmp_eq_u64_e32 vcc_lo, 0, v[2:3]
	s_cbranch_vccnz .LBB1_352
; %bb.351:                              ;   in Loop: Header=BB1_280 Depth=1
	global_load_b32 v0, v[0:1], off offset:24
	s_wait_xcnt 0x0
	v_mov_b32_e32 v1, v31
	s_wait_loadcnt 0x0
	v_readfirstlane_b32 s11, v0
	global_wb scope:SCOPE_SYS
	s_wait_storecnt 0x0
	global_store_b64 v[2:3], v[0:1], off scope:SCOPE_SYS
	s_and_b32 m0, s11, 0xffffff
	s_sendmsg sendmsg(MSG_INTERRUPT)
.LBB1_352:                              ;   in Loop: Header=BB1_280 Depth=1
	s_wait_xcnt 0x0
	s_or_b32 exec_lo, exec_lo, s1
	v_add_nc_u64_e32 v[0:1], v[6:7], v[30:31]
	s_branch .LBB1_356
.LBB1_353:                              ;   in Loop: Header=BB1_356 Depth=2
	s_wait_xcnt 0x0
	s_or_b32 exec_lo, exec_lo, s1
	s_delay_alu instid0(VALU_DEP_1)
	v_readfirstlane_b32 s1, v2
	s_cmp_eq_u32 s1, 0
	s_cbranch_scc1 .LBB1_355
; %bb.354:                              ;   in Loop: Header=BB1_356 Depth=2
	s_sleep 1
	s_cbranch_execnz .LBB1_356
	s_branch .LBB1_358
.LBB1_355:                              ;   in Loop: Header=BB1_280 Depth=1
	s_branch .LBB1_358
.LBB1_356:                              ;   Parent Loop BB1_280 Depth=1
                                        ; =>  This Inner Loop Header: Depth=2
	v_mov_b32_e32 v2, 1
	s_and_saveexec_b32 s1, s0
	s_cbranch_execz .LBB1_353
; %bb.357:                              ;   in Loop: Header=BB1_356 Depth=2
	global_load_b32 v2, v[34:35], off offset:20 scope:SCOPE_SYS
	s_wait_loadcnt 0x0
	global_inv scope:SCOPE_SYS
	v_and_b32_e32 v2, 1, v2
	s_branch .LBB1_353
.LBB1_358:                              ;   in Loop: Header=BB1_280 Depth=1
	global_load_b64 v[0:1], v[0:1], off
	s_wait_xcnt 0x0
	s_and_saveexec_b32 s11, s0
	s_cbranch_execz .LBB1_279
; %bb.359:                              ;   in Loop: Header=BB1_280 Depth=1
	s_clause 0x2
	global_load_b64 v[2:3], v31, s[2:3] offset:40
	global_load_b64 v[14:15], v31, s[2:3] offset:24 scope:SCOPE_SYS
	global_load_b64 v[6:7], v31, s[2:3]
	s_wait_loadcnt 0x2
	v_readfirstlane_b32 s12, v2
	v_readfirstlane_b32 s13, v3
	s_add_nc_u64 s[0:1], s[12:13], 1
	s_delay_alu instid0(SALU_CYCLE_1) | instskip(NEXT) | instid1(SALU_CYCLE_1)
	s_add_nc_u64 s[4:5], s[0:1], s[4:5]
	s_cmp_eq_u64 s[4:5], 0
	s_cselect_b32 s1, s1, s5
	s_cselect_b32 s0, s0, s4
	s_delay_alu instid0(SALU_CYCLE_1) | instskip(SKIP_1) | instid1(SALU_CYCLE_1)
	v_dual_mov_b32 v13, s1 :: v_dual_mov_b32 v12, s0
	s_and_b64 s[4:5], s[0:1], s[12:13]
	s_mul_u64 s[4:5], s[4:5], 24
	s_wait_loadcnt 0x0
	v_add_nc_u64_e32 v[2:3], s[4:5], v[6:7]
	global_store_b64 v[2:3], v[14:15], off
	global_wb scope:SCOPE_SYS
	s_wait_storecnt 0x0
	s_wait_xcnt 0x0
	global_atomic_cmpswap_b64 v[12:13], v31, v[12:15], s[2:3] offset:24 th:TH_ATOMIC_RETURN scope:SCOPE_SYS
	s_wait_loadcnt 0x0
	v_cmp_ne_u64_e32 vcc_lo, v[12:13], v[14:15]
	s_and_b32 exec_lo, exec_lo, vcc_lo
	s_cbranch_execz .LBB1_279
; %bb.360:                              ;   in Loop: Header=BB1_280 Depth=1
	s_mov_b32 s4, 0
.LBB1_361:                              ;   Parent Loop BB1_280 Depth=1
                                        ; =>  This Inner Loop Header: Depth=2
	v_dual_mov_b32 v10, s0 :: v_dual_mov_b32 v11, s1
	s_sleep 1
	global_store_b64 v[2:3], v[12:13], off
	global_wb scope:SCOPE_SYS
	s_wait_storecnt 0x0
	s_wait_xcnt 0x0
	global_atomic_cmpswap_b64 v[6:7], v31, v[10:13], s[2:3] offset:24 th:TH_ATOMIC_RETURN scope:SCOPE_SYS
	s_wait_loadcnt 0x0
	v_cmp_eq_u64_e32 vcc_lo, v[6:7], v[12:13]
	v_mov_b64_e32 v[12:13], v[6:7]
	s_or_b32 s4, vcc_lo, s4
	s_delay_alu instid0(SALU_CYCLE_1)
	s_and_not1_b32 exec_lo, exec_lo, s4
	s_cbranch_execnz .LBB1_361
	s_branch .LBB1_279
.LBB1_362:
	s_or_b32 exec_lo, exec_lo, s7
                                        ; implicit-def: $vgpr30
                                        ; implicit-def: $vgpr48
.LBB1_363:
	s_and_not1_saveexec_b32 s6, s6
	s_cbranch_execz .LBB1_391
; %bb.364:
	v_readfirstlane_b32 s0, v48
	v_mov_b64_e32 v[2:3], 0
	s_delay_alu instid0(VALU_DEP_2)
	v_cmp_eq_u32_e64 s0, s0, v48
	s_and_saveexec_b32 s1, s0
	s_cbranch_execz .LBB1_370
; %bb.365:
	v_mov_b32_e32 v4, 0
	s_mov_b32 s4, exec_lo
	global_load_b64 v[8:9], v4, s[2:3] offset:24 scope:SCOPE_SYS
	s_wait_loadcnt 0x0
	global_inv scope:SCOPE_SYS
	s_clause 0x1
	global_load_b64 v[2:3], v4, s[2:3] offset:40
	global_load_b64 v[6:7], v4, s[2:3]
	s_wait_loadcnt 0x1
	v_and_b32_e32 v2, v2, v8
	v_and_b32_e32 v3, v3, v9
	s_delay_alu instid0(VALU_DEP_1) | instskip(SKIP_1) | instid1(VALU_DEP_1)
	v_mul_u64_e32 v[2:3], 24, v[2:3]
	s_wait_loadcnt 0x0
	v_add_nc_u64_e32 v[2:3], v[6:7], v[2:3]
	global_load_b64 v[6:7], v[2:3], off scope:SCOPE_SYS
	s_wait_xcnt 0x0
	s_wait_loadcnt 0x0
	global_atomic_cmpswap_b64 v[2:3], v4, v[6:9], s[2:3] offset:24 th:TH_ATOMIC_RETURN scope:SCOPE_SYS
	s_wait_loadcnt 0x0
	global_inv scope:SCOPE_SYS
	s_wait_xcnt 0x0
	v_cmpx_ne_u64_e64 v[2:3], v[8:9]
	s_cbranch_execz .LBB1_369
; %bb.366:
	s_mov_b32 s5, 0
.LBB1_367:                              ; =>This Inner Loop Header: Depth=1
	s_sleep 1
	s_clause 0x1
	global_load_b64 v[6:7], v4, s[2:3] offset:40
	global_load_b64 v[10:11], v4, s[2:3]
	v_mov_b64_e32 v[8:9], v[2:3]
	s_wait_loadcnt 0x1
	s_delay_alu instid0(VALU_DEP_1) | instskip(NEXT) | instid1(VALU_DEP_2)
	v_and_b32_e32 v2, v6, v8
	v_and_b32_e32 v5, v7, v9
	s_wait_loadcnt 0x0
	s_delay_alu instid0(VALU_DEP_2) | instskip(NEXT) | instid1(VALU_DEP_1)
	v_mad_nc_u64_u32 v[2:3], v2, 24, v[10:11]
	v_mad_u32 v3, v5, 24, v3
	global_load_b64 v[6:7], v[2:3], off scope:SCOPE_SYS
	s_wait_xcnt 0x0
	s_wait_loadcnt 0x0
	global_atomic_cmpswap_b64 v[2:3], v4, v[6:9], s[2:3] offset:24 th:TH_ATOMIC_RETURN scope:SCOPE_SYS
	s_wait_loadcnt 0x0
	global_inv scope:SCOPE_SYS
	v_cmp_eq_u64_e32 vcc_lo, v[2:3], v[8:9]
	s_or_b32 s5, vcc_lo, s5
	s_wait_xcnt 0x0
	s_and_not1_b32 exec_lo, exec_lo, s5
	s_cbranch_execnz .LBB1_367
; %bb.368:
	s_or_b32 exec_lo, exec_lo, s5
.LBB1_369:
	s_delay_alu instid0(SALU_CYCLE_1)
	s_or_b32 exec_lo, exec_lo, s4
.LBB1_370:
	s_delay_alu instid0(SALU_CYCLE_1)
	s_or_b32 exec_lo, exec_lo, s1
	v_readfirstlane_b32 s4, v2
	v_mov_b32_e32 v31, 0
	v_readfirstlane_b32 s5, v3
	s_mov_b32 s1, exec_lo
	s_clause 0x1
	global_load_b64 v[8:9], v31, s[2:3] offset:40
	global_load_b128 v[4:7], v31, s[2:3]
	s_wait_loadcnt 0x1
	v_and_b32_e32 v2, s4, v8
	v_and_b32_e32 v3, s5, v9
	s_delay_alu instid0(VALU_DEP_1) | instskip(SKIP_1) | instid1(VALU_DEP_1)
	v_mul_u64_e32 v[8:9], 24, v[2:3]
	s_wait_loadcnt 0x0
	v_add_nc_u64_e32 v[8:9], v[4:5], v[8:9]
	s_wait_xcnt 0x0
	s_and_saveexec_b32 s7, s0
	s_cbranch_execz .LBB1_372
; %bb.371:
	v_mov_b64_e32 v[12:13], 0x100000002
	v_dual_mov_b32 v10, s1 :: v_dual_mov_b32 v11, v31
	global_store_b128 v[8:9], v[10:13], off offset:8
.LBB1_372:
	s_wait_xcnt 0x0
	s_or_b32 exec_lo, exec_lo, s7
	v_lshlrev_b64_e32 v[2:3], 12, v[2:3]
	s_mov_b32 s12, 0
	v_and_or_b32 v0, 0xffffff1f, v0, 32
	s_mov_b32 s13, s12
	s_mov_b32 s14, s12
	;; [unrolled: 1-line block ×3, first 2 shown]
	v_mov_b64_e32 v[10:11], s[12:13]
	v_add_nc_u64_e32 v[6:7], v[6:7], v[2:3]
	v_mov_b64_e32 v[12:13], s[14:15]
	v_dual_mov_b32 v2, v31 :: v_dual_mov_b32 v3, v31
	s_delay_alu instid0(VALU_DEP_3) | instskip(NEXT) | instid1(VALU_DEP_4)
	v_readfirstlane_b32 s10, v6
	v_readfirstlane_b32 s11, v7
	s_clause 0x3
	global_store_b128 v30, v[0:3], s[10:11]
	global_store_b128 v30, v[10:13], s[10:11] offset:16
	global_store_b128 v30, v[10:13], s[10:11] offset:32
	global_store_b128 v30, v[10:13], s[10:11] offset:48
	s_wait_xcnt 0x0
	s_and_saveexec_b32 s1, s0
	s_cbranch_execz .LBB1_380
; %bb.373:
	v_dual_mov_b32 v10, 0 :: v_dual_mov_b32 v13, s5
	s_mov_b32 s7, exec_lo
	s_clause 0x1
	global_load_b64 v[14:15], v10, s[2:3] offset:32 scope:SCOPE_SYS
	global_load_b64 v[0:1], v10, s[2:3] offset:40
	s_wait_loadcnt 0x0
	v_dual_mov_b32 v12, s4 :: v_dual_bitop2_b32 v1, s5, v1 bitop3:0x40
	v_and_b32_e32 v0, s4, v0
	s_delay_alu instid0(VALU_DEP_1) | instskip(NEXT) | instid1(VALU_DEP_1)
	v_mul_u64_e32 v[0:1], 24, v[0:1]
	v_add_nc_u64_e32 v[4:5], v[4:5], v[0:1]
	global_store_b64 v[4:5], v[14:15], off
	global_wb scope:SCOPE_SYS
	s_wait_storecnt 0x0
	s_wait_xcnt 0x0
	global_atomic_cmpswap_b64 v[2:3], v10, v[12:15], s[2:3] offset:32 th:TH_ATOMIC_RETURN scope:SCOPE_SYS
	s_wait_loadcnt 0x0
	v_cmpx_ne_u64_e64 v[2:3], v[14:15]
	s_cbranch_execz .LBB1_376
; %bb.374:
	s_mov_b32 s10, 0
.LBB1_375:                              ; =>This Inner Loop Header: Depth=1
	v_dual_mov_b32 v0, s4 :: v_dual_mov_b32 v1, s5
	s_sleep 1
	global_store_b64 v[4:5], v[2:3], off
	global_wb scope:SCOPE_SYS
	s_wait_storecnt 0x0
	s_wait_xcnt 0x0
	global_atomic_cmpswap_b64 v[0:1], v10, v[0:3], s[2:3] offset:32 th:TH_ATOMIC_RETURN scope:SCOPE_SYS
	s_wait_loadcnt 0x0
	v_cmp_eq_u64_e32 vcc_lo, v[0:1], v[2:3]
	v_mov_b64_e32 v[2:3], v[0:1]
	s_or_b32 s10, vcc_lo, s10
	s_delay_alu instid0(SALU_CYCLE_1)
	s_and_not1_b32 exec_lo, exec_lo, s10
	s_cbranch_execnz .LBB1_375
.LBB1_376:
	s_or_b32 exec_lo, exec_lo, s7
	v_mov_b32_e32 v3, 0
	s_mov_b32 s10, exec_lo
	s_mov_b32 s7, exec_lo
	v_mbcnt_lo_u32_b32 v2, s10, 0
	global_load_b64 v[0:1], v3, s[2:3] offset:16
	s_wait_xcnt 0x0
	v_cmpx_eq_u32_e32 0, v2
	s_cbranch_execz .LBB1_378
; %bb.377:
	s_bcnt1_i32_b32 s10, s10
	s_delay_alu instid0(SALU_CYCLE_1)
	v_mov_b32_e32 v2, s10
	global_wb scope:SCOPE_SYS
	s_wait_loadcnt 0x0
	s_wait_storecnt 0x0
	global_atomic_add_u64 v[0:1], v[2:3], off offset:8 scope:SCOPE_SYS
.LBB1_378:
	s_wait_xcnt 0x0
	s_or_b32 exec_lo, exec_lo, s7
	s_wait_loadcnt 0x0
	global_load_b64 v[2:3], v[0:1], off offset:16
	s_wait_loadcnt 0x0
	v_cmp_eq_u64_e32 vcc_lo, 0, v[2:3]
	s_cbranch_vccnz .LBB1_380
; %bb.379:
	global_load_b32 v0, v[0:1], off offset:24
	s_wait_xcnt 0x0
	v_mov_b32_e32 v1, 0
	s_wait_loadcnt 0x0
	v_readfirstlane_b32 s7, v0
	global_wb scope:SCOPE_SYS
	s_wait_storecnt 0x0
	global_store_b64 v[2:3], v[0:1], off scope:SCOPE_SYS
	s_and_b32 m0, s7, 0xffffff
	s_sendmsg sendmsg(MSG_INTERRUPT)
.LBB1_380:
	s_wait_xcnt 0x0
	s_or_b32 exec_lo, exec_lo, s1
	v_add_nc_u64_e32 v[0:1], v[6:7], v[30:31]
	s_branch .LBB1_384
.LBB1_381:                              ;   in Loop: Header=BB1_384 Depth=1
	s_wait_xcnt 0x0
	s_or_b32 exec_lo, exec_lo, s1
	s_delay_alu instid0(VALU_DEP_1)
	v_readfirstlane_b32 s1, v2
	s_cmp_eq_u32 s1, 0
	s_cbranch_scc1 .LBB1_383
; %bb.382:                              ;   in Loop: Header=BB1_384 Depth=1
	s_sleep 1
	s_cbranch_execnz .LBB1_384
	s_branch .LBB1_386
.LBB1_383:
	s_branch .LBB1_386
.LBB1_384:                              ; =>This Inner Loop Header: Depth=1
	v_mov_b32_e32 v2, 1
	s_and_saveexec_b32 s1, s0
	s_cbranch_execz .LBB1_381
; %bb.385:                              ;   in Loop: Header=BB1_384 Depth=1
	global_load_b32 v2, v[8:9], off offset:20 scope:SCOPE_SYS
	s_wait_loadcnt 0x0
	global_inv scope:SCOPE_SYS
	v_and_b32_e32 v2, 1, v2
	s_branch .LBB1_381
.LBB1_386:
	global_load_b64 v[0:1], v[0:1], off
	s_wait_xcnt 0x0
	s_and_saveexec_b32 s7, s0
	s_cbranch_execz .LBB1_390
; %bb.387:
	v_mov_b32_e32 v8, 0
	s_clause 0x2
	global_load_b64 v[2:3], v8, s[2:3] offset:40
	global_load_b64 v[12:13], v8, s[2:3] offset:24 scope:SCOPE_SYS
	global_load_b64 v[4:5], v8, s[2:3]
	s_wait_loadcnt 0x2
	v_readfirstlane_b32 s10, v2
	v_readfirstlane_b32 s11, v3
	s_add_nc_u64 s[0:1], s[10:11], 1
	s_delay_alu instid0(SALU_CYCLE_1) | instskip(NEXT) | instid1(SALU_CYCLE_1)
	s_add_nc_u64 s[4:5], s[0:1], s[4:5]
	s_cmp_eq_u64 s[4:5], 0
	s_cselect_b32 s1, s1, s5
	s_cselect_b32 s0, s0, s4
	v_mov_b32_e32 v11, s1
	s_and_b64 s[4:5], s[0:1], s[10:11]
	v_mov_b32_e32 v10, s0
	s_mul_u64 s[4:5], s[4:5], 24
	s_wait_loadcnt 0x0
	v_add_nc_u64_e32 v[6:7], s[4:5], v[4:5]
	global_store_b64 v[6:7], v[12:13], off
	global_wb scope:SCOPE_SYS
	s_wait_storecnt 0x0
	s_wait_xcnt 0x0
	global_atomic_cmpswap_b64 v[4:5], v8, v[10:13], s[2:3] offset:24 th:TH_ATOMIC_RETURN scope:SCOPE_SYS
	s_wait_loadcnt 0x0
	v_cmp_ne_u64_e32 vcc_lo, v[4:5], v[12:13]
	s_and_b32 exec_lo, exec_lo, vcc_lo
	s_cbranch_execz .LBB1_390
; %bb.388:
	s_mov_b32 s4, 0
.LBB1_389:                              ; =>This Inner Loop Header: Depth=1
	v_dual_mov_b32 v2, s0 :: v_dual_mov_b32 v3, s1
	s_sleep 1
	global_store_b64 v[6:7], v[4:5], off
	global_wb scope:SCOPE_SYS
	s_wait_storecnt 0x0
	s_wait_xcnt 0x0
	global_atomic_cmpswap_b64 v[2:3], v8, v[2:5], s[2:3] offset:24 th:TH_ATOMIC_RETURN scope:SCOPE_SYS
	s_wait_loadcnt 0x0
	v_cmp_eq_u64_e32 vcc_lo, v[2:3], v[4:5]
	v_mov_b64_e32 v[4:5], v[2:3]
	s_or_b32 s4, vcc_lo, s4
	s_delay_alu instid0(SALU_CYCLE_1)
	s_and_not1_b32 exec_lo, exec_lo, s4
	s_cbranch_execnz .LBB1_389
.LBB1_390:
	s_or_b32 exec_lo, exec_lo, s7
.LBB1_391:
	s_delay_alu instid0(SALU_CYCLE_1)
	s_or_b32 exec_lo, exec_lo, s6
	s_get_pc_i64 s[0:1]
	s_add_nc_u64 s[0:1], s[0:1], .str.3@rel64+4
	s_get_pc_i64 s[2:3]
	s_add_nc_u64 s[2:3], s[2:3], .str.3@rel64+32
	v_dual_mov_b32 v2, s0 :: v_dual_mov_b32 v3, s1
	s_sub_co_i32 s4, s2, s0
	v_mov_b32_e32 v6, 1
	s_ashr_i32 s5, s4, 31
	s_delay_alu instid0(SALU_CYCLE_1) | instskip(SKIP_2) | instid1(SALU_CYCLE_1)
	v_dual_mov_b32 v4, s4 :: v_dual_mov_b32 v5, s5
	s_get_pc_i64 s[2:3]
	s_add_nc_u64 s[2:3], s[2:3], __ockl_fprintf_append_string_n@rel64+4
	s_swap_pc_i64 s[30:31], s[2:3]
	s_trap 2
.Lfunc_end1:
	.size	__assert_fail, .Lfunc_end1-__assert_fail
                                        ; -- End function
	.set .L__assert_fail.num_vgpr, max(49, .L__ockl_fprintf_append_string_n.num_vgpr)
	.set .L__assert_fail.num_agpr, max(0, .L__ockl_fprintf_append_string_n.num_agpr)
	.set .L__assert_fail.numbered_sgpr, max(34, .L__ockl_fprintf_append_string_n.numbered_sgpr)
	.set .L__assert_fail.num_named_barrier, max(0, .L__ockl_fprintf_append_string_n.num_named_barrier)
	.set .L__assert_fail.private_seg_size, 64+max(.L__ockl_fprintf_append_string_n.private_seg_size)
	.set .L__assert_fail.uses_vcc, or(1, .L__ockl_fprintf_append_string_n.uses_vcc)
	.set .L__assert_fail.uses_flat_scratch, or(1, .L__ockl_fprintf_append_string_n.uses_flat_scratch)
	.set .L__assert_fail.has_dyn_sized_stack, or(0, .L__ockl_fprintf_append_string_n.has_dyn_sized_stack)
	.set .L__assert_fail.has_recursion, or(0, .L__ockl_fprintf_append_string_n.has_recursion)
	.set .L__assert_fail.has_indirect_call, or(0, .L__ockl_fprintf_append_string_n.has_indirect_call)
	.section	.AMDGPU.csdata,"",@progbits
; Function info:
; codeLenInByte = 15740
; TotalNumSgprs: 36
; NumVgprs: 49
; ScratchSize: 64
; MemoryBound: 0
	.text
	.p2align	2                               ; -- Begin function _ZN12_GLOBAL__N_17runRingI12hip_bfloat1613FuncPreMulSumIS1_E11ProtoSimpleILi2ELi2ELi0ELi1ELi0ELi0EELi0ELi0ELi1ELi0EEEviiP15ncclDevWorkColl
	.type	_ZN12_GLOBAL__N_17runRingI12hip_bfloat1613FuncPreMulSumIS1_E11ProtoSimpleILi2ELi2ELi0ELi1ELi0ELi0EELi0ELi0ELi1ELi0EEEviiP15ncclDevWorkColl,@function
_ZN12_GLOBAL__N_17runRingI12hip_bfloat1613FuncPreMulSumIS1_E11ProtoSimpleILi2ELi2ELi0ELi1ELi0ELi0EELi0ELi0ELi1ELi0EEEviiP15ncclDevWorkColl: ; @_ZN12_GLOBAL__N_17runRingI12hip_bfloat1613FuncPreMulSumIS1_E11ProtoSimpleILi2ELi2ELi0ELi1ELi0ELi0EELi0ELi0ELi1ELi0EEEviiP15ncclDevWorkColl
; %bb.0:
	s_wait_loadcnt_dscnt 0x0
	s_wait_kmcnt 0x0
	s_mov_b32 s79, s33
	s_mov_b32 s33, s32
	s_or_saveexec_b32 s0, -1
	scratch_store_b32 off, v104, s33 offset:128 ; 4-byte Folded Spill
	s_wait_xcnt 0x0
	s_mov_b32 exec_lo, s0
	s_addk_co_i32 s32, 0x90
	s_clause 0x1f
	scratch_store_b32 off, v40, s33 offset:124
	; meta instruction
	scratch_store_b32 off, v41, s33 offset:120
	; meta instruction
	;; [unrolled: 2-line block ×31, first 2 shown]
	scratch_store_b32 off, v95, s33
	v_writelane_b32 v104, s30, 0
	v_writelane_b32 v104, s31, 1
	s_trap 2
	flat_load_b32 v7, v[2:3]
	ds_load_b32 v6, v0
	s_mov_b32 s0, exec_lo
                                        ; implicit-def: $vgpr32_vgpr33
                                        ; implicit-def: $vgpr14_vgpr15
                                        ; implicit-def: $vgpr4_vgpr5
	s_wait_dscnt 0x0
	v_readfirstlane_b32 s16, v6
	s_wait_loadcnt 0x0
	v_and_b32_e32 v8, 0xff, v7
	s_wait_xcnt 0x0
	s_delay_alu instid0(VALU_DEP_1)
	v_cmpx_ne_u32_e64 v6, v8
	s_xor_b32 s0, exec_lo, s0
	s_cbranch_execz .LBB2_6
; %bb.1:
	v_bfe_u32 v9, v7, 8, 8
	v_not_b32_e32 v8, v8
	s_mov_b32 s1, exec_lo
                                        ; implicit-def: $vgpr32_vgpr33
                                        ; implicit-def: $vgpr14_vgpr15
                                        ; implicit-def: $vgpr4_vgpr5
	s_delay_alu instid0(VALU_DEP_2)
	v_cmpx_ne_u32_e64 v6, v9
	s_xor_b32 s1, exec_lo, s1
	s_cbranch_execz .LBB2_3
; %bb.2:
	s_clause 0x1
	flat_load_b128 v[10:13], v[2:3] offset:72
	flat_load_b64 v[4:5], v[2:3] offset:96
	v_add_nc_u32_e32 v6, v6, v8
                                        ; implicit-def: $vgpr9
                                        ; implicit-def: $vgpr8
	s_wait_loadcnt_dscnt 0x101
	s_delay_alu instid0(VALU_DEP_1) | instskip(SKIP_3) | instid1(VALU_DEP_3)
	v_mad_nc_u64_u32 v[14:15], v12, v6, v[10:11]
	s_wait_loadcnt_dscnt 0x0
	v_lshrrev_b64 v[32:33], 13, v[4:5]
	v_mov_b64_e32 v[4:5], v[12:13]
	v_mad_u32 v7, v13, v6, v15
	v_ashrrev_i32_e32 v6, 31, v6
	s_delay_alu instid0(VALU_DEP_1)
	v_mad_u32 v15, v12, v6, v7
.LBB2_3:
	s_wait_xcnt 0x0
	s_and_not1_saveexec_b32 s1, s1
	s_cbranch_execz .LBB2_5
; %bb.4:
	s_clause 0x1
	flat_load_b128 v[10:13], v[2:3] offset:72
	flat_load_b128 v[4:7], v[2:3] offset:88
	s_wait_loadcnt_dscnt 0x0
	v_dual_add_nc_u32 v6, v9, v8 :: v_dual_lshrrev_b32 v32, 2, v7
	s_delay_alu instid0(VALU_DEP_1) | instskip(NEXT) | instid1(VALU_DEP_1)
	v_mad_nc_u64_u32 v[14:15], v12, v6, v[10:11]
	v_mad_u32 v8, v13, v6, v15
	v_ashrrev_i32_e32 v6, 31, v6
	s_delay_alu instid0(VALU_DEP_1)
	v_mad_u32 v15, v12, v6, v8
.LBB2_5:
	s_wait_xcnt 0x0
	s_or_b32 exec_lo, exec_lo, s1
.LBB2_6:
	s_and_not1_saveexec_b32 s0, s0
	s_cbranch_execz .LBB2_8
; %bb.7:
	s_clause 0x1
	flat_load_b64 v[6:7], v[2:3] offset:96
	flat_load_b64 v[4:5], v[2:3] offset:72
	v_mov_b64_e32 v[14:15], 0
	s_wait_loadcnt_dscnt 0x101
	v_lshlrev_b64_e32 v[32:33], 8, v[6:7]
.LBB2_8:
	s_wait_xcnt 0x0
	s_or_b32 exec_lo, exec_lo, s0
	s_trap 2
	ds_load_b64 v[6:7], v0
	s_mov_b32 s1, 0
	s_mov_b32 s2, exec_lo
	s_wait_dscnt 0x0
	v_cmp_ne_u32_e32 vcc_lo, -1, v6
	v_cndmask_b32_e64 v37, 0, 1, vcc_lo
	v_cmp_ne_u32_e32 vcc_lo, -1, v7
	s_delay_alu instid0(VALU_DEP_2) | instskip(NEXT) | instid1(VALU_DEP_1)
	v_add_co_ci_u32_e64 v8, null, 0, v37, vcc_lo
	v_lshlrev_b32_e32 v6, 1, v8
	s_delay_alu instid0(VALU_DEP_1)
	v_cmpx_le_u32_e64 v6, v1
	s_xor_b32 s42, exec_lo, s2
	s_cbranch_execz .LBB2_1868
; %bb.9:
	s_clause 0x3
	flat_load_b128 v[10:13], v[2:3] offset:16
	flat_load_b64 v[34:35], v[2:3] offset:104
	flat_load_u16 v7, v[2:3] offset:8
	flat_load_b32 v6, v[2:3] offset:4
	s_trap 2
	s_load_b32 s0, s[8:9], 0x0
	s_bfe_u32 s2, ttmp6, 0x4000c
	s_and_b32 s3, ttmp6, 15
	s_add_co_i32 s2, s2, 1
	s_getreg_b32 s4, hwreg(HW_REG_IB_STS2, 6, 4)
	s_mul_i32 s2, ttmp9, s2
	v_dual_mov_b32 v9, 0 :: v_dual_mov_b32 v30, 4
	s_add_co_i32 s3, s3, s2
	s_cmp_eq_u32 s4, 0
	s_cselect_b32 s2, ttmp9, s3
	s_wait_kmcnt 0x0
	s_cmp_lt_u32 s2, s0
	s_cselect_b32 s0, 12, 18
	s_delay_alu instid0(SALU_CYCLE_1)
	s_add_nc_u64 s[0:1], s[8:9], s[0:1]
	global_load_u16 v23, v9, s[0:1]
	s_wait_xcnt 0x0
	ds_load_b32 v9, v0
	s_mov_b32 s1, exec_lo
	s_wait_dscnt 0x0
	v_readfirstlane_b32 s6, v9
	v_cmpx_ge_u32_e64 v0, v37
	s_cbranch_execz .LBB2_19
; %bb.10:
	v_cmp_ge_u32_e64 s0, v0, v8
                                        ; implicit-def: $vgpr30
	s_and_saveexec_b32 s2, s0
	s_delay_alu instid0(SALU_CYCLE_1)
	s_xor_b32 s0, exec_lo, s2
	s_cbranch_execz .LBB2_16
; %bb.11:
	v_cndmask_b32_e64 v9, 0, 1, vcc_lo
	s_mov_b32 s2, exec_lo
	s_delay_alu instid0(VALU_DEP_1) | instskip(NEXT) | instid1(VALU_DEP_1)
	v_sub_nc_u32_e32 v9, v1, v9
	v_cmpx_ge_u32_e64 v0, v9
	s_xor_b32 s2, exec_lo, s2
; %bb.12:
                                        ; implicit-def: $vgpr8
; %bb.13:
	s_delay_alu instid0(SALU_CYCLE_1)
	s_or_saveexec_b32 s2, s2
	v_mov_b32_e32 v30, 16
	s_xor_b32 exec_lo, exec_lo, s2
; %bb.14:
	v_sub_nc_u32_e32 v8, v1, v8
	s_delay_alu instid0(VALU_DEP_1)
	v_cmp_lt_i32_e32 vcc_lo, v0, v8
	v_cndmask_b32_e64 v30, 32, 0, vcc_lo
; %bb.15:
	s_or_b32 exec_lo, exec_lo, s2
.LBB2_16:
	s_and_not1_saveexec_b32 s0, s0
; %bb.17:
	v_mov_b32_e32 v30, 8
; %bb.18:
	s_or_b32 exec_lo, exec_lo, s0
.LBB2_19:
	s_delay_alu instid0(SALU_CYCLE_1) | instskip(NEXT) | instid1(VALU_DEP_1)
	s_or_b32 exec_lo, exec_lo, s1
	v_dual_mov_b32 v33, -1 :: v_dual_bitop2_b32 v8, 36, v30 bitop3:0x40
	s_delay_alu instid0(VALU_DEP_1)
	v_cmp_ne_u32_e32 vcc_lo, 0, v8
	s_and_saveexec_b32 s0, vcc_lo
	s_cbranch_execz .LBB2_21
; %bb.20:
	s_trap 2
	ds_load_b32 v33, v0
.LBB2_21:
	s_or_b32 exec_lo, exec_lo, s0
	v_and_b32_e32 v8, 24, v30
	s_mov_b32 s1, exec_lo
	s_delay_alu instid0(VALU_DEP_1)
	v_cmpx_ne_u32_e32 0, v8
	s_cbranch_execz .LBB2_23
; %bb.22:
	s_trap 2
	s_wait_dscnt 0x0
	ds_load_b32 v33, v0
.LBB2_23:
	s_or_b32 exec_lo, exec_lo, s1
	s_wait_loadcnt 0x1
	v_lshrrev_b64 v[6:7], 31, v[6:7]
	v_mov_b64_e32 v[18:19], 0
                                        ; implicit-def: $vgpr16_vgpr17
                                        ; implicit-def: $vgpr22
                                        ; implicit-def: $vgpr86_vgpr87
                                        ; implicit-def: $vgpr24_vgpr25
                                        ; implicit-def: $vgpr28_vgpr29
                                        ; implicit-def: $vgpr20_vgpr21
	s_delay_alu instid0(VALU_DEP_2) | instskip(SKIP_1) | instid1(VALU_DEP_2)
	v_and_b32_e32 v8, 3, v6
	v_mov_b64_e32 v[6:7], 0
	v_and_b32_e32 v36, 0xffff, v8
	s_and_saveexec_b32 s0, vcc_lo
	s_cbranch_execz .LBB2_33
; %bb.24:
	s_trap 2
	ds_load_b64 v[6:7], v0
	s_mov_b32 s1, exec_lo
                                        ; implicit-def: $vgpr16_vgpr17
	s_wait_dscnt 0x0
	v_readfirstlane_b32 s2, v6
	v_readfirstlane_b32 s3, v7
	flat_load_b64 v[6:7], v33, s[2:3] scale_offset
	s_wait_loadcnt_dscnt 0x0
	v_mad_nc_u64_u32 v[8:9], 0xa8, v36, v[6:7]
	flat_load_b32 v6, v[8:9] offset:640
	s_wait_loadcnt_dscnt 0x0
	v_cmpx_eq_u32_e32 1, v6
	s_cbranch_execz .LBB2_26
; %bb.25:
	flat_load_b64 v[16:17], v[8:9] offset:648
	v_or_b32_e32 v30, 0x2000, v30
	s_wait_loadcnt_dscnt 0x0
	flat_load_b64 v[6:7], v[16:17]
	s_trap 2
	s_wait_loadcnt_dscnt 0x0
	ds_store_b64 v0, v[6:7]
	flat_load_b64 v[6:7], v[16:17] offset:8
	s_wait_loadcnt_dscnt 0x0
	ds_store_b64 v0, v[6:7]
	flat_load_b64 v[6:7], v[16:17] offset:16
	s_wait_loadcnt_dscnt 0x0
	ds_store_b64 v0, v[6:7]
.LBB2_26:
	s_wait_xcnt 0x0
	s_or_b32 exec_lo, exec_lo, s1
	flat_load_b64 v[6:7], v[8:9] offset:608
	s_mov_b32 s1, exec_lo
                                        ; implicit-def: $vgpr20_vgpr21
	s_wait_loadcnt_dscnt 0x0
	v_add_nc_u64_e32 v[86:87], 3, v[6:7]
	v_and_b32_e32 v6, 32, v30
	s_delay_alu instid0(VALU_DEP_2) | instskip(SKIP_1) | instid1(VALU_DEP_2)
	v_and_b32_e32 v86, -4, v86
	s_wait_xcnt 0x0
	v_cmpx_ne_u32_e32 0, v6
	s_cbranch_execz .LBB2_28
; %bb.27:
	flat_load_b64 v[20:21], v[8:9] offset:560
	global_wb scope:SCOPE_SYS
	s_wait_storecnt 0x0
	s_wait_xcnt 0x0
	s_wait_loadcnt_dscnt 0x0
	flat_store_b64 v[20:21], v[86:87] scope:SCOPE_SYS
.LBB2_28:
	s_wait_xcnt 0x0
	s_or_b32 exec_lo, exec_lo, s1
	v_and_b32_e32 v22, 4, v30
	v_add_nc_u64_e32 v[18:19], 0x1f8, v[8:9]
	v_mov_b64_e32 v[6:7], 0
                                        ; implicit-def: $vgpr24_vgpr25
                                        ; implicit-def: $vgpr28_vgpr29
	s_delay_alu instid0(VALU_DEP_3)
	v_cmp_ne_u32_e32 vcc_lo, 0, v22
                                        ; implicit-def: $vgpr22
	s_and_saveexec_b32 s1, vcc_lo
	s_cbranch_execz .LBB2_32
; %bb.29:
	v_and_b32_e32 v6, 0x800, v30
	s_mov_b32 s2, exec_lo
	s_delay_alu instid0(VALU_DEP_1)
	v_cmpx_eq_u32_e32 0, v6
	s_cbranch_execz .LBB2_31
; %bb.30:
	s_trap 2
	ds_store_b64 v0, v[18:19]
.LBB2_31:
	s_or_b32 exec_lo, exec_lo, s2
	flat_load_b64 v[20:21], v[8:9] offset:552
	s_wait_loadcnt_dscnt 0x0
	flat_load_b64 v[28:29], v[20:21] scope:SCOPE_SYS
	s_clause 0x2
	flat_load_b32 v22, v[8:9] offset:576
	flat_load_b64 v[6:7], v[8:9] offset:600
	flat_load_b64 v[24:25], v[8:9] offset:520
	s_wait_xcnt 0x0
	v_or_b32_e32 v8, 0x100, v30
	s_wait_loadcnt_dscnt 0x202
	v_ashrrev_i32_e32 v22, 1, v22
	s_wait_loadcnt_dscnt 0x101
	v_cmp_eq_u64_e32 vcc_lo, 0, v[6:7]
	v_cndmask_b32_e32 v30, v8, v30, vcc_lo
.LBB2_32:
	s_or_b32 exec_lo, exec_lo, s1
.LBB2_33:
	s_delay_alu instid0(SALU_CYCLE_1) | instskip(NEXT) | instid1(VALU_DEP_1)
	s_or_b32 exec_lo, exec_lo, s0
	v_and_b32_e32 v8, 24, v30
	s_mov_b32 s0, exec_lo
                                        ; implicit-def: $vgpr26_vgpr27
	s_delay_alu instid0(VALU_DEP_1)
	v_cmpx_ne_u32_e32 0, v8
	s_cbranch_execz .LBB2_41
; %bb.34:
	s_trap 2
	ds_load_b64 v[6:7], v0
	v_or_b32_e32 v26, 0x100, v30
	s_wait_dscnt 0x0
	v_readfirstlane_b32 s2, v6
	v_readfirstlane_b32 s3, v7
	flat_load_b64 v[6:7], v33, s[2:3] scale_offset
	s_wait_loadcnt_dscnt 0x0
	v_mad_nc_u64_u32 v[18:19], 0xa8, v36, v[6:7]
	flat_load_b128 v[6:9], v[18:19] offset:96
	s_wait_loadcnt_dscnt 0x0
	v_cmp_eq_u64_e32 vcc_lo, 0, v[6:7]
	v_cndmask_b32_e32 v30, v26, v30, vcc_lo
	s_delay_alu instid0(VALU_DEP_1) | instskip(NEXT) | instid1(VALU_DEP_1)
	v_and_b32_e32 v26, 16, v30
	v_cmp_ne_u32_e32 vcc_lo, 0, v26
                                        ; implicit-def: $vgpr26_vgpr27
	s_wait_xcnt 0x0
	s_and_saveexec_b32 s1, vcc_lo
	s_cbranch_execz .LBB2_36
; %bb.35:
	s_clause 0x2
	flat_load_b64 v[20:21], v[18:19] offset:48
	flat_load_b64 v[26:27], v[18:19] offset:120
	;; [unrolled: 1-line block ×3, first 2 shown]
.LBB2_36:
	s_wait_xcnt 0x0
	s_or_b32 exec_lo, exec_lo, s1
	v_add_nc_u64_e32 v[86:87], 3, v[8:9]
	v_and_b32_e32 v8, 8, v30
	s_mov_b32 s1, exec_lo
	s_delay_alu instid0(VALU_DEP_2) | instskip(NEXT) | instid1(VALU_DEP_2)
	v_and_b32_e32 v86, -4, v86
	v_cmpx_ne_u32_e32 0, v8
	s_cbranch_execz .LBB2_40
; %bb.37:
	v_and_b32_e32 v8, 0x800, v30
	s_mov_b32 s2, exec_lo
	s_delay_alu instid0(VALU_DEP_1)
	v_cmpx_eq_u32_e32 0, v8
	s_cbranch_execz .LBB2_39
; %bb.38:
	s_trap 2
	ds_store_b64 v0, v[18:19]
.LBB2_39:
	s_or_b32 exec_lo, exec_lo, s2
	s_wait_loadcnt_dscnt 0x202
	flat_load_b64 v[20:21], v[18:19] offset:56
	s_wait_loadcnt_dscnt 0x0
	flat_load_b64 v[28:29], v[20:21] scope:SCOPE_SYS
	s_clause 0x1
	flat_load_b32 v8, v[18:19] offset:72
	flat_load_b64 v[24:25], v[18:19] offset:16
	s_wait_loadcnt_dscnt 0x101
	v_ashrrev_i32_e32 v22, 1, v8
.LBB2_40:
	s_wait_xcnt 0x0
	s_or_b32 exec_lo, exec_lo, s1
.LBB2_41:
	s_delay_alu instid0(SALU_CYCLE_1)
	s_or_b32 exec_lo, exec_lo, s0
	v_cmp_eq_u32_e64 s0, 0, v0
	s_and_saveexec_b32 s1, s0
	s_cbranch_execz .LBB2_43
; %bb.42:
	flat_load_b64 v[8:9], v[2:3] offset:32
	ds_store_2addr_b64 v0, v[12:13], v[10:11] offset1:1
	s_trap 2
	s_wait_loadcnt_dscnt 0x1
	ds_store_b64 v0, v[8:9]
	ds_store_b64 v0, v[34:35]
.LBB2_43:
	s_wait_xcnt 0x0
	s_or_b32 exec_lo, exec_lo, s1
	v_mov_b64_e32 v[12:13], 0
	s_wait_loadcnt 0x0
	v_and_b32_e32 v56, 0xffff, v23
	s_mov_b32 s43, exec_lo
	v_cmpx_lt_i64_e32 0, v[4:5]
	s_cbranch_execz .LBB2_1834
; %bb.44:
	flat_load_b32 v8, v[2:3] offset:4
	s_wait_xcnt 0x0
	v_and_b32_e32 v2, 0x1fffff00, v32
	v_dual_mov_b32 v3, 0 :: v_dual_bitop2_b32 v9, 31, v31 bitop3:0x40
	s_ashr_i32 s17, s16, 31
	v_dual_lshlrev_b32 v10, 1, v1 :: v_dual_lshlrev_b32 v36, 4, v0
	s_delay_alu instid0(VALU_DEP_2)
	v_mul_u64_e32 v[48:49], s[16:17], v[2:3]
	s_ashr_i32 s7, s6, 31
	v_dual_ashrrev_i32 v23, 31, v22 :: v_dual_lshrrev_b32 v32, 5, v1
	s_lshr_b32 s7, s7, 29
	v_and_b32_e32 v64, 0x3fc0, v10
	s_add_co_i32 s13, s6, s7
	s_add_co_i32 s44, s16, s16
	s_not_b32 s12, s16
	v_dual_mov_b32 v51, v3 :: v_dual_lshlrev_b32 v52, 9, v32
	s_ashr_i32 s14, s13, 4
	s_cmp_gt_i32 s16, 0
	v_mov_b64_e32 v[84:85], v[2:3]
	s_cselect_b32 s12, s12, -1
	s_ashr_i32 s13, s13, 31
	v_subrev_nc_u32_e32 v70, 64, v64
	v_add_nc_u32_e32 v68, 0xfffffe00, v52
	s_lshr_b32 s13, s13, 28
	v_dual_lshrrev_b32 v58, 5, v0 :: v_dual_bitop2_b32 v57, 31, v0 bitop3:0x40
	s_add_co_i32 s24, s12, s44
	s_add_co_i32 s14, s14, s13
	s_ashr_i32 s25, s24, 31
	s_ashr_i32 s45, s14, 4
	v_ashrrev_i32_e32 v69, 31, v68
	s_cmp_gt_i32 s16, 2
	v_cmp_eq_u32_e64 s6, 0, v9
	s_wait_dscnt 0x1
	v_dual_mov_b32 v33, v3 :: v_dual_lshlrev_b32 v9, 4, v57
	s_cselect_b32 s46, -1, 0
	s_add_co_i32 s13, s16, 1
	v_cmp_ge_u32_e32 vcc_lo, v0, v1
	v_mov_b64_e32 v[34:35], 0
	v_cmp_eq_u64_e64 s4, 0, v[26:27]
	v_cmp_ne_u64_e64 s5, 0, v[26:27]
	v_mov_b64_e32 v[38:39], 0
	v_mov_b64_e32 v[12:13], 0
	v_add_nc_u64_e32 v[80:81], 0x200, v[68:69]
	v_cmp_eq_u32_e64 s1, 32, v1
	v_cmp_ne_u32_e64 s2, 32, v1
	v_cmp_ne_u32_e64 s3, v1, v56
	v_dual_mov_b32 v59, 1 :: v_dual_mov_b32 v60, 0x90
	v_dual_mov_b32 v61, 0x88 :: v_dual_lshlrev_b32 v50, 10, v32
	v_cmp_eq_u32_e64 s7, 0, v57
	v_cmp_lt_u32_e64 s10, v57, v37
	v_dual_mov_b32 v53, v3 :: v_dual_lshlrev_b32 v54, 8, v32
	v_dual_mov_b32 v55, v3 :: v_dual_mov_b32 v65, v3
	v_cmp_le_u32_e64 s11, v57, v37
	v_dual_mov_b32 v37, v3 :: v_dual_mov_b32 v67, v3
	v_lshl_or_b32 v66, v58, 10, v9
	s_mov_b32 s19, 0
	s_mov_b64 s[20:21], 0xffffffff
	s_add_nc_u64 s[22:23], s[16:17], -1
	s_mov_b32 s59, 0
	s_trap 2
	v_ashrrev_i32_e32 v71, 31, v70
	s_delay_alu instid0(VALU_DEP_1) | instskip(SKIP_2) | instid1(VALU_DEP_1)
	v_add_nc_u64_e32 v[82:83], 64, v[70:71]
	s_wait_loadcnt_dscnt 0x0
	v_and_b32_e32 v2, 1, v8
	v_cmp_eq_u32_e64 s12, 1, v2
	s_xor_b32 s47, s12, -1
	s_cmp_ge_i32 s13, s16
	s_cselect_b32 s14, s16, 0
	s_add_co_i32 s56, s16, -2
	s_sub_co_i32 s28, s13, s14
	s_xor_b32 s57, vcc_lo, -1
	s_ashr_i32 s26, s17, 31
	s_sub_co_i32 s58, 0, s16
	s_ashr_i32 s29, s28, 31
	s_branch .LBB2_47
.LBB2_45:                               ;   in Loop: Header=BB2_47 Depth=1
	s_or_b32 exec_lo, exec_lo, s15
.LBB2_46:                               ;   in Loop: Header=BB2_47 Depth=1
	s_delay_alu instid0(SALU_CYCLE_1) | instskip(SKIP_1) | instid1(VALU_DEP_1)
	s_or_b32 exec_lo, exec_lo, s14
	v_add_nc_u64_e32 v[38:39], v[38:39], v[48:49]
	v_cmp_ge_i64_e32 vcc_lo, v[38:39], v[4:5]
	s_or_b32 s59, vcc_lo, s59
	s_delay_alu instid0(SALU_CYCLE_1)
	s_and_not1_b32 exec_lo, exec_lo, s59
	s_cbranch_execz .LBB2_1833
.LBB2_47:                               ; =>This Loop Header: Depth=1
                                        ;     Child Loop BB2_57 Depth 2
                                        ;       Child Loop BB2_65 Depth 3
                                        ;       Child Loop BB2_89 Depth 3
	;; [unrolled: 1-line block ×9, first 2 shown]
                                        ;     Child Loop BB2_315 Depth 2
                                        ;       Child Loop BB2_321 Depth 3
                                        ;       Child Loop BB2_345 Depth 3
	;; [unrolled: 1-line block ×3, first 2 shown]
                                        ;     Child Loop BB2_389 Depth 2
                                        ;       Child Loop BB2_392 Depth 3
                                        ;         Child Loop BB2_400 Depth 4
                                        ;         Child Loop BB2_428 Depth 4
	;; [unrolled: 1-line block ×9, first 2 shown]
                                        ;       Child Loop BB2_704 Depth 3
                                        ;         Child Loop BB2_710 Depth 4
                                        ;         Child Loop BB2_738 Depth 4
	;; [unrolled: 1-line block ×3, first 2 shown]
                                        ;     Child Loop BB2_779 Depth 2
                                        ;       Child Loop BB2_787 Depth 3
                                        ;       Child Loop BB2_815 Depth 3
	;; [unrolled: 1-line block ×4, first 2 shown]
                                        ;         Child Loop BB2_922 Depth 4
                                        ;       Child Loop BB2_928 Depth 3
                                        ;         Child Loop BB2_993 Depth 4
                                        ;       Child Loop BB2_1001 Depth 3
                                        ;       Child Loop BB2_1037 Depth 3
                                        ;         Child Loop BB2_1046 Depth 4
                                        ;       Child Loop BB2_1059 Depth 3
                                        ;       Child Loop BB2_1128 Depth 3
	;; [unrolled: 1-line block ×6, first 2 shown]
                                        ;     Child Loop BB2_1294 Depth 2
                                        ;       Child Loop BB2_1300 Depth 3
                                        ;       Child Loop BB2_1328 Depth 3
	;; [unrolled: 1-line block ×3, first 2 shown]
                                        ;     Child Loop BB2_1369 Depth 2
                                        ;       Child Loop BB2_1372 Depth 3
                                        ;         Child Loop BB2_1380 Depth 4
                                        ;         Child Loop BB2_1408 Depth 4
	;; [unrolled: 1-line block ×4, first 2 shown]
                                        ;           Child Loop BB2_1451 Depth 5
                                        ;         Child Loop BB2_1457 Depth 4
                                        ;           Child Loop BB2_1458 Depth 5
                                        ;         Child Loop BB2_1465 Depth 4
                                        ;         Child Loop BB2_1470 Depth 4
                                        ;           Child Loop BB2_1471 Depth 5
                                        ;         Child Loop BB2_1483 Depth 4
                                        ;         Child Loop BB2_1488 Depth 4
	;; [unrolled: 1-line block ×6, first 2 shown]
                                        ;       Child Loop BB2_1551 Depth 3
                                        ;         Child Loop BB2_1557 Depth 4
                                        ;         Child Loop BB2_1585 Depth 4
	;; [unrolled: 1-line block ×3, first 2 shown]
                                        ;     Child Loop BB2_1629 Depth 2
                                        ;       Child Loop BB2_1637 Depth 3
                                        ;       Child Loop BB2_1661 Depth 3
	;; [unrolled: 1-line block ×9, first 2 shown]
                                        ;     Child Loop BB2_1767 Depth 2
                                        ;       Child Loop BB2_1773 Depth 3
                                        ;       Child Loop BB2_1797 Depth 3
	;; [unrolled: 1-line block ×3, first 2 shown]
	v_sub_nc_u64_e32 v[96:97], v[4:5], v[38:39]
	s_mov_b32 s40, exec_lo
	s_delay_alu instid0(VALU_DEP_1)
	v_cmpx_lt_i64_e64 v[96:97], v[48:49]
	s_cbranch_execz .LBB2_53
; %bb.48:                               ;   in Loop: Header=BB2_47 Depth=1
	v_add_nc_u64_e32 v[8:9], s[22:23], v[96:97]
	s_delay_alu instid0(VALU_DEP_1) | instskip(NEXT) | instid1(VALU_DEP_1)
	v_dual_mov_b32 v10, v3 :: v_dual_bitop2_b32 v11, s17, v9 bitop3:0x54
	v_cmp_ne_u64_e32 vcc_lo, 0, v[10:11]
                                        ; implicit-def: $vgpr10_vgpr11
	s_and_saveexec_b32 s13, vcc_lo
	s_delay_alu instid0(SALU_CYCLE_1)
	s_xor_b32 s41, exec_lo, s13
	s_cbranch_execz .LBB2_50
; %bb.49:                               ;   in Loop: Header=BB2_47 Depth=1
	s_mov_b32 s27, s26
	v_dual_mov_b32 v99, v3 :: v_dual_ashrrev_i32 v10, 31, v9
	s_add_nc_u64 s[14:15], s[16:17], s[26:27]
	v_mov_b32_e32 v103, v3
	s_xor_b64 s[14:15], s[14:15], s[26:27]
	s_delay_alu instid0(VALU_DEP_2) | instskip(SKIP_3) | instid1(VALU_DEP_1)
	v_mov_b32_e32 v11, v10
	s_cvt_f32_u32 s13, s14
	s_cvt_f32_u32 s18, s15
	s_sub_nc_u64 s[62:63], 0, s[14:15]
	v_add_nc_u64_e32 v[8:9], v[8:9], v[10:11]
	s_delay_alu instid0(SALU_CYCLE_1) | instskip(NEXT) | instid1(SALU_CYCLE_3)
	s_fmamk_f32 s13, s18, 0x4f800000, s13
	v_s_rcp_f32 s13, s13
	s_delay_alu instid0(VALU_DEP_1) | instskip(NEXT) | instid1(VALU_DEP_2)
	v_xor_b32_e32 v2, v8, v10
	v_xor_b32_e32 v98, v9, v10
	;; [unrolled: 1-line block ×3, first 2 shown]
	s_delay_alu instid0(TRANS32_DEP_1) | instskip(NEXT) | instid1(SALU_CYCLE_3)
	s_mul_f32 s13, s13, 0x5f7ffffc
	s_mul_f32 s18, s13, 0x2f800000
	s_delay_alu instid0(SALU_CYCLE_3) | instskip(NEXT) | instid1(SALU_CYCLE_3)
	s_trunc_f32 s18, s18
	s_fmamk_f32 s13, s18, 0xcf800000, s13
	s_cvt_u32_f32 s61, s18
	s_delay_alu instid0(SALU_CYCLE_2) | instskip(NEXT) | instid1(SALU_CYCLE_3)
	s_cvt_u32_f32 s60, s13
	s_mul_u64 s[72:73], s[62:63], s[60:61]
	s_delay_alu instid0(SALU_CYCLE_1)
	s_mul_hi_u32 s75, s60, s73
	s_mul_i32 s74, s60, s73
	s_mul_hi_u32 s18, s60, s72
	s_mul_i32 s27, s61, s72
	s_add_nc_u64 s[74:75], s[18:19], s[74:75]
	s_mul_hi_u32 s13, s61, s72
	s_mul_hi_u32 s76, s61, s73
	s_add_co_u32 s18, s74, s27
	s_add_co_ci_u32 s18, s75, s13
	s_mul_i32 s72, s61, s73
	s_add_co_ci_u32 s73, s76, 0
	s_delay_alu instid0(SALU_CYCLE_1) | instskip(NEXT) | instid1(SALU_CYCLE_1)
	s_add_nc_u64 s[72:73], s[18:19], s[72:73]
	s_add_co_u32 s60, s60, s72
	s_cselect_b32 s13, -1, 0
	s_delay_alu instid0(SALU_CYCLE_1) | instskip(SKIP_1) | instid1(SALU_CYCLE_1)
	s_cmp_lg_u32 s13, 0
	s_add_co_ci_u32 s61, s61, s73
	s_mul_u64 s[62:63], s[62:63], s[60:61]
	s_delay_alu instid0(SALU_CYCLE_1)
	s_mul_hi_u32 s73, s60, s63
	s_mul_i32 s72, s60, s63
	s_mul_hi_u32 s18, s60, s62
	s_mul_i32 s27, s61, s62
	s_add_nc_u64 s[72:73], s[18:19], s[72:73]
	s_mul_hi_u32 s13, s61, s62
	s_mul_hi_u32 s74, s61, s63
	s_add_co_u32 s18, s72, s27
	s_add_co_ci_u32 s18, s73, s13
	s_mul_i32 s62, s61, s63
	s_add_co_ci_u32 s63, s74, 0
	s_delay_alu instid0(SALU_CYCLE_1) | instskip(NEXT) | instid1(SALU_CYCLE_1)
	s_add_nc_u64 s[62:63], s[18:19], s[62:63]
	s_add_co_u32 s60, s60, s62
	s_cselect_b32 s13, -1, 0
	v_mul_hi_u32 v102, v2, s60
	s_cmp_lg_u32 s13, 0
	s_add_co_ci_u32 s18, s61, s63
	s_and_b64 s[62:63], s[60:61], s[20:21]
	v_mul_u64_e32 v[84:85], s[18:19], v[2:3]
	v_mul_u64_e32 v[8:9], s[62:63], v[98:99]
	;; [unrolled: 1-line block ×3, first 2 shown]
	s_delay_alu instid0(VALU_DEP_3) | instskip(NEXT) | instid1(VALU_DEP_1)
	v_add_nc_u64_e32 v[84:85], v[102:103], v[84:85]
	v_add_co_u32 v8, vcc_lo, v84, v8
	s_delay_alu instid0(VALU_DEP_2) | instskip(NEXT) | instid1(VALU_DEP_4)
	v_add_co_ci_u32_e32 v102, vcc_lo, v85, v9, vcc_lo
	v_add_co_ci_u32_e32 v101, vcc_lo, 0, v101, vcc_lo
	s_delay_alu instid0(VALU_DEP_1) | instskip(NEXT) | instid1(VALU_DEP_1)
	v_add_nc_u64_e32 v[8:9], v[102:103], v[100:101]
	v_mul_u64_e32 v[84:85], s[14:15], v[8:9]
	s_delay_alu instid0(VALU_DEP_1) | instskip(NEXT) | instid1(VALU_DEP_2)
	v_sub_nc_u32_e32 v11, v98, v85
	v_sub_co_u32 v2, vcc_lo, v2, v84
	s_delay_alu instid0(VALU_DEP_1) | instskip(NEXT) | instid1(VALU_DEP_3)
	v_sub_co_ci_u32_e64 v100, null, v98, v85, vcc_lo
	v_subrev_co_ci_u32_e64 v11, null, s15, v11, vcc_lo
	s_delay_alu instid0(VALU_DEP_3) | instskip(SKIP_1) | instid1(VALU_DEP_3)
	v_sub_co_u32 v84, s13, v2, s14
	v_add_nc_u64_e32 v[98:99], 1, v[8:9]
	v_subrev_co_ci_u32_e64 v11, null, 0, v11, s13
	s_delay_alu instid0(VALU_DEP_3) | instskip(SKIP_1) | instid1(VALU_DEP_3)
	v_cmp_le_u32_e32 vcc_lo, s14, v84
	v_cndmask_b32_e64 v84, 0, -1, vcc_lo
	v_cmp_le_u32_e32 vcc_lo, s15, v11
	v_cndmask_b32_e64 v85, 0, -1, vcc_lo
	;; [unrolled: 2-line block ×4, first 2 shown]
	v_cmp_eq_u32_e32 vcc_lo, s15, v11
	v_cndmask_b32_e32 v11, v85, v84, vcc_lo
	v_cmp_eq_u32_e32 vcc_lo, s15, v100
	v_add_nc_u64_e32 v[84:85], 2, v[8:9]
	v_cndmask_b32_e32 v2, v101, v2, vcc_lo
	s_delay_alu instid0(VALU_DEP_4) | instskip(NEXT) | instid1(VALU_DEP_2)
	v_cmp_ne_u32_e32 vcc_lo, 0, v11
	v_cmp_ne_u32_e64 s13, 0, v2
	s_delay_alu instid0(VALU_DEP_4) | instskip(NEXT) | instid1(VALU_DEP_1)
	v_dual_cndmask_b32 v11, v99, v85 :: v_dual_cndmask_b32 v2, v98, v84
	v_dual_cndmask_b32 v9, v9, v11, s13 :: v_dual_cndmask_b32 v2, v8, v2, s13
	s_delay_alu instid0(VALU_DEP_1) | instskip(NEXT) | instid1(VALU_DEP_2)
	v_dual_mov_b32 v11, v10 :: v_dual_bitop2_b32 v9, v9, v10 bitop3:0x14
	v_xor_b32_e32 v8, v2, v10
	s_delay_alu instid0(VALU_DEP_1)
	v_sub_nc_u64_e32 v[10:11], v[8:9], v[10:11]
                                        ; implicit-def: $vgpr8_vgpr9
.LBB2_50:                               ;   in Loop: Header=BB2_47 Depth=1
	s_and_not1_saveexec_b32 s13, s41
	s_cbranch_execz .LBB2_52
; %bb.51:                               ;   in Loop: Header=BB2_47 Depth=1
	v_cvt_f32_u32_e32 v2, s16
	s_delay_alu instid0(VALU_DEP_1) | instskip(SKIP_1) | instid1(TRANS32_DEP_1)
	v_rcp_iflag_f32_e32 v2, v2
	v_nop
	v_mul_f32_e32 v2, 0x4f7ffffe, v2
	s_delay_alu instid0(VALU_DEP_1) | instskip(NEXT) | instid1(VALU_DEP_1)
	v_cvt_u32_f32_e32 v2, v2
	v_mul_lo_u32 v9, s58, v2
	s_delay_alu instid0(VALU_DEP_1) | instskip(NEXT) | instid1(VALU_DEP_1)
	v_mul_hi_u32 v9, v2, v9
	v_add_nc_u32_e32 v2, v2, v9
	s_delay_alu instid0(VALU_DEP_1) | instskip(NEXT) | instid1(VALU_DEP_1)
	v_mul_hi_u32 v2, v8, v2
	v_mul_lo_u32 v9, v2, s16
	s_delay_alu instid0(VALU_DEP_1) | instskip(NEXT) | instid1(VALU_DEP_1)
	v_dual_sub_nc_u32 v8, v8, v9 :: v_dual_add_nc_u32 v9, 1, v2
	v_subrev_nc_u32_e32 v10, s16, v8
	v_cmp_le_u32_e32 vcc_lo, s16, v8
	s_delay_alu instid0(VALU_DEP_2) | instskip(NEXT) | instid1(VALU_DEP_1)
	v_dual_cndmask_b32 v8, v8, v10, vcc_lo :: v_dual_cndmask_b32 v2, v2, v9, vcc_lo
	v_cmp_le_u32_e32 vcc_lo, s16, v8
	s_delay_alu instid0(VALU_DEP_2) | instskip(NEXT) | instid1(VALU_DEP_1)
	v_add_nc_u32_e32 v9, 1, v2
	v_cndmask_b32_e32 v2, v2, v9, vcc_lo
	s_delay_alu instid0(VALU_DEP_1)
	v_mov_b64_e32 v[10:11], v[2:3]
.LBB2_52:                               ;   in Loop: Header=BB2_47 Depth=1
	s_or_b32 exec_lo, exec_lo, s13
	s_delay_alu instid0(VALU_DEP_1) | instskip(NEXT) | instid1(VALU_DEP_1)
	v_add_nc_u64_e32 v[84:85], 7, v[10:11]
	v_and_b32_e32 v84, -8, v84
.LBB2_53:                               ;   in Loop: Header=BB2_47 Depth=1
	s_or_b32 exec_lo, exec_lo, s40
	s_delay_alu instid0(VALU_DEP_1) | instskip(SKIP_2) | instid1(VALU_DEP_3)
	v_mul_u64_e32 v[112:113], s[24:25], v[84:85]
	v_add_nc_u64_e32 v[98:99], v[38:39], v[14:15]
	v_mov_b32_e32 v102, 0
	v_sub_nc_u64_e32 v[8:9], v[96:97], v[112:113]
	s_delay_alu instid0(VALU_DEP_1) | instskip(NEXT) | instid1(VALU_DEP_1)
	v_min_i64 v[8:9], v[84:85], v[8:9]
	v_max_i32_e32 v42, 0, v8
	v_cmp_lt_i32_e32 vcc_lo, 0, v8
	s_delay_alu instid0(VALU_DEP_2) | instskip(SKIP_1) | instid1(VALU_DEP_1)
	v_add_nc_u32_e32 v2, 31, v42
	s_and_b32 s13, s57, vcc_lo
	v_lshrrev_b32_e32 v2, 1, v2
	s_delay_alu instid0(VALU_DEP_1) | instskip(NEXT) | instid1(VALU_DEP_1)
	v_and_b32_e32 v9, 0x3ffffff0, v2
	v_dual_mov_b32 v2, 0 :: v_dual_max_i32 v100, s45, v9
	s_and_saveexec_b32 s14, s13
	s_cbranch_execz .LBB2_311
; %bb.54:                               ;   in Loop: Header=BB2_47 Depth=1
	v_mov_b32_e32 v102, 0
	s_mov_b32 s27, 1
	s_mov_b32 s18, -1
	s_mov_b32 s15, 0
	s_branch .LBB2_57
.LBB2_55:                               ;   in Loop: Header=BB2_57 Depth=2
	s_wait_xcnt 0x0
	s_or_b32 exec_lo, exec_lo, s40
	v_add_nc_u64_e32 v[86:87], 2, v[86:87]
	global_wb scope:SCOPE_SYS
	s_wait_storecnt 0x0
	s_wait_loadcnt_dscnt 0x0
	flat_store_b64 v[20:21], v[86:87] scope:SCOPE_SYS
.LBB2_56:                               ;   in Loop: Header=BB2_57 Depth=2
	s_wait_xcnt 0x0
	s_or_b32 exec_lo, exec_lo, s13
	v_dual_add_nc_u32 v102, v100, v102 :: v_dual_mov_b32 v2, s27
	s_xor_b32 s13, s18, -1
	s_mov_b32 s18, 0
	s_mov_b32 s27, 2
	s_delay_alu instid0(VALU_DEP_1) | instskip(SKIP_1) | instid1(SALU_CYCLE_1)
	v_cmp_ge_i32_e32 vcc_lo, v102, v42
	s_or_b32 s13, s13, vcc_lo
	s_and_b32 s13, exec_lo, s13
	s_delay_alu instid0(SALU_CYCLE_1) | instskip(NEXT) | instid1(SALU_CYCLE_1)
	s_or_b32 s15, s13, s15
	s_and_not1_b32 exec_lo, exec_lo, s15
	s_cbranch_execz .LBB2_310
.LBB2_57:                               ;   Parent Loop BB2_47 Depth=1
                                        ; =>  This Loop Header: Depth=2
                                        ;       Child Loop BB2_65 Depth 3
                                        ;       Child Loop BB2_89 Depth 3
	;; [unrolled: 1-line block ×9, first 2 shown]
	s_and_saveexec_b32 s13, s0
	s_cbranch_execz .LBB2_59
; %bb.58:                               ;   in Loop: Header=BB2_57 Depth=2
	s_trap 2
	ds_load_b64 v[8:9], v0
	v_ashrrev_i32_e32 v103, 31, v102
	s_wait_dscnt 0x0
	v_lshl_add_u64 v[8:9], v[98:99], 1, v[8:9]
	s_delay_alu instid0(VALU_DEP_1) | instskip(NEXT) | instid1(VALU_DEP_1)
	v_lshl_add_u64 v[8:9], v[112:113], 1, v[8:9]
	v_lshl_add_u64 v[8:9], v[102:103], 1, v[8:9]
	ds_store_b64 v0, v[8:9]
	ds_store_b64 v0, v[34:35]
.LBB2_59:                               ;   in Loop: Header=BB2_57 Depth=2
	s_or_b32 exec_lo, exec_lo, s13
	v_sub_nc_u32_e32 v2, v42, v102
	v_and_b32_e32 v8, 8, v30
	s_mov_b32 s40, exec_lo
	s_delay_alu instid0(VALU_DEP_2) | instskip(NEXT) | instid1(VALU_DEP_2)
	v_min_i32_e32 v100, v100, v2
	v_cmpx_ne_u32_e32 0, v8
	s_cbranch_execz .LBB2_81
; %bb.60:                               ;   in Loop: Header=BB2_57 Depth=2
	s_wait_loadcnt_dscnt 0x1
	v_add_nc_u64_e32 v[10:11], 8, v[28:29]
	v_add_nc_u64_e32 v[8:9], 2, v[86:87]
	s_mov_b32 s41, exec_lo
	s_delay_alu instid0(VALU_DEP_1)
	v_cmpx_lt_u64_e64 v[10:11], v[8:9]
	s_cbranch_execz .LBB2_72
; %bb.61:                               ;   in Loop: Header=BB2_57 Depth=2
	v_and_b32_e32 v2, 64, v30
	s_mov_b32 s60, 0
	s_mov_b32 s72, 0
                                        ; implicit-def: $sgpr61
                                        ; implicit-def: $sgpr62
                                        ; implicit-def: $sgpr63
	s_delay_alu instid0(VALU_DEP_1)
	v_cmp_eq_u32_e32 vcc_lo, 0, v2
	s_branch .LBB2_65
.LBB2_62:                               ;   in Loop: Header=BB2_65 Depth=3
	s_wait_loadcnt_dscnt 0x0
	v_add_nc_u64_e32 v[10:11], 8, v[28:29]
	s_or_b32 s75, s75, exec_lo
	s_delay_alu instid0(VALU_DEP_1)
	v_cmp_ge_u64_e64 s13, v[10:11], v[8:9]
	s_or_not1_b32 s74, s13, exec_lo
.LBB2_63:                               ;   in Loop: Header=BB2_65 Depth=3
	s_or_b32 exec_lo, exec_lo, s77
	s_delay_alu instid0(SALU_CYCLE_1)
	s_and_not1_b32 s13, s63, exec_lo
	s_and_b32 s63, s75, exec_lo
	s_and_not1_b32 s62, s62, exec_lo
	s_and_b32 s74, s74, exec_lo
	s_or_b32 s63, s13, s63
	s_or_b32 s62, s62, s74
.LBB2_64:                               ;   in Loop: Header=BB2_65 Depth=3
	s_or_b32 exec_lo, exec_lo, s73
	s_delay_alu instid0(SALU_CYCLE_1) | instskip(NEXT) | instid1(SALU_CYCLE_1)
	s_and_b32 s13, exec_lo, s62
	s_or_b32 s60, s13, s60
	s_and_not1_b32 s13, s61, exec_lo
	s_and_b32 s61, s63, exec_lo
	s_delay_alu instid0(SALU_CYCLE_1)
	s_or_b32 s61, s13, s61
	s_and_not1_b32 exec_lo, exec_lo, s60
	s_cbranch_execz .LBB2_69
.LBB2_65:                               ;   Parent Loop BB2_47 Depth=1
                                        ;     Parent Loop BB2_57 Depth=2
                                        ; =>    This Inner Loop Header: Depth=3
	s_sleep 1
	s_wait_loadcnt_dscnt 0x0
	flat_load_b64 v[28:29], v[20:21] scope:SCOPE_SYS
	s_or_b32 s63, s63, exec_lo
	s_or_b32 s62, s62, exec_lo
                                        ; implicit-def: $vgpr2
	s_wait_xcnt 0x0
	s_and_saveexec_b32 s73, vcc_lo
	s_cbranch_execz .LBB2_64
; %bb.66:                               ;   in Loop: Header=BB2_65 Depth=3
	s_cmp_lt_i32 s72, 0x270f
	s_mov_b32 s74, -1
	s_cselect_b32 s76, -1, 0
	s_cmp_gt_i32 s72, 0x270e
	s_cbranch_scc0 .LBB2_68
; %bb.67:                               ;   in Loop: Header=BB2_65 Depth=3
	s_trap 2
	ds_load_b64 v[10:11], v0
	s_and_not1_b32 s72, s76, exec_lo
	s_mov_b32 s75, 0
	s_wait_storecnt 0x0
	s_wait_loadcnt_dscnt 0x0
	flat_load_b32 v2, v[10:11] scope:SCOPE_SYS
	s_wait_loadcnt_dscnt 0x0
	global_inv scope:SCOPE_SYS
	v_cmp_eq_u32_e64 s13, 0, v2
	s_and_b32 s13, s13, exec_lo
	s_delay_alu instid0(SALU_CYCLE_1)
	s_or_b32 s76, s72, s13
	s_mov_b32 s72, 0
	s_and_saveexec_b32 s77, s76
	s_cbranch_execz .LBB2_63
	s_branch .LBB2_62
.LBB2_68:                               ;   in Loop: Header=BB2_65 Depth=3
	s_add_co_i32 s72, s72, 1
	s_mov_b32 s75, -1
                                        ; implicit-def: $vgpr2
	s_and_saveexec_b32 s77, s76
	s_cbranch_execz .LBB2_63
	s_branch .LBB2_62
.LBB2_69:                               ;   in Loop: Header=BB2_57 Depth=2
	s_or_b32 exec_lo, exec_lo, s60
	s_xor_b32 s13, s61, -1
	s_delay_alu instid0(SALU_CYCLE_1) | instskip(NEXT) | instid1(SALU_CYCLE_1)
	s_and_saveexec_b32 s60, s13
	s_xor_b32 s13, exec_lo, s60
	s_cbranch_execz .LBB2_71
; %bb.70:                               ;   in Loop: Header=BB2_57 Depth=2
	v_or_b32_e32 v30, 64, v30
	s_wait_storecnt 0x0
	s_wait_loadcnt_dscnt 0x0
	ds_store_b32 v0, v2
	s_trap 2
.LBB2_71:                               ;   in Loop: Header=BB2_57 Depth=2
	s_or_b32 exec_lo, exec_lo, s13
.LBB2_72:                               ;   in Loop: Header=BB2_57 Depth=2
	s_delay_alu instid0(SALU_CYCLE_1) | instskip(SKIP_4) | instid1(VALU_DEP_1)
	s_or_b32 exec_lo, exec_lo, s41
	v_and_b32_e32 v2, 0x100, v30
	s_mov_b32 s41, 0
	s_mov_b32 s13, exec_lo
	;;#ASMSTART
	s_wakeup
	;;#ASMEND
                                        ; implicit-def: $vgpr10_vgpr11
	v_cmpx_ne_u32_e32 0, v2
	s_xor_b32 s13, exec_lo, s13
	s_cbranch_execz .LBB2_93
; %bb.73:                               ;   in Loop: Header=BB2_57 Depth=2
	v_dual_ashrrev_i32 v101, 31, v100 :: v_dual_bitop2_b32 v2, 7, v86 bitop3:0x40
	s_mov_b32 s41, -1
	s_mov_b32 s60, exec_lo
	s_delay_alu instid0(VALU_DEP_1) | instskip(NEXT) | instid1(VALU_DEP_2)
	v_mad_nc_u64_u32 v[86:87], v2, 24, v[6:7]
	v_lshlrev_b64_e32 v[10:11], 1, v[100:101]
	s_clause 0x1
	flat_load_b32 v103, v[86:87]
	flat_store_b64 v[86:87], v[10:11] offset:8
                                        ; implicit-def: $vgpr10_vgpr11
	s_wait_loadcnt_dscnt 0x1
	v_cmpx_eq_u32_e32 1, v103
	s_cbranch_execz .LBB2_75
; %bb.74:                               ;   in Loop: Header=BB2_57 Depth=2
	flat_load_b32 v10, v[86:87] offset:4 scope:SCOPE_SYS
	s_xor_b32 s41, exec_lo, -1
	s_wait_loadcnt_dscnt 0x0
	v_ashrrev_i32_e32 v11, 31, v10
	s_delay_alu instid0(VALU_DEP_1)
	v_lshrrev_b64 v[10:11], 1, v[10:11]
.LBB2_75:                               ;   in Loop: Header=BB2_57 Depth=2
	s_wait_xcnt 0x0
	s_or_b32 exec_lo, exec_lo, s60
	s_delay_alu instid0(SALU_CYCLE_1)
	s_and_b32 s41, s41, exec_lo
                                        ; implicit-def: $vgpr86_vgpr87
	s_and_not1_saveexec_b32 s13, s13
	s_cbranch_execnz .LBB2_94
.LBB2_76:                               ;   in Loop: Header=BB2_57 Depth=2
	s_or_b32 exec_lo, exec_lo, s13
	s_and_saveexec_b32 s13, s41
.LBB2_77:                               ;   in Loop: Header=BB2_57 Depth=2
	v_mul_u64_e32 v[10:11], v[2:3], v[22:23]
.LBB2_78:                               ;   in Loop: Header=BB2_57 Depth=2
	s_or_b32 exec_lo, exec_lo, s13
	v_and_b32_e32 v2, 0x2000, v30
	s_delay_alu instid0(VALU_DEP_2)
	v_lshl_add_u64 v[10:11], v[10:11], 1, v[24:25]
	s_mov_b32 s13, exec_lo
	ds_store_b64 v0, v[10:11] offset:784
	v_cmpx_ne_u32_e32 0, v2
	s_cbranch_execz .LBB2_80
; %bb.79:                               ;   in Loop: Header=BB2_57 Depth=2
	ds_load_b64 v[10:11], v0 offset:872
	s_wait_dscnt 0x0
	v_add_nc_u64_e32 v[10:11], 1, v[10:11]
	ds_store_b64 v0, v[10:11] offset:872
.LBB2_80:                               ;   in Loop: Header=BB2_57 Depth=2
	s_or_b32 exec_lo, exec_lo, s13
	v_mov_b64_e32 v[86:87], v[8:9]
.LBB2_81:                               ;   in Loop: Header=BB2_57 Depth=2
	s_or_b32 exec_lo, exec_lo, s40
	s_and_saveexec_b32 s13, s2
	s_cbranch_execz .LBB2_102
; %bb.82:                               ;   in Loop: Header=BB2_57 Depth=2
	s_and_saveexec_b32 s40, s3
	s_delay_alu instid0(SALU_CYCLE_1)
	s_xor_b32 s40, exec_lo, s40
	s_cbranch_execz .LBB2_99
; %bb.83:                               ;   in Loop: Header=BB2_57 Depth=2
	s_and_saveexec_b32 s41, s6
	s_cbranch_execz .LBB2_98
; %bb.84:                               ;   in Loop: Header=BB2_57 Depth=2
	s_mov_b32 s61, exec_lo
	s_mov_b32 s60, exec_lo
	v_mbcnt_lo_u32_b32 v2, s61, 0
	global_wb scope:SCOPE_DEV
	s_wait_storecnt 0x0
	s_wait_loadcnt_dscnt 0x0
	global_inv scope:SCOPE_DEV
	v_cmpx_eq_u32_e32 0, v2
	s_cbranch_execz .LBB2_86
; %bb.85:                               ;   in Loop: Header=BB2_57 Depth=2
	s_bcnt1_i32_b32 s61, s61
	s_delay_alu instid0(SALU_CYCLE_1)
	v_mov_b32_e32 v2, s61
	s_wait_loadcnt 0x0
	ds_add_u64 v0, v[2:3]
	s_trap 2
.LBB2_86:                               ;   in Loop: Header=BB2_57 Depth=2
	s_or_b32 exec_lo, exec_lo, s60
	s_trap 2
	ds_load_b64 v[8:9], v0
	s_wait_dscnt 0x0
	v_add_nc_u64_e32 v[12:13], v[12:13], v[32:33]
	s_mov_b32 s60, exec_lo
	s_delay_alu instid0(VALU_DEP_1)
	v_cmpx_lt_u64_e64 v[8:9], v[12:13]
	s_cbranch_execz .LBB2_97
; %bb.87:                               ;   in Loop: Header=BB2_57 Depth=2
	s_mov_b32 s61, 0
	s_mov_b32 s72, 0
                                        ; implicit-def: $sgpr62
                                        ; implicit-def: $sgpr63
	s_branch .LBB2_89
.LBB2_88:                               ;   in Loop: Header=BB2_89 Depth=3
	s_or_b32 exec_lo, exec_lo, s74
	s_delay_alu instid0(SALU_CYCLE_1) | instskip(NEXT) | instid1(SALU_CYCLE_1)
	s_and_b32 s73, exec_lo, s75
	s_or_b32 s61, s73, s61
	s_and_not1_b32 s62, s62, exec_lo
	s_and_b32 s73, s63, exec_lo
	s_delay_alu instid0(SALU_CYCLE_1)
	s_or_b32 s62, s62, s73
	s_and_not1_b32 exec_lo, exec_lo, s61
	s_cbranch_execz .LBB2_95
.LBB2_89:                               ;   Parent Loop BB2_47 Depth=1
                                        ;     Parent Loop BB2_57 Depth=2
                                        ; =>    This Inner Loop Header: Depth=3
	s_add_co_i32 s72, s72, 1
	s_delay_alu instid0(SALU_CYCLE_1) | instskip(SKIP_1) | instid1(SALU_CYCLE_1)
	s_cmp_lg_u32 s72, 0x2710
	s_cselect_b32 s73, -1, 0
	s_and_b32 vcc_lo, exec_lo, s73
	s_cbranch_vccz .LBB2_91
; %bb.90:                               ;   in Loop: Header=BB2_89 Depth=3
	s_mov_b32 s75, -1
	s_or_b32 s63, s63, exec_lo
	s_and_saveexec_b32 s74, s73
	s_cbranch_execz .LBB2_88
	s_branch .LBB2_92
.LBB2_91:                               ;   in Loop: Header=BB2_89 Depth=3
	s_trap 2
	ds_load_b64 v[8:9], v0
	s_and_not1_b32 s73, s73, exec_lo
	s_mov_b32 s72, 0
	s_wait_loadcnt_dscnt 0x0
	flat_load_b32 v2, v[8:9] scope:SCOPE_SYS
	s_wait_loadcnt_dscnt 0x0
	global_inv scope:SCOPE_SYS
	v_cmp_eq_u32_e32 vcc_lo, 0, v2
	s_and_b32 s74, vcc_lo, exec_lo
	s_delay_alu instid0(SALU_CYCLE_1)
	s_or_b32 s73, s73, s74
	s_mov_b32 s75, -1
	s_or_b32 s63, s63, exec_lo
	s_and_saveexec_b32 s74, s73
	s_cbranch_execz .LBB2_88
.LBB2_92:                               ;   in Loop: Header=BB2_89 Depth=3
	s_sleep 1
	s_trap 2
	ds_load_b64 v[8:9], v0
	s_wait_dscnt 0x0
	s_and_not1_b32 s63, s63, exec_lo
	v_cmp_ge_u64_e32 vcc_lo, v[8:9], v[12:13]
	s_or_not1_b32 s75, vcc_lo, exec_lo
	s_branch .LBB2_88
.LBB2_93:                               ;   in Loop: Header=BB2_57 Depth=2
	s_and_not1_saveexec_b32 s13, s13
	s_cbranch_execz .LBB2_76
.LBB2_94:                               ;   in Loop: Header=BB2_57 Depth=2
	v_and_b32_e32 v2, 7, v86
	s_or_b32 s41, s41, exec_lo
	s_or_b32 exec_lo, exec_lo, s13
	s_and_saveexec_b32 s13, s41
	s_cbranch_execnz .LBB2_77
	s_branch .LBB2_78
.LBB2_95:                               ;   in Loop: Header=BB2_57 Depth=2
	s_or_b32 exec_lo, exec_lo, s61
	s_and_saveexec_b32 s61, s62
	s_delay_alu instid0(SALU_CYCLE_1)
	s_xor_b32 s61, exec_lo, s61
	s_cbranch_execz .LBB2_97
; %bb.96:                               ;   in Loop: Header=BB2_57 Depth=2
	ds_store_b32 v0, v59
	s_trap 2
.LBB2_97:                               ;   in Loop: Header=BB2_57 Depth=2
	s_or_b32 exec_lo, exec_lo, s60
	;;#ASMSTART
	s_wakeup
	;;#ASMEND
.LBB2_98:                               ;   in Loop: Header=BB2_57 Depth=2
	s_or_b32 exec_lo, exec_lo, s41
.LBB2_99:                               ;   in Loop: Header=BB2_57 Depth=2
	s_and_not1_saveexec_b32 s40, s40
	s_cbranch_execz .LBB2_101
; %bb.100:                              ;   in Loop: Header=BB2_57 Depth=2
	global_wb scope:SCOPE_DEV
	s_wait_storecnt 0x0
	s_wait_loadcnt_dscnt 0x0
	global_inv scope:SCOPE_DEV
	s_barrier_signal -1
	s_barrier_wait -1
.LBB2_101:                              ;   in Loop: Header=BB2_57 Depth=2
	s_or_b32 exec_lo, exec_lo, s40
.LBB2_102:                              ;   in Loop: Header=BB2_57 Depth=2
	s_delay_alu instid0(SALU_CYCLE_1) | instskip(SKIP_4) | instid1(VALU_DEP_1)
	s_or_b32 exec_lo, exec_lo, s13
	s_trap 2
	ds_load_b32 v8, v0
	v_and_b32_e32 v2, 0x4000, v30
	s_xor_b32 s13, s1, -1
	v_cmp_ne_u32_e32 vcc_lo, 0, v2
	s_and_b32 s40, s13, vcc_lo
	s_delay_alu instid0(SALU_CYCLE_1)
	s_and_saveexec_b32 s13, s40
	s_cbranch_execz .LBB2_121
; %bb.103:                              ;   in Loop: Header=BB2_57 Depth=2
	s_and_saveexec_b32 s40, s3
	s_delay_alu instid0(SALU_CYCLE_1)
	s_xor_b32 s40, exec_lo, s40
	s_cbranch_execz .LBB2_118
; %bb.104:                              ;   in Loop: Header=BB2_57 Depth=2
	s_and_saveexec_b32 s41, s6
	s_cbranch_execz .LBB2_117
; %bb.105:                              ;   in Loop: Header=BB2_57 Depth=2
	s_mov_b32 s61, exec_lo
	s_mov_b32 s60, exec_lo
	v_mbcnt_lo_u32_b32 v2, s61, 0
	global_wb scope:SCOPE_DEV
	s_wait_storecnt 0x0
	s_wait_loadcnt_dscnt 0x0
	global_inv scope:SCOPE_DEV
	v_cmpx_eq_u32_e32 0, v2
	s_cbranch_execz .LBB2_107
; %bb.106:                              ;   in Loop: Header=BB2_57 Depth=2
	s_bcnt1_i32_b32 s61, s61
	s_delay_alu instid0(SALU_CYCLE_1)
	v_mov_b32_e32 v2, s61
	s_wait_loadcnt 0x0
	ds_add_u64 v0, v[2:3]
	s_trap 2
.LBB2_107:                              ;   in Loop: Header=BB2_57 Depth=2
	s_or_b32 exec_lo, exec_lo, s60
	s_trap 2
	ds_load_b64 v[10:11], v0
	s_wait_dscnt 0x0
	v_add_nc_u64_e32 v[12:13], v[12:13], v[32:33]
	s_mov_b32 s60, exec_lo
	s_delay_alu instid0(VALU_DEP_1)
	v_cmpx_lt_u64_e64 v[10:11], v[12:13]
	s_cbranch_execz .LBB2_116
; %bb.108:                              ;   in Loop: Header=BB2_57 Depth=2
	s_mov_b32 s61, 0
	s_mov_b32 s72, 0
                                        ; implicit-def: $sgpr62
                                        ; implicit-def: $sgpr63
	s_branch .LBB2_110
.LBB2_109:                              ;   in Loop: Header=BB2_110 Depth=3
	s_or_b32 exec_lo, exec_lo, s74
	s_delay_alu instid0(SALU_CYCLE_1) | instskip(NEXT) | instid1(SALU_CYCLE_1)
	s_and_b32 s73, exec_lo, s75
	s_or_b32 s61, s73, s61
	s_and_not1_b32 s62, s62, exec_lo
	s_and_b32 s73, s63, exec_lo
	s_delay_alu instid0(SALU_CYCLE_1)
	s_or_b32 s62, s62, s73
	s_and_not1_b32 exec_lo, exec_lo, s61
	s_cbranch_execz .LBB2_114
.LBB2_110:                              ;   Parent Loop BB2_47 Depth=1
                                        ;     Parent Loop BB2_57 Depth=2
                                        ; =>    This Inner Loop Header: Depth=3
	s_add_co_i32 s72, s72, 1
	s_delay_alu instid0(SALU_CYCLE_1) | instskip(SKIP_1) | instid1(SALU_CYCLE_1)
	s_cmp_lg_u32 s72, 0x2710
	s_cselect_b32 s73, -1, 0
	s_and_b32 vcc_lo, exec_lo, s73
	s_cbranch_vccz .LBB2_112
; %bb.111:                              ;   in Loop: Header=BB2_110 Depth=3
	s_mov_b32 s75, -1
	s_or_b32 s63, s63, exec_lo
	s_and_saveexec_b32 s74, s73
	s_cbranch_execz .LBB2_109
	s_branch .LBB2_113
.LBB2_112:                              ;   in Loop: Header=BB2_110 Depth=3
	s_trap 2
	ds_load_b64 v[10:11], v0
	s_and_not1_b32 s73, s73, exec_lo
	s_mov_b32 s72, 0
	s_wait_loadcnt_dscnt 0x0
	flat_load_b32 v2, v[10:11] scope:SCOPE_SYS
	s_wait_loadcnt_dscnt 0x0
	global_inv scope:SCOPE_SYS
	v_cmp_eq_u32_e32 vcc_lo, 0, v2
	s_and_b32 s74, vcc_lo, exec_lo
	s_delay_alu instid0(SALU_CYCLE_1)
	s_or_b32 s73, s73, s74
	s_mov_b32 s75, -1
	s_or_b32 s63, s63, exec_lo
	s_and_saveexec_b32 s74, s73
	s_cbranch_execz .LBB2_109
.LBB2_113:                              ;   in Loop: Header=BB2_110 Depth=3
	s_sleep 1
	s_trap 2
	ds_load_b64 v[10:11], v0
	s_wait_dscnt 0x0
	s_and_not1_b32 s63, s63, exec_lo
	v_cmp_ge_u64_e32 vcc_lo, v[10:11], v[12:13]
	s_or_not1_b32 s75, vcc_lo, exec_lo
	s_branch .LBB2_109
.LBB2_114:                              ;   in Loop: Header=BB2_57 Depth=2
	s_or_b32 exec_lo, exec_lo, s61
	s_and_saveexec_b32 s61, s62
	s_delay_alu instid0(SALU_CYCLE_1)
	s_xor_b32 s61, exec_lo, s61
	s_cbranch_execz .LBB2_116
; %bb.115:                              ;   in Loop: Header=BB2_57 Depth=2
	ds_store_b32 v0, v59
	s_trap 2
.LBB2_116:                              ;   in Loop: Header=BB2_57 Depth=2
	s_or_b32 exec_lo, exec_lo, s60
	;;#ASMSTART
	s_wakeup
	;;#ASMEND
.LBB2_117:                              ;   in Loop: Header=BB2_57 Depth=2
	s_or_b32 exec_lo, exec_lo, s41
.LBB2_118:                              ;   in Loop: Header=BB2_57 Depth=2
	s_and_not1_saveexec_b32 s40, s40
	s_cbranch_execz .LBB2_120
; %bb.119:                              ;   in Loop: Header=BB2_57 Depth=2
	global_wb scope:SCOPE_DEV
	s_wait_storecnt 0x0
	s_wait_loadcnt_dscnt 0x0
	global_inv scope:SCOPE_DEV
	s_barrier_signal -1
	s_barrier_wait -1
.LBB2_120:                              ;   in Loop: Header=BB2_57 Depth=2
	s_or_b32 exec_lo, exec_lo, s40
.LBB2_121:                              ;   in Loop: Header=BB2_57 Depth=2
	s_delay_alu instid0(SALU_CYCLE_1)
	s_or_b32 exec_lo, exec_lo, s13
	s_trap 2
	ds_load_b64 v[114:115], v0
	s_wait_dscnt 0x0
	v_cmp_eq_u64_e32 vcc_lo, 0, v[114:115]
	s_cbranch_vccnz .LBB2_129
; %bb.122:                              ;   in Loop: Header=BB2_57 Depth=2
	s_trap 2
	ds_load_b64 v[116:117], v0
	s_wait_dscnt 0x0
	v_cmp_eq_u64_e32 vcc_lo, 0, v[116:117]
	s_cbranch_vccnz .LBB2_129
; %bb.123:                              ;   in Loop: Header=BB2_57 Depth=2
	s_mov_b32 s13, -1
	s_and_saveexec_b32 s40, s7
	s_cbranch_execz .LBB2_125
; %bb.124:                              ;   in Loop: Header=BB2_57 Depth=2
	ds_load_b32 v2, v0 offset:720
	s_wait_dscnt 0x0
	v_and_b32_e32 v2, 15, v2
	s_delay_alu instid0(VALU_DEP_1)
	v_cmp_eq_u32_e32 vcc_lo, 0, v2
	s_or_not1_b32 s13, vcc_lo, exec_lo
.LBB2_125:                              ;   in Loop: Header=BB2_57 Depth=2
	s_or_b32 exec_lo, exec_lo, s40
	s_and_saveexec_b32 s40, s10
	s_cbranch_execz .LBB2_127
; %bb.126:                              ;   in Loop: Header=BB2_57 Depth=2
	ds_load_b32 v2, v0 offset:784
	s_wait_dscnt 0x0
	v_and_b32_e32 v2, 15, v2
	s_delay_alu instid0(VALU_DEP_1) | instskip(SKIP_3) | instid1(SALU_CYCLE_1)
	v_cmp_eq_u32_e32 vcc_lo, 0, v2
	s_and_b32 s41, s13, vcc_lo
	s_and_not1_b32 s13, s13, exec_lo
	s_and_b32 s41, s41, exec_lo
	s_or_b32 s13, s13, s41
.LBB2_127:                              ;   in Loop: Header=BB2_57 Depth=2
	s_or_b32 exec_lo, exec_lo, s40
	v_cmp_eq_u32_e32 vcc_lo, 0, v8
	s_xor_b32 s13, s13, -1
	s_mov_b32 s41, -1
	v_cndmask_b32_e64 v9, 0, 1, s13
	v_dual_mov_b32 v43, 0 :: v_dual_cndmask_b32 v2, 0, v100
	s_delay_alu instid0(VALU_DEP_2) | instskip(NEXT) | instid1(VALU_DEP_2)
	v_cmp_ne_u32_e32 vcc_lo, 0, v9
	v_lshlrev_b32_e32 v101, 1, v2
	s_cbranch_vccz .LBB2_130
; %bb.128:                              ;   in Loop: Header=BB2_57 Depth=2
	v_mov_b32_e32 v44, v0
	s_and_saveexec_b32 s13, s41
	s_cbranch_execnz .LBB2_237
	s_branch .LBB2_265
.LBB2_129:                              ;   in Loop: Header=BB2_57 Depth=2
	s_mov_b32 s13, 0
	s_and_saveexec_b32 s40, s2
	s_cbranch_execnz .LBB2_266
	s_branch .LBB2_284
.LBB2_130:                              ;   in Loop: Header=BB2_57 Depth=2
	s_delay_alu instid0(VALU_DEP_1) | instskip(SKIP_1) | instid1(VALU_DEP_1)
	v_ashrrev_i32_e32 v8, 31, v101
	s_mov_b32 s13, exec_lo
	v_lshrrev_b32_e32 v8, 22, v8
	s_delay_alu instid0(VALU_DEP_1) | instskip(NEXT) | instid1(VALU_DEP_1)
	v_add_nc_u32_e32 v8, v101, v8
	v_ashrrev_i32_e32 v43, 10, v8
	s_delay_alu instid0(VALU_DEP_1) | instskip(NEXT) | instid1(VALU_DEP_1)
	v_sub_nc_u32_e32 v103, v43, v58
	v_cmpx_lt_i32_e32 0, v103
	s_cbranch_execz .LBB2_198
; %bb.131:                              ;   in Loop: Header=BB2_57 Depth=2
	s_trap 2
	ds_load_b32 v8, v0
	v_mov_b64_e32 v[118:119], v[66:67]
	s_mov_b32 s40, 0
	s_wait_dscnt 0x0
	v_lshlrev_b32_e32 v44, 16, v8
	s_branch .LBB2_133
.LBB2_132:                              ;   in Loop: Header=BB2_133 Depth=3
	s_or_b32 exec_lo, exec_lo, s41
	v_dual_lshrrev_b32 v47, 16, v47 :: v_dual_lshrrev_b32 v45, 16, v45
	v_dual_lshrrev_b32 v41, 16, v41 :: v_dual_lshrrev_b32 v40, 16, v40
	;; [unrolled: 1-line block ×3, first 2 shown]
	s_delay_alu instid0(VALU_DEP_3) | instskip(SKIP_1) | instid1(VALU_DEP_4)
	v_and_or_b32 v88, 0xffff0000, v46, v45
	v_dual_lshrrev_b32 v45, 16, v75 :: v_dual_sub_nc_u32 v103, v103, v32
	v_and_or_b32 v9, 0xffff0000, v9, v41
	v_lshrrev_b32_e32 v41, 16, v76
	v_and_or_b32 v89, 0xffff0000, v62, v47
	v_add_nc_u64_e32 v[46:47], v[116:117], v[118:119]
	v_cmp_gt_i32_e32 vcc_lo, 1, v103
	v_add_nc_u64_e32 v[118:119], v[118:119], v[50:51]
	v_and_or_b32 v90, 0xffff0000, v72, v63
	v_and_or_b32 v91, 0xffff0000, v74, v73
	v_and_or_b32 v8, 0xffff0000, v8, v40
	v_and_or_b32 v10, 0xffff0000, v10, v45
	v_and_or_b32 v11, 0xffff0000, v11, v41
	s_or_b32 s40, vcc_lo, s40
	s_clause 0x1
	global_store_b128 v[46:47], v[88:91], off th:TH_STORE_NT
	global_store_b128 v[46:47], v[8:11], off offset:512 th:TH_STORE_NT
	s_wait_xcnt 0x0
	s_and_not1_b32 exec_lo, exec_lo, s40
	s_cbranch_execz .LBB2_197
.LBB2_133:                              ;   Parent Loop BB2_47 Depth=1
                                        ;     Parent Loop BB2_57 Depth=2
                                        ; =>    This Inner Loop Header: Depth=3
	s_delay_alu instid0(VALU_DEP_2) | instskip(SKIP_3) | instid1(VALU_DEP_1)
	v_add_nc_u64_e32 v[40:41], v[114:115], v[118:119]
	global_load_b128 v[8:11], v[40:41], off th:TH_LOAD_NT
	s_wait_loadcnt 0x0
	v_lshlrev_b32_e32 v45, 16, v8
	v_mul_f32_e32 v46, v44, v45
	s_delay_alu instid0(VALU_DEP_1) | instskip(NEXT) | instid1(VALU_DEP_1)
	v_and_b32_e32 v45, 0x7f800000, v46
	v_cmp_ne_u32_e32 vcc_lo, 0x7f800000, v45
                                        ; implicit-def: $vgpr45
	s_wait_xcnt 0x0
	s_and_saveexec_b32 s41, vcc_lo
	s_delay_alu instid0(SALU_CYCLE_1)
	s_xor_b32 s41, exec_lo, s41
; %bb.134:                              ;   in Loop: Header=BB2_133 Depth=3
	v_bfe_u32 v45, v46, 16, 1
	s_delay_alu instid0(VALU_DEP_1)
	v_add3_u32 v45, v46, v45, 0x7fff
                                        ; implicit-def: $vgpr46
; %bb.135:                              ;   in Loop: Header=BB2_133 Depth=3
	s_and_not1_saveexec_b32 s41, s41
; %bb.136:                              ;   in Loop: Header=BB2_133 Depth=3
	v_and_b32_e32 v45, 0xffff, v46
	v_or_b32_e32 v47, 0x10000, v46
	s_delay_alu instid0(VALU_DEP_2) | instskip(NEXT) | instid1(VALU_DEP_2)
	v_cmp_eq_u32_e32 vcc_lo, 0, v45
	v_cndmask_b32_e32 v45, v47, v46, vcc_lo
; %bb.137:                              ;   in Loop: Header=BB2_133 Depth=3
	s_or_b32 exec_lo, exec_lo, s41
	v_and_b32_e32 v8, 0xffff0000, v8
	s_delay_alu instid0(VALU_DEP_1) | instskip(NEXT) | instid1(VALU_DEP_1)
	v_mul_f32_e32 v8, v44, v8
	v_and_b32_e32 v46, 0x7f800000, v8
	s_delay_alu instid0(VALU_DEP_1) | instskip(SKIP_1) | instid1(SALU_CYCLE_1)
	v_cmp_ne_u32_e32 vcc_lo, 0x7f800000, v46
                                        ; implicit-def: $vgpr46
	s_and_saveexec_b32 s41, vcc_lo
	s_xor_b32 s41, exec_lo, s41
; %bb.138:                              ;   in Loop: Header=BB2_133 Depth=3
	v_bfe_u32 v46, v8, 16, 1
	s_delay_alu instid0(VALU_DEP_1)
	v_add3_u32 v46, v8, v46, 0x7fff
                                        ; implicit-def: $vgpr8
; %bb.139:                              ;   in Loop: Header=BB2_133 Depth=3
	s_and_not1_saveexec_b32 s41, s41
; %bb.140:                              ;   in Loop: Header=BB2_133 Depth=3
	v_and_b32_e32 v46, 0xffff, v8
	v_or_b32_e32 v47, 0x10000, v8
	s_delay_alu instid0(VALU_DEP_2) | instskip(NEXT) | instid1(VALU_DEP_2)
	v_cmp_eq_u32_e32 vcc_lo, 0, v46
	v_cndmask_b32_e32 v46, v47, v8, vcc_lo
; %bb.141:                              ;   in Loop: Header=BB2_133 Depth=3
	s_or_b32 exec_lo, exec_lo, s41
	v_lshlrev_b32_e32 v8, 16, v9
	s_delay_alu instid0(VALU_DEP_1) | instskip(NEXT) | instid1(VALU_DEP_1)
	v_mul_f32_e32 v8, v44, v8
	v_and_b32_e32 v47, 0x7f800000, v8
	s_delay_alu instid0(VALU_DEP_1) | instskip(SKIP_1) | instid1(SALU_CYCLE_1)
	v_cmp_ne_u32_e32 vcc_lo, 0x7f800000, v47
                                        ; implicit-def: $vgpr47
	s_and_saveexec_b32 s41, vcc_lo
	s_xor_b32 s41, exec_lo, s41
; %bb.142:                              ;   in Loop: Header=BB2_133 Depth=3
	v_bfe_u32 v47, v8, 16, 1
	s_delay_alu instid0(VALU_DEP_1)
	v_add3_u32 v47, v8, v47, 0x7fff
                                        ; implicit-def: $vgpr8
; %bb.143:                              ;   in Loop: Header=BB2_133 Depth=3
	s_and_not1_saveexec_b32 s41, s41
; %bb.144:                              ;   in Loop: Header=BB2_133 Depth=3
	v_and_b32_e32 v47, 0xffff, v8
	v_or_b32_e32 v62, 0x10000, v8
	s_delay_alu instid0(VALU_DEP_2) | instskip(NEXT) | instid1(VALU_DEP_2)
	v_cmp_eq_u32_e32 vcc_lo, 0, v47
	v_cndmask_b32_e32 v47, v62, v8, vcc_lo
; %bb.145:                              ;   in Loop: Header=BB2_133 Depth=3
	s_or_b32 exec_lo, exec_lo, s41
	v_and_b32_e32 v8, 0xffff0000, v9
	s_mov_b32 s41, exec_lo
                                        ; implicit-def: $vgpr62
	s_delay_alu instid0(VALU_DEP_1) | instskip(NEXT) | instid1(VALU_DEP_1)
	v_mul_f32_e32 v8, v44, v8
	v_and_b32_e32 v9, 0x7f800000, v8
	s_delay_alu instid0(VALU_DEP_1)
	v_cmpx_ne_u32_e32 0x7f800000, v9
	s_xor_b32 s41, exec_lo, s41
; %bb.146:                              ;   in Loop: Header=BB2_133 Depth=3
	v_bfe_u32 v9, v8, 16, 1
	s_delay_alu instid0(VALU_DEP_1)
	v_add3_u32 v62, v8, v9, 0x7fff
                                        ; implicit-def: $vgpr8
; %bb.147:                              ;   in Loop: Header=BB2_133 Depth=3
	s_and_not1_saveexec_b32 s41, s41
; %bb.148:                              ;   in Loop: Header=BB2_133 Depth=3
	v_and_b32_e32 v9, 0xffff, v8
	v_or_b32_e32 v62, 0x10000, v8
	s_delay_alu instid0(VALU_DEP_2) | instskip(NEXT) | instid1(VALU_DEP_2)
	v_cmp_eq_u32_e32 vcc_lo, 0, v9
	v_cndmask_b32_e32 v62, v62, v8, vcc_lo
; %bb.149:                              ;   in Loop: Header=BB2_133 Depth=3
	s_or_b32 exec_lo, exec_lo, s41
	v_lshlrev_b32_e32 v8, 16, v10
	s_mov_b32 s41, exec_lo
                                        ; implicit-def: $vgpr63
	s_delay_alu instid0(VALU_DEP_1) | instskip(NEXT) | instid1(VALU_DEP_1)
	v_mul_f32_e32 v8, v44, v8
	v_and_b32_e32 v9, 0x7f800000, v8
	s_delay_alu instid0(VALU_DEP_1)
	v_cmpx_ne_u32_e32 0x7f800000, v9
	s_xor_b32 s41, exec_lo, s41
; %bb.150:                              ;   in Loop: Header=BB2_133 Depth=3
	v_bfe_u32 v9, v8, 16, 1
	s_delay_alu instid0(VALU_DEP_1)
	v_add3_u32 v63, v8, v9, 0x7fff
                                        ; implicit-def: $vgpr8
; %bb.151:                              ;   in Loop: Header=BB2_133 Depth=3
	s_and_not1_saveexec_b32 s41, s41
; %bb.152:                              ;   in Loop: Header=BB2_133 Depth=3
	v_and_b32_e32 v9, 0xffff, v8
	v_or_b32_e32 v63, 0x10000, v8
	s_delay_alu instid0(VALU_DEP_2) | instskip(NEXT) | instid1(VALU_DEP_2)
	v_cmp_eq_u32_e32 vcc_lo, 0, v9
	v_cndmask_b32_e32 v63, v63, v8, vcc_lo
; %bb.153:                              ;   in Loop: Header=BB2_133 Depth=3
	s_or_b32 exec_lo, exec_lo, s41
	v_and_b32_e32 v8, 0xffff0000, v10
	s_mov_b32 s41, exec_lo
                                        ; implicit-def: $vgpr72
	s_delay_alu instid0(VALU_DEP_1) | instskip(NEXT) | instid1(VALU_DEP_1)
	v_mul_f32_e32 v8, v44, v8
	v_and_b32_e32 v9, 0x7f800000, v8
	s_delay_alu instid0(VALU_DEP_1)
	v_cmpx_ne_u32_e32 0x7f800000, v9
	s_xor_b32 s41, exec_lo, s41
; %bb.154:                              ;   in Loop: Header=BB2_133 Depth=3
	v_bfe_u32 v9, v8, 16, 1
	s_delay_alu instid0(VALU_DEP_1)
	v_add3_u32 v72, v8, v9, 0x7fff
                                        ; implicit-def: $vgpr8
; %bb.155:                              ;   in Loop: Header=BB2_133 Depth=3
	s_and_not1_saveexec_b32 s41, s41
; %bb.156:                              ;   in Loop: Header=BB2_133 Depth=3
	v_and_b32_e32 v9, 0xffff, v8
	v_or_b32_e32 v10, 0x10000, v8
	s_delay_alu instid0(VALU_DEP_2) | instskip(NEXT) | instid1(VALU_DEP_2)
	v_cmp_eq_u32_e32 vcc_lo, 0, v9
	v_cndmask_b32_e32 v72, v10, v8, vcc_lo
; %bb.157:                              ;   in Loop: Header=BB2_133 Depth=3
	s_or_b32 exec_lo, exec_lo, s41
	v_lshlrev_b32_e32 v8, 16, v11
	s_mov_b32 s41, exec_lo
                                        ; implicit-def: $vgpr73
	s_delay_alu instid0(VALU_DEP_1) | instskip(NEXT) | instid1(VALU_DEP_1)
	v_mul_f32_e32 v8, v44, v8
	v_and_b32_e32 v9, 0x7f800000, v8
	s_delay_alu instid0(VALU_DEP_1)
	v_cmpx_ne_u32_e32 0x7f800000, v9
	s_xor_b32 s41, exec_lo, s41
; %bb.158:                              ;   in Loop: Header=BB2_133 Depth=3
	v_bfe_u32 v9, v8, 16, 1
	s_delay_alu instid0(VALU_DEP_1)
	v_add3_u32 v73, v8, v9, 0x7fff
                                        ; implicit-def: $vgpr8
; %bb.159:                              ;   in Loop: Header=BB2_133 Depth=3
	s_and_not1_saveexec_b32 s41, s41
; %bb.160:                              ;   in Loop: Header=BB2_133 Depth=3
	v_and_b32_e32 v9, 0xffff, v8
	v_or_b32_e32 v10, 0x10000, v8
	s_delay_alu instid0(VALU_DEP_2) | instskip(NEXT) | instid1(VALU_DEP_2)
	v_cmp_eq_u32_e32 vcc_lo, 0, v9
	v_cndmask_b32_e32 v73, v10, v8, vcc_lo
; %bb.161:                              ;   in Loop: Header=BB2_133 Depth=3
	s_or_b32 exec_lo, exec_lo, s41
	v_and_b32_e32 v8, 0xffff0000, v11
	s_mov_b32 s41, exec_lo
                                        ; implicit-def: $vgpr74
	s_delay_alu instid0(VALU_DEP_1) | instskip(NEXT) | instid1(VALU_DEP_1)
	v_mul_f32_e32 v8, v44, v8
	v_and_b32_e32 v9, 0x7f800000, v8
	s_delay_alu instid0(VALU_DEP_1)
	v_cmpx_ne_u32_e32 0x7f800000, v9
	s_xor_b32 s41, exec_lo, s41
; %bb.162:                              ;   in Loop: Header=BB2_133 Depth=3
	v_bfe_u32 v9, v8, 16, 1
	s_delay_alu instid0(VALU_DEP_1)
	v_add3_u32 v74, v8, v9, 0x7fff
                                        ; implicit-def: $vgpr8
; %bb.163:                              ;   in Loop: Header=BB2_133 Depth=3
	s_and_not1_saveexec_b32 s41, s41
; %bb.164:                              ;   in Loop: Header=BB2_133 Depth=3
	v_and_b32_e32 v9, 0xffff, v8
	v_or_b32_e32 v10, 0x10000, v8
	s_delay_alu instid0(VALU_DEP_2) | instskip(NEXT) | instid1(VALU_DEP_2)
	v_cmp_eq_u32_e32 vcc_lo, 0, v9
	v_cndmask_b32_e32 v74, v10, v8, vcc_lo
; %bb.165:                              ;   in Loop: Header=BB2_133 Depth=3
	s_or_b32 exec_lo, exec_lo, s41
	global_load_b128 v[8:11], v[40:41], off offset:512 th:TH_LOAD_NT
	s_wait_loadcnt 0x0
	v_lshlrev_b32_e32 v40, 16, v8
	s_delay_alu instid0(VALU_DEP_1) | instskip(NEXT) | instid1(VALU_DEP_1)
	v_mul_f32_e32 v41, v44, v40
	v_and_b32_e32 v40, 0x7f800000, v41
	s_delay_alu instid0(VALU_DEP_1) | instskip(SKIP_1) | instid1(SALU_CYCLE_1)
	v_cmp_ne_u32_e32 vcc_lo, 0x7f800000, v40
                                        ; implicit-def: $vgpr40
	s_and_saveexec_b32 s41, vcc_lo
	s_xor_b32 s41, exec_lo, s41
; %bb.166:                              ;   in Loop: Header=BB2_133 Depth=3
	v_bfe_u32 v40, v41, 16, 1
	s_delay_alu instid0(VALU_DEP_1)
	v_add3_u32 v40, v41, v40, 0x7fff
                                        ; implicit-def: $vgpr41
; %bb.167:                              ;   in Loop: Header=BB2_133 Depth=3
	s_and_not1_saveexec_b32 s41, s41
; %bb.168:                              ;   in Loop: Header=BB2_133 Depth=3
	v_and_b32_e32 v40, 0xffff, v41
	v_or_b32_e32 v75, 0x10000, v41
	s_delay_alu instid0(VALU_DEP_2) | instskip(NEXT) | instid1(VALU_DEP_2)
	v_cmp_eq_u32_e32 vcc_lo, 0, v40
	v_cndmask_b32_e32 v40, v75, v41, vcc_lo
; %bb.169:                              ;   in Loop: Header=BB2_133 Depth=3
	s_or_b32 exec_lo, exec_lo, s41
	v_and_b32_e32 v8, 0xffff0000, v8
	s_delay_alu instid0(VALU_DEP_1) | instskip(NEXT) | instid1(VALU_DEP_1)
	v_mul_f32_e32 v41, v44, v8
	v_and_b32_e32 v8, 0x7f800000, v41
	s_delay_alu instid0(VALU_DEP_1) | instskip(SKIP_1) | instid1(SALU_CYCLE_1)
	v_cmp_ne_u32_e32 vcc_lo, 0x7f800000, v8
                                        ; implicit-def: $vgpr8
	s_and_saveexec_b32 s41, vcc_lo
	s_xor_b32 s41, exec_lo, s41
; %bb.170:                              ;   in Loop: Header=BB2_133 Depth=3
	v_bfe_u32 v8, v41, 16, 1
	s_delay_alu instid0(VALU_DEP_1)
	v_add3_u32 v8, v41, v8, 0x7fff
                                        ; implicit-def: $vgpr41
; %bb.171:                              ;   in Loop: Header=BB2_133 Depth=3
	s_and_not1_saveexec_b32 s41, s41
; %bb.172:                              ;   in Loop: Header=BB2_133 Depth=3
	v_and_b32_e32 v8, 0xffff, v41
	v_or_b32_e32 v75, 0x10000, v41
	s_delay_alu instid0(VALU_DEP_2) | instskip(NEXT) | instid1(VALU_DEP_2)
	v_cmp_eq_u32_e32 vcc_lo, 0, v8
	v_cndmask_b32_e32 v8, v75, v41, vcc_lo
; %bb.173:                              ;   in Loop: Header=BB2_133 Depth=3
	s_or_b32 exec_lo, exec_lo, s41
	v_lshlrev_b32_e32 v41, 16, v9
	s_delay_alu instid0(VALU_DEP_1) | instskip(NEXT) | instid1(VALU_DEP_1)
	v_mul_f32_e32 v75, v44, v41
	v_and_b32_e32 v41, 0x7f800000, v75
	s_delay_alu instid0(VALU_DEP_1) | instskip(SKIP_1) | instid1(SALU_CYCLE_1)
	v_cmp_ne_u32_e32 vcc_lo, 0x7f800000, v41
                                        ; implicit-def: $vgpr41
	s_and_saveexec_b32 s41, vcc_lo
	s_xor_b32 s41, exec_lo, s41
; %bb.174:                              ;   in Loop: Header=BB2_133 Depth=3
	v_bfe_u32 v41, v75, 16, 1
	s_delay_alu instid0(VALU_DEP_1)
	v_add3_u32 v41, v75, v41, 0x7fff
                                        ; implicit-def: $vgpr75
; %bb.175:                              ;   in Loop: Header=BB2_133 Depth=3
	s_and_not1_saveexec_b32 s41, s41
; %bb.176:                              ;   in Loop: Header=BB2_133 Depth=3
	v_and_b32_e32 v41, 0xffff, v75
	v_or_b32_e32 v76, 0x10000, v75
	s_delay_alu instid0(VALU_DEP_2) | instskip(NEXT) | instid1(VALU_DEP_2)
	v_cmp_eq_u32_e32 vcc_lo, 0, v41
	v_cndmask_b32_e32 v41, v76, v75, vcc_lo
; %bb.177:                              ;   in Loop: Header=BB2_133 Depth=3
	s_or_b32 exec_lo, exec_lo, s41
	v_and_b32_e32 v9, 0xffff0000, v9
	s_delay_alu instid0(VALU_DEP_1) | instskip(NEXT) | instid1(VALU_DEP_1)
	v_mul_f32_e32 v75, v44, v9
	v_and_b32_e32 v9, 0x7f800000, v75
	s_delay_alu instid0(VALU_DEP_1) | instskip(SKIP_1) | instid1(SALU_CYCLE_1)
	v_cmp_ne_u32_e32 vcc_lo, 0x7f800000, v9
                                        ; implicit-def: $vgpr9
	s_and_saveexec_b32 s41, vcc_lo
	s_xor_b32 s41, exec_lo, s41
; %bb.178:                              ;   in Loop: Header=BB2_133 Depth=3
	v_bfe_u32 v9, v75, 16, 1
	s_delay_alu instid0(VALU_DEP_1)
	v_add3_u32 v9, v75, v9, 0x7fff
                                        ; implicit-def: $vgpr75
; %bb.179:                              ;   in Loop: Header=BB2_133 Depth=3
	s_and_not1_saveexec_b32 s41, s41
; %bb.180:                              ;   in Loop: Header=BB2_133 Depth=3
	v_and_b32_e32 v9, 0xffff, v75
	v_or_b32_e32 v76, 0x10000, v75
	s_delay_alu instid0(VALU_DEP_2) | instskip(NEXT) | instid1(VALU_DEP_2)
	v_cmp_eq_u32_e32 vcc_lo, 0, v9
	v_cndmask_b32_e32 v9, v76, v75, vcc_lo
; %bb.181:                              ;   in Loop: Header=BB2_133 Depth=3
	s_or_b32 exec_lo, exec_lo, s41
	v_lshlrev_b32_e32 v75, 16, v10
	s_delay_alu instid0(VALU_DEP_1) | instskip(NEXT) | instid1(VALU_DEP_1)
	v_mul_f32_e32 v76, v44, v75
	v_and_b32_e32 v75, 0x7f800000, v76
	s_delay_alu instid0(VALU_DEP_1) | instskip(SKIP_1) | instid1(SALU_CYCLE_1)
	v_cmp_ne_u32_e32 vcc_lo, 0x7f800000, v75
                                        ; implicit-def: $vgpr75
	s_and_saveexec_b32 s41, vcc_lo
	s_xor_b32 s41, exec_lo, s41
; %bb.182:                              ;   in Loop: Header=BB2_133 Depth=3
	v_bfe_u32 v75, v76, 16, 1
	s_delay_alu instid0(VALU_DEP_1)
	v_add3_u32 v75, v76, v75, 0x7fff
                                        ; implicit-def: $vgpr76
; %bb.183:                              ;   in Loop: Header=BB2_133 Depth=3
	s_and_not1_saveexec_b32 s41, s41
; %bb.184:                              ;   in Loop: Header=BB2_133 Depth=3
	v_and_b32_e32 v75, 0xffff, v76
	v_or_b32_e32 v77, 0x10000, v76
	s_delay_alu instid0(VALU_DEP_2) | instskip(NEXT) | instid1(VALU_DEP_2)
	v_cmp_eq_u32_e32 vcc_lo, 0, v75
	v_cndmask_b32_e32 v75, v77, v76, vcc_lo
; %bb.185:                              ;   in Loop: Header=BB2_133 Depth=3
	s_or_b32 exec_lo, exec_lo, s41
	v_and_b32_e32 v10, 0xffff0000, v10
	s_delay_alu instid0(VALU_DEP_1) | instskip(NEXT) | instid1(VALU_DEP_1)
	v_mul_f32_e32 v76, v44, v10
	v_and_b32_e32 v10, 0x7f800000, v76
	s_delay_alu instid0(VALU_DEP_1) | instskip(SKIP_1) | instid1(SALU_CYCLE_1)
	v_cmp_ne_u32_e32 vcc_lo, 0x7f800000, v10
                                        ; implicit-def: $vgpr10
	s_and_saveexec_b32 s41, vcc_lo
	s_xor_b32 s41, exec_lo, s41
; %bb.186:                              ;   in Loop: Header=BB2_133 Depth=3
	v_bfe_u32 v10, v76, 16, 1
	s_delay_alu instid0(VALU_DEP_1)
	v_add3_u32 v10, v76, v10, 0x7fff
                                        ; implicit-def: $vgpr76
; %bb.187:                              ;   in Loop: Header=BB2_133 Depth=3
	s_and_not1_saveexec_b32 s41, s41
; %bb.188:                              ;   in Loop: Header=BB2_133 Depth=3
	v_and_b32_e32 v10, 0xffff, v76
	v_or_b32_e32 v77, 0x10000, v76
	s_delay_alu instid0(VALU_DEP_2) | instskip(NEXT) | instid1(VALU_DEP_2)
	v_cmp_eq_u32_e32 vcc_lo, 0, v10
	v_cndmask_b32_e32 v10, v77, v76, vcc_lo
; %bb.189:                              ;   in Loop: Header=BB2_133 Depth=3
	s_or_b32 exec_lo, exec_lo, s41
	v_lshlrev_b32_e32 v76, 16, v11
	s_delay_alu instid0(VALU_DEP_1) | instskip(NEXT) | instid1(VALU_DEP_1)
	v_mul_f32_e32 v77, v44, v76
	v_and_b32_e32 v76, 0x7f800000, v77
	s_delay_alu instid0(VALU_DEP_1) | instskip(SKIP_1) | instid1(SALU_CYCLE_1)
	v_cmp_ne_u32_e32 vcc_lo, 0x7f800000, v76
                                        ; implicit-def: $vgpr76
	s_and_saveexec_b32 s41, vcc_lo
	s_xor_b32 s41, exec_lo, s41
; %bb.190:                              ;   in Loop: Header=BB2_133 Depth=3
	v_bfe_u32 v76, v77, 16, 1
	s_delay_alu instid0(VALU_DEP_1)
	v_add3_u32 v76, v77, v76, 0x7fff
                                        ; implicit-def: $vgpr77
; %bb.191:                              ;   in Loop: Header=BB2_133 Depth=3
	s_and_not1_saveexec_b32 s41, s41
; %bb.192:                              ;   in Loop: Header=BB2_133 Depth=3
	v_and_b32_e32 v76, 0xffff, v77
	v_or_b32_e32 v78, 0x10000, v77
	s_delay_alu instid0(VALU_DEP_2) | instskip(NEXT) | instid1(VALU_DEP_2)
	v_cmp_eq_u32_e32 vcc_lo, 0, v76
	v_cndmask_b32_e32 v76, v78, v77, vcc_lo
; %bb.193:                              ;   in Loop: Header=BB2_133 Depth=3
	s_or_b32 exec_lo, exec_lo, s41
	v_and_b32_e32 v11, 0xffff0000, v11
	s_delay_alu instid0(VALU_DEP_1) | instskip(NEXT) | instid1(VALU_DEP_1)
	v_mul_f32_e32 v77, v44, v11
	v_and_b32_e32 v11, 0x7f800000, v77
	s_delay_alu instid0(VALU_DEP_1) | instskip(SKIP_1) | instid1(SALU_CYCLE_1)
	v_cmp_ne_u32_e32 vcc_lo, 0x7f800000, v11
                                        ; implicit-def: $vgpr11
	s_and_saveexec_b32 s41, vcc_lo
	s_xor_b32 s41, exec_lo, s41
; %bb.194:                              ;   in Loop: Header=BB2_133 Depth=3
	v_bfe_u32 v11, v77, 16, 1
	s_delay_alu instid0(VALU_DEP_1)
	v_add3_u32 v11, v77, v11, 0x7fff
                                        ; implicit-def: $vgpr77
; %bb.195:                              ;   in Loop: Header=BB2_133 Depth=3
	s_and_not1_saveexec_b32 s41, s41
	s_cbranch_execz .LBB2_132
; %bb.196:                              ;   in Loop: Header=BB2_133 Depth=3
	v_and_b32_e32 v11, 0xffff, v77
	v_or_b32_e32 v78, 0x10000, v77
	s_delay_alu instid0(VALU_DEP_2) | instskip(NEXT) | instid1(VALU_DEP_2)
	v_cmp_eq_u32_e32 vcc_lo, 0, v11
	v_cndmask_b32_e32 v11, v78, v77, vcc_lo
	s_branch .LBB2_132
.LBB2_197:                              ;   in Loop: Header=BB2_57 Depth=2
	s_or_b32 exec_lo, exec_lo, s40
.LBB2_198:                              ;   in Loop: Header=BB2_57 Depth=2
	s_delay_alu instid0(SALU_CYCLE_1) | instskip(SKIP_3) | instid1(VALU_DEP_1)
	s_or_b32 exec_lo, exec_lo, s13
	v_dual_mov_b32 v43, 0 :: v_dual_lshlrev_b32 v40, 10, v43
	s_mov_b32 s41, 0
	s_mov_b32 s40, exec_lo
                                        ; implicit-def: $vgpr44
	v_cmpx_ne_u32_e64 v101, v40
	s_cbranch_execz .LBB2_236
; %bb.199:                              ;   in Loop: Header=BB2_57 Depth=2
	v_dual_lshlrev_b32 v8, 5, v103 :: v_dual_sub_nc_u32 v10, v101, v40
	s_mov_b32 s41, exec_lo
	s_delay_alu instid0(VALU_DEP_1) | instskip(NEXT) | instid1(VALU_DEP_1)
	v_dual_sub_nc_u32 v8, v57, v8 :: v_dual_ashrrev_i32 v11, 31, v10
	v_dual_ashrrev_i32 v9, 31, v8 :: v_dual_lshrrev_b32 v11, 23, v11
	s_delay_alu instid0(VALU_DEP_1) | instskip(NEXT) | instid1(VALU_DEP_1)
	v_lshrrev_b32_e32 v9, 27, v9
	v_dual_add_nc_u32 v9, v8, v9 :: v_dual_add_nc_u32 v11, v10, v11
	s_delay_alu instid0(VALU_DEP_1) | instskip(SKIP_1) | instid1(VALU_DEP_3)
	v_and_b32_e32 v103, 0xffffffe0, v9
	v_ashrrev_i32_e32 v9, 5, v9
	v_and_b32_e32 v41, 0xfffffe00, v11
	v_ashrrev_i32_e32 v11, 9, v11
	s_delay_alu instid0(VALU_DEP_2) | instskip(NEXT) | instid1(VALU_DEP_1)
	v_dual_sub_nc_u32 v103, v8, v103 :: v_dual_sub_nc_u32 v43, v10, v41
	v_cmp_lt_i32_e32 vcc_lo, 15, v43
	s_delay_alu instid0(VALU_DEP_3) | instskip(NEXT) | instid1(VALU_DEP_1)
	v_add_co_ci_u32_e64 v11, null, 0, v11, vcc_lo
	v_dual_lshlrev_b32 v8, 4, v103 :: v_dual_sub_nc_u32 v44, v11, v9
	s_delay_alu instid0(VALU_DEP_1) | instskip(NEXT) | instid1(VALU_DEP_1)
	v_lshl_add_u32 v8, v9, 9, v8
	v_sub_nc_u32_e32 v45, v10, v8
	s_delay_alu instid0(VALU_DEP_1)
	v_cmpx_lt_i32_e32 15, v45
	s_cbranch_execz .LBB2_235
; %bb.200:                              ;   in Loop: Header=BB2_57 Depth=2
	s_trap 2
	ds_load_b32 v9, v0
	v_add_nc_u32_e32 v118, v8, v40
	s_mov_b32 s60, 0
	s_wait_dscnt 0x0
	s_delay_alu instid0(VALU_DEP_1)
	v_dual_lshlrev_b32 v46, 16, v9 :: v_dual_ashrrev_i32 v119, 31, v118
	s_branch .LBB2_202
.LBB2_201:                              ;   in Loop: Header=BB2_202 Depth=3
	s_or_b32 exec_lo, exec_lo, s61
	v_dual_lshrrev_b32 v62, 16, v62 :: v_dual_lshrrev_b32 v47, 16, v47
	v_dual_lshrrev_b32 v63, 16, v63 :: v_dual_sub_nc_u32 v45, v45, v52
	v_add_nc_u64_e32 v[74:75], v[116:117], v[118:119]
	s_delay_alu instid0(VALU_DEP_3)
	v_and_or_b32 v9, 0xffff0000, v9, v62
	v_lshrrev_b32_e32 v62, 16, v72
	v_add_nc_u64_e32 v[118:119], v[118:119], v[52:53]
	v_cmp_gt_i32_e64 s13, 16, v45
	v_and_or_b32 v8, 0xffff0000, v8, v47
	v_and_or_b32 v10, 0xffff0000, v10, v63
	;; [unrolled: 1-line block ×3, first 2 shown]
	v_sub_nc_u32_e32 v44, v44, v32
	s_or_b32 s60, s13, s60
	global_store_b128 v[74:75], v[8:11], off th:TH_STORE_NT
	s_wait_xcnt 0x0
	s_and_not1_b32 exec_lo, exec_lo, s60
	s_cbranch_execz .LBB2_234
.LBB2_202:                              ;   Parent Loop BB2_47 Depth=1
                                        ;     Parent Loop BB2_57 Depth=2
                                        ; =>    This Inner Loop Header: Depth=3
	s_delay_alu instid0(VALU_DEP_1) | instskip(SKIP_3) | instid1(VALU_DEP_1)
	v_add_nc_u64_e32 v[8:9], v[114:115], v[118:119]
	global_load_b128 v[8:11], v[8:9], off th:TH_LOAD_NT
	s_wait_loadcnt 0x0
	v_lshlrev_b32_e32 v47, 16, v8
	v_mul_f32_e32 v62, v46, v47
	s_delay_alu instid0(VALU_DEP_1) | instskip(NEXT) | instid1(VALU_DEP_1)
	v_and_b32_e32 v47, 0x7f800000, v62
	v_cmp_ne_u32_e64 s13, 0x7f800000, v47
                                        ; implicit-def: $vgpr47
	s_wait_xcnt 0x0
	s_and_saveexec_b32 s61, s13
	s_delay_alu instid0(SALU_CYCLE_1)
	s_xor_b32 s13, exec_lo, s61
; %bb.203:                              ;   in Loop: Header=BB2_202 Depth=3
	v_bfe_u32 v47, v62, 16, 1
	s_delay_alu instid0(VALU_DEP_1)
	v_add3_u32 v47, v62, v47, 0x7fff
                                        ; implicit-def: $vgpr62
; %bb.204:                              ;   in Loop: Header=BB2_202 Depth=3
	s_and_not1_saveexec_b32 s61, s13
; %bb.205:                              ;   in Loop: Header=BB2_202 Depth=3
	v_and_b32_e32 v47, 0xffff, v62
	v_or_b32_e32 v63, 0x10000, v62
	s_delay_alu instid0(VALU_DEP_2) | instskip(NEXT) | instid1(VALU_DEP_1)
	v_cmp_eq_u32_e64 s13, 0, v47
	v_cndmask_b32_e64 v47, v63, v62, s13
; %bb.206:                              ;   in Loop: Header=BB2_202 Depth=3
	s_or_b32 exec_lo, exec_lo, s61
	v_and_b32_e32 v8, 0xffff0000, v8
	s_delay_alu instid0(VALU_DEP_1) | instskip(NEXT) | instid1(VALU_DEP_1)
	v_mul_f32_e32 v62, v46, v8
	v_and_b32_e32 v8, 0x7f800000, v62
	s_delay_alu instid0(VALU_DEP_1) | instskip(SKIP_1) | instid1(SALU_CYCLE_1)
	v_cmp_ne_u32_e64 s13, 0x7f800000, v8
                                        ; implicit-def: $vgpr8
	s_and_saveexec_b32 s61, s13
	s_xor_b32 s13, exec_lo, s61
; %bb.207:                              ;   in Loop: Header=BB2_202 Depth=3
	v_bfe_u32 v8, v62, 16, 1
	s_delay_alu instid0(VALU_DEP_1)
	v_add3_u32 v8, v62, v8, 0x7fff
                                        ; implicit-def: $vgpr62
; %bb.208:                              ;   in Loop: Header=BB2_202 Depth=3
	s_and_not1_saveexec_b32 s61, s13
; %bb.209:                              ;   in Loop: Header=BB2_202 Depth=3
	v_and_b32_e32 v8, 0xffff, v62
	v_or_b32_e32 v63, 0x10000, v62
	s_delay_alu instid0(VALU_DEP_2) | instskip(NEXT) | instid1(VALU_DEP_1)
	v_cmp_eq_u32_e64 s13, 0, v8
	v_cndmask_b32_e64 v8, v63, v62, s13
; %bb.210:                              ;   in Loop: Header=BB2_202 Depth=3
	s_or_b32 exec_lo, exec_lo, s61
	v_lshlrev_b32_e32 v62, 16, v9
	s_delay_alu instid0(VALU_DEP_1) | instskip(NEXT) | instid1(VALU_DEP_1)
	v_mul_f32_e32 v63, v46, v62
	v_and_b32_e32 v62, 0x7f800000, v63
	s_delay_alu instid0(VALU_DEP_1) | instskip(SKIP_1) | instid1(SALU_CYCLE_1)
	v_cmp_ne_u32_e64 s13, 0x7f800000, v62
                                        ; implicit-def: $vgpr62
	s_and_saveexec_b32 s61, s13
	s_xor_b32 s13, exec_lo, s61
; %bb.211:                              ;   in Loop: Header=BB2_202 Depth=3
	v_bfe_u32 v62, v63, 16, 1
	s_delay_alu instid0(VALU_DEP_1)
	v_add3_u32 v62, v63, v62, 0x7fff
                                        ; implicit-def: $vgpr63
; %bb.212:                              ;   in Loop: Header=BB2_202 Depth=3
	s_and_not1_saveexec_b32 s61, s13
; %bb.213:                              ;   in Loop: Header=BB2_202 Depth=3
	v_and_b32_e32 v62, 0xffff, v63
	v_or_b32_e32 v72, 0x10000, v63
	s_delay_alu instid0(VALU_DEP_2) | instskip(NEXT) | instid1(VALU_DEP_1)
	v_cmp_eq_u32_e64 s13, 0, v62
	v_cndmask_b32_e64 v62, v72, v63, s13
; %bb.214:                              ;   in Loop: Header=BB2_202 Depth=3
	s_or_b32 exec_lo, exec_lo, s61
	v_and_b32_e32 v9, 0xffff0000, v9
	s_delay_alu instid0(VALU_DEP_1) | instskip(NEXT) | instid1(VALU_DEP_1)
	v_mul_f32_e32 v63, v46, v9
	v_and_b32_e32 v9, 0x7f800000, v63
	s_delay_alu instid0(VALU_DEP_1) | instskip(SKIP_1) | instid1(SALU_CYCLE_1)
	v_cmp_ne_u32_e64 s13, 0x7f800000, v9
                                        ; implicit-def: $vgpr9
	s_and_saveexec_b32 s61, s13
	s_xor_b32 s13, exec_lo, s61
; %bb.215:                              ;   in Loop: Header=BB2_202 Depth=3
	v_bfe_u32 v9, v63, 16, 1
	s_delay_alu instid0(VALU_DEP_1)
	v_add3_u32 v9, v63, v9, 0x7fff
                                        ; implicit-def: $vgpr63
; %bb.216:                              ;   in Loop: Header=BB2_202 Depth=3
	s_and_not1_saveexec_b32 s61, s13
; %bb.217:                              ;   in Loop: Header=BB2_202 Depth=3
	v_and_b32_e32 v9, 0xffff, v63
	v_or_b32_e32 v72, 0x10000, v63
	s_delay_alu instid0(VALU_DEP_2) | instskip(NEXT) | instid1(VALU_DEP_1)
	v_cmp_eq_u32_e64 s13, 0, v9
	v_cndmask_b32_e64 v9, v72, v63, s13
; %bb.218:                              ;   in Loop: Header=BB2_202 Depth=3
	s_or_b32 exec_lo, exec_lo, s61
	v_lshlrev_b32_e32 v63, 16, v10
	s_delay_alu instid0(VALU_DEP_1) | instskip(NEXT) | instid1(VALU_DEP_1)
	v_mul_f32_e32 v72, v46, v63
	v_and_b32_e32 v63, 0x7f800000, v72
	s_delay_alu instid0(VALU_DEP_1) | instskip(SKIP_1) | instid1(SALU_CYCLE_1)
	v_cmp_ne_u32_e64 s13, 0x7f800000, v63
                                        ; implicit-def: $vgpr63
	s_and_saveexec_b32 s61, s13
	s_xor_b32 s13, exec_lo, s61
; %bb.219:                              ;   in Loop: Header=BB2_202 Depth=3
	v_bfe_u32 v63, v72, 16, 1
	s_delay_alu instid0(VALU_DEP_1)
	v_add3_u32 v63, v72, v63, 0x7fff
                                        ; implicit-def: $vgpr72
; %bb.220:                              ;   in Loop: Header=BB2_202 Depth=3
	s_and_not1_saveexec_b32 s61, s13
; %bb.221:                              ;   in Loop: Header=BB2_202 Depth=3
	v_and_b32_e32 v63, 0xffff, v72
	v_or_b32_e32 v73, 0x10000, v72
	s_delay_alu instid0(VALU_DEP_2) | instskip(NEXT) | instid1(VALU_DEP_1)
	v_cmp_eq_u32_e64 s13, 0, v63
	v_cndmask_b32_e64 v63, v73, v72, s13
; %bb.222:                              ;   in Loop: Header=BB2_202 Depth=3
	s_or_b32 exec_lo, exec_lo, s61
	v_and_b32_e32 v10, 0xffff0000, v10
	s_delay_alu instid0(VALU_DEP_1) | instskip(NEXT) | instid1(VALU_DEP_1)
	v_mul_f32_e32 v72, v46, v10
	v_and_b32_e32 v10, 0x7f800000, v72
	s_delay_alu instid0(VALU_DEP_1) | instskip(SKIP_1) | instid1(SALU_CYCLE_1)
	v_cmp_ne_u32_e64 s13, 0x7f800000, v10
                                        ; implicit-def: $vgpr10
	s_and_saveexec_b32 s61, s13
	s_xor_b32 s13, exec_lo, s61
; %bb.223:                              ;   in Loop: Header=BB2_202 Depth=3
	v_bfe_u32 v10, v72, 16, 1
	s_delay_alu instid0(VALU_DEP_1)
	v_add3_u32 v10, v72, v10, 0x7fff
                                        ; implicit-def: $vgpr72
; %bb.224:                              ;   in Loop: Header=BB2_202 Depth=3
	s_and_not1_saveexec_b32 s61, s13
; %bb.225:                              ;   in Loop: Header=BB2_202 Depth=3
	v_and_b32_e32 v10, 0xffff, v72
	v_or_b32_e32 v73, 0x10000, v72
	s_delay_alu instid0(VALU_DEP_2) | instskip(NEXT) | instid1(VALU_DEP_1)
	v_cmp_eq_u32_e64 s13, 0, v10
	v_cndmask_b32_e64 v10, v73, v72, s13
; %bb.226:                              ;   in Loop: Header=BB2_202 Depth=3
	s_or_b32 exec_lo, exec_lo, s61
	v_lshlrev_b32_e32 v72, 16, v11
	s_delay_alu instid0(VALU_DEP_1) | instskip(NEXT) | instid1(VALU_DEP_1)
	v_mul_f32_e32 v73, v46, v72
	v_and_b32_e32 v72, 0x7f800000, v73
	s_delay_alu instid0(VALU_DEP_1) | instskip(SKIP_1) | instid1(SALU_CYCLE_1)
	v_cmp_ne_u32_e64 s13, 0x7f800000, v72
                                        ; implicit-def: $vgpr72
	s_and_saveexec_b32 s61, s13
	s_xor_b32 s13, exec_lo, s61
; %bb.227:                              ;   in Loop: Header=BB2_202 Depth=3
	v_bfe_u32 v72, v73, 16, 1
	s_delay_alu instid0(VALU_DEP_1)
	v_add3_u32 v72, v73, v72, 0x7fff
                                        ; implicit-def: $vgpr73
; %bb.228:                              ;   in Loop: Header=BB2_202 Depth=3
	s_and_not1_saveexec_b32 s61, s13
; %bb.229:                              ;   in Loop: Header=BB2_202 Depth=3
	v_and_b32_e32 v72, 0xffff, v73
	v_or_b32_e32 v74, 0x10000, v73
	s_delay_alu instid0(VALU_DEP_2) | instskip(NEXT) | instid1(VALU_DEP_1)
	v_cmp_eq_u32_e64 s13, 0, v72
	v_cndmask_b32_e64 v72, v74, v73, s13
; %bb.230:                              ;   in Loop: Header=BB2_202 Depth=3
	s_or_b32 exec_lo, exec_lo, s61
	v_and_b32_e32 v11, 0xffff0000, v11
	s_delay_alu instid0(VALU_DEP_1) | instskip(NEXT) | instid1(VALU_DEP_1)
	v_mul_f32_e32 v73, v46, v11
	v_and_b32_e32 v11, 0x7f800000, v73
	s_delay_alu instid0(VALU_DEP_1) | instskip(SKIP_1) | instid1(SALU_CYCLE_1)
	v_cmp_ne_u32_e64 s13, 0x7f800000, v11
                                        ; implicit-def: $vgpr11
	s_and_saveexec_b32 s61, s13
	s_xor_b32 s13, exec_lo, s61
; %bb.231:                              ;   in Loop: Header=BB2_202 Depth=3
	v_bfe_u32 v11, v73, 16, 1
	s_delay_alu instid0(VALU_DEP_1)
	v_add3_u32 v11, v73, v11, 0x7fff
                                        ; implicit-def: $vgpr73
; %bb.232:                              ;   in Loop: Header=BB2_202 Depth=3
	s_and_not1_saveexec_b32 s61, s13
	s_cbranch_execz .LBB2_201
; %bb.233:                              ;   in Loop: Header=BB2_202 Depth=3
	v_and_b32_e32 v11, 0xffff, v73
	v_or_b32_e32 v74, 0x10000, v73
	s_delay_alu instid0(VALU_DEP_2) | instskip(NEXT) | instid1(VALU_DEP_1)
	v_cmp_eq_u32_e64 s13, 0, v11
	v_cndmask_b32_e64 v11, v74, v73, s13
	s_branch .LBB2_201
.LBB2_234:                              ;   in Loop: Header=BB2_57 Depth=2
	s_or_b32 exec_lo, exec_lo, s60
.LBB2_235:                              ;   in Loop: Header=BB2_57 Depth=2
	s_delay_alu instid0(SALU_CYCLE_1) | instskip(SKIP_1) | instid1(VALU_DEP_1)
	s_or_b32 exec_lo, exec_lo, s41
	v_cmp_lt_i32_e64 s13, 0, v44
	v_dual_cndmask_b32 v10, 0, v32, s13 :: v_dual_bitop2_b32 v8, 14, v101 bitop3:0x40
	s_delay_alu instid0(VALU_DEP_1) | instskip(NEXT) | instid1(VALU_DEP_1)
	v_dual_sub_nc_u32 v9, v43, v8 :: v_dual_cndmask_b32 v101, v43, v8, vcc_lo
	v_dual_cndmask_b32 v8, 0, v9 :: v_dual_sub_nc_u32 v9, v10, v44
	s_delay_alu instid0(VALU_DEP_2) | instskip(NEXT) | instid1(VALU_DEP_2)
	v_cmp_ne_u32_e32 vcc_lo, 0, v101
	v_add3_u32 v43, v41, v40, v8
	s_delay_alu instid0(VALU_DEP_3)
	v_lshl_add_u32 v44, v9, 5, v103
	s_and_b32 s41, vcc_lo, exec_lo
.LBB2_236:                              ;   in Loop: Header=BB2_57 Depth=2
	s_or_b32 exec_lo, exec_lo, s40
	s_and_saveexec_b32 s13, s41
	s_cbranch_execz .LBB2_265
.LBB2_237:                              ;   in Loop: Header=BB2_57 Depth=2
	s_delay_alu instid0(VALU_DEP_1) | instskip(SKIP_1) | instid1(VALU_DEP_1)
	v_dual_ashrrev_i32 v8, 31, v44 :: v_dual_ashrrev_i32 v9, 31, v101
	s_mov_b32 s40, exec_lo
	v_dual_lshrrev_b32 v8, 27, v8 :: v_dual_lshrrev_b32 v9, 24, v9
	s_delay_alu instid0(VALU_DEP_1) | instskip(NEXT) | instid1(VALU_DEP_1)
	v_dual_add_nc_u32 v8, v44, v8 :: v_dual_add_nc_u32 v9, v101, v9
	v_dual_ashrrev_i32 v103, 5, v8 :: v_dual_ashrrev_i32 v46, 8, v9
	s_delay_alu instid0(VALU_DEP_1) | instskip(NEXT) | instid1(VALU_DEP_1)
	v_sub_nc_u32_e32 v45, v46, v103
	v_cmpx_lt_i32_e32 0, v45
	s_cbranch_execz .LBB2_257
; %bb.238:                              ;   in Loop: Header=BB2_57 Depth=2
	s_trap 2
	ds_load_b32 v118, v0
	v_and_b32_e32 v8, 0x7fffffe0, v8
	v_mov_b64_e32 v[10:11], v[116:117]
	s_mov_b32 s41, 0
	s_delay_alu instid0(VALU_DEP_2) | instskip(SKIP_1) | instid1(VALU_DEP_1)
	v_dual_lshlrev_b32 v9, 8, v103 :: v_dual_sub_nc_u32 v8, v44, v8
	s_wait_dscnt 0x0
	v_dual_lshlrev_b32 v8, 1, v8 :: v_dual_lshlrev_b32 v47, 16, v118
	s_delay_alu instid0(VALU_DEP_1) | instskip(SKIP_1) | instid1(VALU_DEP_2)
	v_add3_u32 v8, v8, v43, v9
	v_mov_b64_e32 v[118:119], v[114:115]
	v_ashrrev_i32_e32 v9, 31, v8
	s_branch .LBB2_240
.LBB2_239:                              ;   in Loop: Header=BB2_240 Depth=3
	s_or_b32 exec_lo, exec_lo, s60
	v_sub_nc_u32_e32 v45, v45, v32
	v_add_nc_u64_e32 v[74:75], v[8:9], v[10:11]
	v_add_nc_u64_e32 v[118:119], v[118:119], v[54:55]
	;; [unrolled: 1-line block ×3, first 2 shown]
	s_clause 0x3
	flat_store_d16_hi_b16 v[74:75], v62 th:TH_STORE_NT
	flat_store_d16_hi_b16 v[74:75], v63 offset:64 th:TH_STORE_NT
	flat_store_d16_hi_b16 v[74:75], v72 offset:128 th:TH_STORE_NT
	flat_store_d16_hi_b16 v[74:75], v40 offset:192 th:TH_STORE_NT
	v_cmp_gt_i32_e32 vcc_lo, 1, v45
	s_or_b32 s41, vcc_lo, s41
	s_wait_xcnt 0x0
	s_and_not1_b32 exec_lo, exec_lo, s41
	s_cbranch_execz .LBB2_256
.LBB2_240:                              ;   Parent Loop BB2_47 Depth=1
                                        ;     Parent Loop BB2_57 Depth=2
                                        ; =>    This Inner Loop Header: Depth=3
	s_delay_alu instid0(VALU_DEP_1) | instskip(SKIP_3) | instid1(VALU_DEP_1)
	v_add_nc_u64_e32 v[40:41], v[8:9], v[118:119]
	flat_load_u16 v62, v[40:41] th:TH_LOAD_NT
	s_wait_loadcnt_dscnt 0x0
	v_lshlrev_b32_e32 v62, 16, v62
	v_mul_f32_e32 v63, v47, v62
	s_delay_alu instid0(VALU_DEP_1) | instskip(NEXT) | instid1(VALU_DEP_1)
	v_and_b32_e32 v62, 0x7f800000, v63
	v_cmp_ne_u32_e32 vcc_lo, 0x7f800000, v62
                                        ; implicit-def: $vgpr62
	s_wait_xcnt 0x0
	s_and_saveexec_b32 s60, vcc_lo
	s_delay_alu instid0(SALU_CYCLE_1)
	s_xor_b32 s60, exec_lo, s60
; %bb.241:                              ;   in Loop: Header=BB2_240 Depth=3
	v_bfe_u32 v62, v63, 16, 1
	s_delay_alu instid0(VALU_DEP_1)
	v_add3_u32 v62, v63, v62, 0x7fff
                                        ; implicit-def: $vgpr63
; %bb.242:                              ;   in Loop: Header=BB2_240 Depth=3
	s_and_not1_saveexec_b32 s60, s60
; %bb.243:                              ;   in Loop: Header=BB2_240 Depth=3
	v_and_b32_e32 v62, 0xffff, v63
	v_or_b32_e32 v72, 0x10000, v63
	s_delay_alu instid0(VALU_DEP_2) | instskip(NEXT) | instid1(VALU_DEP_2)
	v_cmp_eq_u32_e32 vcc_lo, 0, v62
	v_cndmask_b32_e32 v62, v72, v63, vcc_lo
; %bb.244:                              ;   in Loop: Header=BB2_240 Depth=3
	s_or_b32 exec_lo, exec_lo, s60
	flat_load_u16 v63, v[40:41] offset:64 th:TH_LOAD_NT
	s_wait_loadcnt_dscnt 0x0
	v_lshlrev_b32_e32 v63, 16, v63
	s_delay_alu instid0(VALU_DEP_1) | instskip(NEXT) | instid1(VALU_DEP_1)
	v_mul_f32_e32 v72, v47, v63
	v_and_b32_e32 v63, 0x7f800000, v72
	s_delay_alu instid0(VALU_DEP_1) | instskip(SKIP_2) | instid1(SALU_CYCLE_1)
	v_cmp_ne_u32_e32 vcc_lo, 0x7f800000, v63
                                        ; implicit-def: $vgpr63
	s_wait_xcnt 0x0
	s_and_saveexec_b32 s60, vcc_lo
	s_xor_b32 s60, exec_lo, s60
; %bb.245:                              ;   in Loop: Header=BB2_240 Depth=3
	v_bfe_u32 v63, v72, 16, 1
	s_delay_alu instid0(VALU_DEP_1)
	v_add3_u32 v63, v72, v63, 0x7fff
                                        ; implicit-def: $vgpr72
; %bb.246:                              ;   in Loop: Header=BB2_240 Depth=3
	s_and_not1_saveexec_b32 s60, s60
; %bb.247:                              ;   in Loop: Header=BB2_240 Depth=3
	v_and_b32_e32 v63, 0xffff, v72
	v_or_b32_e32 v73, 0x10000, v72
	s_delay_alu instid0(VALU_DEP_2) | instskip(NEXT) | instid1(VALU_DEP_2)
	v_cmp_eq_u32_e32 vcc_lo, 0, v63
	v_cndmask_b32_e32 v63, v73, v72, vcc_lo
; %bb.248:                              ;   in Loop: Header=BB2_240 Depth=3
	s_or_b32 exec_lo, exec_lo, s60
	flat_load_u16 v72, v[40:41] offset:128 th:TH_LOAD_NT
	s_wait_loadcnt_dscnt 0x0
	v_lshlrev_b32_e32 v72, 16, v72
	s_delay_alu instid0(VALU_DEP_1) | instskip(NEXT) | instid1(VALU_DEP_1)
	v_mul_f32_e32 v73, v47, v72
	v_and_b32_e32 v72, 0x7f800000, v73
	s_delay_alu instid0(VALU_DEP_1) | instskip(SKIP_2) | instid1(SALU_CYCLE_1)
	v_cmp_ne_u32_e32 vcc_lo, 0x7f800000, v72
                                        ; implicit-def: $vgpr72
	s_wait_xcnt 0x0
	s_and_saveexec_b32 s60, vcc_lo
	s_xor_b32 s60, exec_lo, s60
; %bb.249:                              ;   in Loop: Header=BB2_240 Depth=3
	v_bfe_u32 v72, v73, 16, 1
	s_delay_alu instid0(VALU_DEP_1)
	v_add3_u32 v72, v73, v72, 0x7fff
                                        ; implicit-def: $vgpr73
; %bb.250:                              ;   in Loop: Header=BB2_240 Depth=3
	s_and_not1_saveexec_b32 s60, s60
; %bb.251:                              ;   in Loop: Header=BB2_240 Depth=3
	v_and_b32_e32 v72, 0xffff, v73
	v_or_b32_e32 v74, 0x10000, v73
	s_delay_alu instid0(VALU_DEP_2) | instskip(NEXT) | instid1(VALU_DEP_2)
	v_cmp_eq_u32_e32 vcc_lo, 0, v72
	v_cndmask_b32_e32 v72, v74, v73, vcc_lo
; %bb.252:                              ;   in Loop: Header=BB2_240 Depth=3
	s_or_b32 exec_lo, exec_lo, s60
	flat_load_u16 v40, v[40:41] offset:192 th:TH_LOAD_NT
	s_wait_loadcnt_dscnt 0x0
	v_lshlrev_b32_e32 v40, 16, v40
	s_delay_alu instid0(VALU_DEP_1) | instskip(NEXT) | instid1(VALU_DEP_1)
	v_mul_f32_e32 v41, v47, v40
	v_and_b32_e32 v40, 0x7f800000, v41
	s_delay_alu instid0(VALU_DEP_1) | instskip(SKIP_1) | instid1(SALU_CYCLE_1)
	v_cmp_ne_u32_e32 vcc_lo, 0x7f800000, v40
                                        ; implicit-def: $vgpr40
	s_and_saveexec_b32 s60, vcc_lo
	s_xor_b32 s60, exec_lo, s60
; %bb.253:                              ;   in Loop: Header=BB2_240 Depth=3
	v_bfe_u32 v40, v41, 16, 1
	s_delay_alu instid0(VALU_DEP_1)
	v_add3_u32 v40, v41, v40, 0x7fff
                                        ; implicit-def: $vgpr41
; %bb.254:                              ;   in Loop: Header=BB2_240 Depth=3
	s_and_not1_saveexec_b32 s60, s60
	s_cbranch_execz .LBB2_239
; %bb.255:                              ;   in Loop: Header=BB2_240 Depth=3
	v_and_b32_e32 v40, 0xffff, v41
	v_or_b32_e32 v73, 0x10000, v41
	s_delay_alu instid0(VALU_DEP_2) | instskip(NEXT) | instid1(VALU_DEP_2)
	v_cmp_eq_u32_e32 vcc_lo, 0, v40
	v_cndmask_b32_e32 v40, v73, v41, vcc_lo
	s_branch .LBB2_239
.LBB2_256:                              ;   in Loop: Header=BB2_57 Depth=2
	s_or_b32 exec_lo, exec_lo, s41
.LBB2_257:                              ;   in Loop: Header=BB2_57 Depth=2
	s_delay_alu instid0(SALU_CYCLE_1) | instskip(SKIP_1) | instid1(VALU_DEP_1)
	s_or_b32 exec_lo, exec_lo, s40
	v_lshlrev_b32_e32 v8, 8, v46
	v_cmp_ne_u32_e32 vcc_lo, v101, v8
	s_and_b32 exec_lo, exec_lo, vcc_lo
	s_cbranch_execz .LBB2_265
; %bb.258:                              ;   in Loop: Header=BB2_57 Depth=2
	v_dual_lshlrev_b32 v9, 5, v103 :: v_dual_lshlrev_b32 v10, 5, v45
	s_delay_alu instid0(VALU_DEP_1) | instskip(NEXT) | instid1(VALU_DEP_1)
	v_sub_nc_u32_e32 v9, v44, v9
	v_sub_nc_u32_e32 v9, v9, v10
	s_delay_alu instid0(VALU_DEP_1) | instskip(NEXT) | instid1(VALU_DEP_1)
	v_ashrrev_i32_e32 v10, 31, v9
	v_lshrrev_b32_e32 v10, 27, v10
	s_delay_alu instid0(VALU_DEP_1) | instskip(NEXT) | instid1(VALU_DEP_1)
	v_add_nc_u32_e32 v10, v9, v10
	v_and_b32_e32 v11, 0x7fffffe0, v10
	s_delay_alu instid0(VALU_DEP_1) | instskip(NEXT) | instid1(VALU_DEP_1)
	v_dual_lshlrev_b32 v10, 1, v10 :: v_dual_sub_nc_u32 v9, v9, v11
	v_and_b32_e32 v10, 0xffffffc0, v10
	s_delay_alu instid0(VALU_DEP_2) | instskip(NEXT) | instid1(VALU_DEP_1)
	v_lshlrev_b32_e32 v9, 1, v9
	v_add3_u32 v8, v10, v9, v8
	s_delay_alu instid0(VALU_DEP_1) | instskip(NEXT) | instid1(VALU_DEP_1)
	v_sub_nc_u32_e32 v10, v101, v8
	v_cmp_lt_i32_e32 vcc_lo, 1, v10
	s_and_b32 exec_lo, exec_lo, vcc_lo
	s_cbranch_execz .LBB2_265
; %bb.259:                              ;   in Loop: Header=BB2_57 Depth=2
	s_trap 2
	ds_load_b32 v11, v0
	v_add_nc_u32_e32 v8, v8, v43
	s_mov_b32 s40, 0
	s_wait_dscnt 0x0
	s_delay_alu instid0(VALU_DEP_1)
	v_dual_ashrrev_i32 v9, 31, v8 :: v_dual_lshlrev_b32 v11, 16, v11
	s_branch .LBB2_261
.LBB2_260:                              ;   in Loop: Header=BB2_261 Depth=3
	s_or_b32 exec_lo, exec_lo, s41
	v_sub_nc_u32_e32 v10, v10, v64
	v_add_nc_u64_e32 v[118:119], v[116:117], v[8:9]
	v_add_nc_u64_e32 v[8:9], v[8:9], v[64:65]
	s_delay_alu instid0(VALU_DEP_3)
	v_cmp_gt_i32_e32 vcc_lo, 2, v10
	flat_store_d16_hi_b16 v[118:119], v101 th:TH_STORE_NT
	s_or_b32 s40, vcc_lo, s40
	s_wait_xcnt 0x0
	s_and_not1_b32 exec_lo, exec_lo, s40
	s_cbranch_execz .LBB2_265
.LBB2_261:                              ;   Parent Loop BB2_47 Depth=1
                                        ;     Parent Loop BB2_57 Depth=2
                                        ; =>    This Inner Loop Header: Depth=3
	s_delay_alu instid0(VALU_DEP_1) | instskip(SKIP_3) | instid1(VALU_DEP_1)
	v_add_nc_u64_e32 v[118:119], v[114:115], v[8:9]
	flat_load_u16 v101, v[118:119] th:TH_LOAD_NT
	s_wait_loadcnt_dscnt 0x0
	v_lshlrev_b32_e32 v101, 16, v101
	v_mul_f32_e32 v103, v11, v101
	s_delay_alu instid0(VALU_DEP_1) | instskip(NEXT) | instid1(VALU_DEP_1)
	v_and_b32_e32 v101, 0x7f800000, v103
	v_cmp_ne_u32_e32 vcc_lo, 0x7f800000, v101
                                        ; implicit-def: $vgpr101
	s_wait_xcnt 0x0
	s_and_saveexec_b32 s41, vcc_lo
	s_delay_alu instid0(SALU_CYCLE_1)
	s_xor_b32 s41, exec_lo, s41
; %bb.262:                              ;   in Loop: Header=BB2_261 Depth=3
	v_bfe_u32 v101, v103, 16, 1
	s_delay_alu instid0(VALU_DEP_1)
	v_add3_u32 v101, v103, v101, 0x7fff
                                        ; implicit-def: $vgpr103
; %bb.263:                              ;   in Loop: Header=BB2_261 Depth=3
	s_and_not1_saveexec_b32 s41, s41
	s_cbranch_execz .LBB2_260
; %bb.264:                              ;   in Loop: Header=BB2_261 Depth=3
	v_and_b32_e32 v101, 0xffff, v103
	v_or_b32_e32 v118, 0x10000, v103
	s_delay_alu instid0(VALU_DEP_2) | instskip(NEXT) | instid1(VALU_DEP_2)
	v_cmp_eq_u32_e32 vcc_lo, 0, v101
	v_cndmask_b32_e32 v101, v118, v103, vcc_lo
	s_branch .LBB2_260
.LBB2_265:                              ;   in Loop: Header=BB2_57 Depth=2
	s_or_b32 exec_lo, exec_lo, s13
	v_cmp_lt_i32_e64 s13, 0, v2
	s_and_saveexec_b32 s40, s2
	s_cbranch_execz .LBB2_284
.LBB2_266:                              ;   in Loop: Header=BB2_57 Depth=2
	s_and_saveexec_b32 s41, s3
	s_delay_alu instid0(SALU_CYCLE_1)
	s_xor_b32 s41, exec_lo, s41
	s_cbranch_execz .LBB2_281
; %bb.267:                              ;   in Loop: Header=BB2_57 Depth=2
	s_and_saveexec_b32 s60, s6
	s_cbranch_execz .LBB2_280
; %bb.268:                              ;   in Loop: Header=BB2_57 Depth=2
	s_mov_b32 s62, exec_lo
	s_mov_b32 s61, exec_lo
	v_mbcnt_lo_u32_b32 v2, s62, 0
	global_wb scope:SCOPE_DEV
	s_wait_storecnt 0x0
	s_wait_loadcnt_dscnt 0x0
	global_inv scope:SCOPE_DEV
	v_cmpx_eq_u32_e32 0, v2
	s_cbranch_execz .LBB2_270
; %bb.269:                              ;   in Loop: Header=BB2_57 Depth=2
	s_bcnt1_i32_b32 s62, s62
	s_delay_alu instid0(SALU_CYCLE_1)
	v_mov_b32_e32 v2, s62
	s_wait_loadcnt 0x0
	ds_add_u64 v0, v[2:3]
	s_trap 2
.LBB2_270:                              ;   in Loop: Header=BB2_57 Depth=2
	s_or_b32 exec_lo, exec_lo, s61
	s_trap 2
	ds_load_b64 v[8:9], v0
	s_wait_dscnt 0x0
	v_add_nc_u64_e32 v[12:13], v[12:13], v[32:33]
	s_mov_b32 s61, exec_lo
	s_delay_alu instid0(VALU_DEP_1)
	v_cmpx_lt_u64_e64 v[8:9], v[12:13]
	s_cbranch_execz .LBB2_279
; %bb.271:                              ;   in Loop: Header=BB2_57 Depth=2
	s_mov_b32 s62, 0
	s_mov_b32 s73, 0
                                        ; implicit-def: $sgpr63
                                        ; implicit-def: $sgpr72
	s_branch .LBB2_273
.LBB2_272:                              ;   in Loop: Header=BB2_273 Depth=3
	s_or_b32 exec_lo, exec_lo, s75
	s_delay_alu instid0(SALU_CYCLE_1) | instskip(NEXT) | instid1(SALU_CYCLE_1)
	s_and_b32 s74, exec_lo, s76
	s_or_b32 s62, s74, s62
	s_and_not1_b32 s63, s63, exec_lo
	s_and_b32 s74, s72, exec_lo
	s_delay_alu instid0(SALU_CYCLE_1)
	s_or_b32 s63, s63, s74
	s_and_not1_b32 exec_lo, exec_lo, s62
	s_cbranch_execz .LBB2_277
.LBB2_273:                              ;   Parent Loop BB2_47 Depth=1
                                        ;     Parent Loop BB2_57 Depth=2
                                        ; =>    This Inner Loop Header: Depth=3
	s_add_co_i32 s73, s73, 1
	s_delay_alu instid0(SALU_CYCLE_1) | instskip(SKIP_1) | instid1(SALU_CYCLE_1)
	s_cmp_lg_u32 s73, 0x2710
	s_cselect_b32 s74, -1, 0
	s_and_b32 vcc_lo, exec_lo, s74
	s_cbranch_vccz .LBB2_275
; %bb.274:                              ;   in Loop: Header=BB2_273 Depth=3
	s_mov_b32 s76, -1
	s_or_b32 s72, s72, exec_lo
	s_and_saveexec_b32 s75, s74
	s_cbranch_execz .LBB2_272
	s_branch .LBB2_276
.LBB2_275:                              ;   in Loop: Header=BB2_273 Depth=3
	s_trap 2
	ds_load_b64 v[8:9], v0
	s_and_not1_b32 s74, s74, exec_lo
	s_mov_b32 s73, 0
	s_wait_loadcnt_dscnt 0x0
	flat_load_b32 v2, v[8:9] scope:SCOPE_SYS
	s_wait_loadcnt_dscnt 0x0
	global_inv scope:SCOPE_SYS
	v_cmp_eq_u32_e32 vcc_lo, 0, v2
	s_and_b32 s75, vcc_lo, exec_lo
	s_delay_alu instid0(SALU_CYCLE_1)
	s_or_b32 s74, s74, s75
	s_mov_b32 s76, -1
	s_or_b32 s72, s72, exec_lo
	s_and_saveexec_b32 s75, s74
	s_cbranch_execz .LBB2_272
.LBB2_276:                              ;   in Loop: Header=BB2_273 Depth=3
	s_sleep 1
	s_trap 2
	ds_load_b64 v[8:9], v0
	s_wait_dscnt 0x0
	s_and_not1_b32 s72, s72, exec_lo
	v_cmp_ge_u64_e32 vcc_lo, v[8:9], v[12:13]
	s_or_not1_b32 s76, vcc_lo, exec_lo
	s_branch .LBB2_272
.LBB2_277:                              ;   in Loop: Header=BB2_57 Depth=2
	s_or_b32 exec_lo, exec_lo, s62
	s_and_saveexec_b32 s62, s63
	s_delay_alu instid0(SALU_CYCLE_1)
	s_xor_b32 s62, exec_lo, s62
	s_cbranch_execz .LBB2_279
; %bb.278:                              ;   in Loop: Header=BB2_57 Depth=2
	ds_store_b32 v0, v59
	s_trap 2
.LBB2_279:                              ;   in Loop: Header=BB2_57 Depth=2
	s_or_b32 exec_lo, exec_lo, s61
	;;#ASMSTART
	s_wakeup
	;;#ASMEND
.LBB2_280:                              ;   in Loop: Header=BB2_57 Depth=2
	s_or_b32 exec_lo, exec_lo, s60
.LBB2_281:                              ;   in Loop: Header=BB2_57 Depth=2
	s_and_not1_saveexec_b32 s41, s41
	s_cbranch_execz .LBB2_283
; %bb.282:                              ;   in Loop: Header=BB2_57 Depth=2
	global_wb scope:SCOPE_DEV
	s_wait_storecnt 0x0
	s_wait_loadcnt_dscnt 0x0
	global_inv scope:SCOPE_DEV
	s_barrier_signal -1
	s_barrier_wait -1
.LBB2_283:                              ;   in Loop: Header=BB2_57 Depth=2
	s_or_b32 exec_lo, exec_lo, s41
.LBB2_284:                              ;   in Loop: Header=BB2_57 Depth=2
	s_delay_alu instid0(SALU_CYCLE_1) | instskip(SKIP_2) | instid1(SALU_CYCLE_1)
	s_or_b32 exec_lo, exec_lo, s40
	v_and_b32_e32 v8, 16, v30
	s_and_saveexec_b32 s40, s12
	s_xor_b32 s40, exec_lo, s40
	s_cbranch_execz .LBB2_288
; %bb.285:                              ;   in Loop: Header=BB2_57 Depth=2
	v_and_b32_e32 v2, 16, v30
	v_and_b32_e32 v8, 16, v30
	s_delay_alu instid0(VALU_DEP_2) | instskip(SKIP_1) | instid1(SALU_CYCLE_1)
	v_cmp_ne_u32_e32 vcc_lo, 0, v2
	s_and_b32 s41, vcc_lo, s13
	s_and_saveexec_b32 s13, s41
	s_cbranch_execz .LBB2_287
; %bb.286:                              ;   in Loop: Header=BB2_57 Depth=2
	v_mov_b32_e32 v8, 1
	global_wb scope:SCOPE_SYS
	s_wait_storecnt 0x0
	s_wait_loadcnt_dscnt 0x0
	global_inv scope:SCOPE_SYS
.LBB2_287:                              ;   in Loop: Header=BB2_57 Depth=2
	s_or_b32 exec_lo, exec_lo, s13
.LBB2_288:                              ;   in Loop: Header=BB2_57 Depth=2
	s_and_not1_saveexec_b32 s13, s40
	s_cbranch_execz .LBB2_307
; %bb.289:                              ;   in Loop: Header=BB2_57 Depth=2
	s_and_saveexec_b32 s40, s3
	s_delay_alu instid0(SALU_CYCLE_1)
	s_xor_b32 s40, exec_lo, s40
	s_cbranch_execz .LBB2_304
; %bb.290:                              ;   in Loop: Header=BB2_57 Depth=2
	s_and_saveexec_b32 s41, s6
	s_cbranch_execz .LBB2_303
; %bb.291:                              ;   in Loop: Header=BB2_57 Depth=2
	s_mov_b32 s61, exec_lo
	s_mov_b32 s60, exec_lo
	v_mbcnt_lo_u32_b32 v2, s61, 0
	;;#ASMSTART
	s_waitcnt lgkmcnt(0) vmcnt(0)
	;;#ASMEND
	s_delay_alu instid0(VALU_DEP_1)
	v_cmpx_eq_u32_e32 0, v2
	s_cbranch_execz .LBB2_293
; %bb.292:                              ;   in Loop: Header=BB2_57 Depth=2
	s_bcnt1_i32_b32 s61, s61
	s_delay_alu instid0(SALU_CYCLE_1)
	v_mov_b32_e32 v2, s61
	s_wait_storecnt 0x0
	s_wait_loadcnt_dscnt 0x0
	ds_add_u64 v0, v[2:3]
	s_trap 2
.LBB2_293:                              ;   in Loop: Header=BB2_57 Depth=2
	s_or_b32 exec_lo, exec_lo, s60
	s_trap 2
	ds_load_b64 v[10:11], v0
	s_wait_dscnt 0x0
	v_add_nc_u64_e32 v[12:13], v[12:13], v[32:33]
	s_mov_b32 s60, exec_lo
	s_delay_alu instid0(VALU_DEP_1)
	v_cmpx_lt_u64_e64 v[10:11], v[12:13]
	s_cbranch_execz .LBB2_302
; %bb.294:                              ;   in Loop: Header=BB2_57 Depth=2
	s_mov_b32 s61, 0
	s_mov_b32 s72, 0
                                        ; implicit-def: $sgpr62
                                        ; implicit-def: $sgpr63
	s_branch .LBB2_296
.LBB2_295:                              ;   in Loop: Header=BB2_296 Depth=3
	s_or_b32 exec_lo, exec_lo, s74
	s_delay_alu instid0(SALU_CYCLE_1) | instskip(NEXT) | instid1(SALU_CYCLE_1)
	s_and_b32 s73, exec_lo, s75
	s_or_b32 s61, s73, s61
	s_and_not1_b32 s62, s62, exec_lo
	s_and_b32 s73, s63, exec_lo
	s_delay_alu instid0(SALU_CYCLE_1)
	s_or_b32 s62, s62, s73
	s_and_not1_b32 exec_lo, exec_lo, s61
	s_cbranch_execz .LBB2_300
.LBB2_296:                              ;   Parent Loop BB2_47 Depth=1
                                        ;     Parent Loop BB2_57 Depth=2
                                        ; =>    This Inner Loop Header: Depth=3
	s_add_co_i32 s72, s72, 1
	s_delay_alu instid0(SALU_CYCLE_1) | instskip(SKIP_1) | instid1(SALU_CYCLE_1)
	s_cmp_lg_u32 s72, 0x2710
	s_cselect_b32 s73, -1, 0
	s_and_b32 vcc_lo, exec_lo, s73
	s_cbranch_vccz .LBB2_298
; %bb.297:                              ;   in Loop: Header=BB2_296 Depth=3
	s_mov_b32 s75, -1
	s_or_b32 s63, s63, exec_lo
	s_and_saveexec_b32 s74, s73
	s_cbranch_execz .LBB2_295
	s_branch .LBB2_299
.LBB2_298:                              ;   in Loop: Header=BB2_296 Depth=3
	s_trap 2
	ds_load_b64 v[10:11], v0
	s_and_not1_b32 s73, s73, exec_lo
	s_mov_b32 s72, 0
	s_wait_storecnt 0x0
	s_wait_loadcnt_dscnt 0x0
	flat_load_b32 v2, v[10:11] scope:SCOPE_SYS
	s_wait_loadcnt_dscnt 0x0
	global_inv scope:SCOPE_SYS
	v_cmp_eq_u32_e32 vcc_lo, 0, v2
	s_and_b32 s74, vcc_lo, exec_lo
	s_delay_alu instid0(SALU_CYCLE_1)
	s_or_b32 s73, s73, s74
	s_mov_b32 s75, -1
	s_or_b32 s63, s63, exec_lo
	s_and_saveexec_b32 s74, s73
	s_cbranch_execz .LBB2_295
.LBB2_299:                              ;   in Loop: Header=BB2_296 Depth=3
	s_sleep 1
	s_trap 2
	ds_load_b64 v[10:11], v0
	s_wait_dscnt 0x0
	s_and_not1_b32 s63, s63, exec_lo
	v_cmp_ge_u64_e32 vcc_lo, v[10:11], v[12:13]
	s_or_not1_b32 s75, vcc_lo, exec_lo
	s_branch .LBB2_295
.LBB2_300:                              ;   in Loop: Header=BB2_57 Depth=2
	s_or_b32 exec_lo, exec_lo, s61
	s_and_saveexec_b32 s61, s62
	s_delay_alu instid0(SALU_CYCLE_1)
	s_xor_b32 s61, exec_lo, s61
	s_cbranch_execz .LBB2_302
; %bb.301:                              ;   in Loop: Header=BB2_57 Depth=2
	ds_store_b32 v0, v59
	s_trap 2
.LBB2_302:                              ;   in Loop: Header=BB2_57 Depth=2
	s_or_b32 exec_lo, exec_lo, s60
	;;#ASMSTART
	s_wakeup
	;;#ASMEND
.LBB2_303:                              ;   in Loop: Header=BB2_57 Depth=2
	s_or_b32 exec_lo, exec_lo, s41
.LBB2_304:                              ;   in Loop: Header=BB2_57 Depth=2
	s_and_not1_saveexec_b32 s40, s40
	s_cbranch_execz .LBB2_306
; %bb.305:                              ;   in Loop: Header=BB2_57 Depth=2
	;;#ASMSTART
	s_waitcnt lgkmcnt(0) vmcnt(0)
	;;#ASMEND
	s_barrier_signal -1
	s_barrier_wait -1
.LBB2_306:                              ;   in Loop: Header=BB2_57 Depth=2
	s_or_b32 exec_lo, exec_lo, s40
.LBB2_307:                              ;   in Loop: Header=BB2_57 Depth=2
	s_delay_alu instid0(SALU_CYCLE_1) | instskip(NEXT) | instid1(SALU_CYCLE_1)
	s_or_b32 exec_lo, exec_lo, s13
	s_mov_b32 s13, exec_lo
	v_cmpx_ne_u32_e32 0, v8
	s_cbranch_execz .LBB2_56
; %bb.308:                              ;   in Loop: Header=BB2_57 Depth=2
	s_and_saveexec_b32 s40, s5
	s_cbranch_execz .LBB2_55
; %bb.309:                              ;   in Loop: Header=BB2_57 Depth=2
	global_wb scope:SCOPE_SYS
	s_wait_storecnt 0x0
	s_wait_loadcnt_dscnt 0x0
	flat_store_b32 v[26:27], v59 scope:SCOPE_SYS
	s_branch .LBB2_55
.LBB2_310:                              ;   in Loop: Header=BB2_47 Depth=1
	s_or_b32 exec_lo, exec_lo, s15
.LBB2_311:                              ;   in Loop: Header=BB2_47 Depth=1
	s_delay_alu instid0(SALU_CYCLE_1) | instskip(NEXT) | instid1(SALU_CYCLE_1)
	s_or_b32 exec_lo, exec_lo, s14
	s_mov_b32 s14, exec_lo
	v_cmpx_gt_i32_e32 2, v2
	s_cbranch_execz .LBB2_385
; %bb.312:                              ;   in Loop: Header=BB2_47 Depth=1
	v_cmp_eq_u32_e64 s18, 0, v2
	s_mov_b32 s15, 0
	s_branch .LBB2_315
.LBB2_313:                              ;   in Loop: Header=BB2_315 Depth=2
	s_wait_xcnt 0x0
	s_or_b32 exec_lo, exec_lo, s18
	v_add_nc_u64_e32 v[86:87], 2, v[86:87]
	global_wb scope:SCOPE_SYS
	s_wait_storecnt 0x0
	s_wait_loadcnt_dscnt 0x0
	flat_store_b64 v[20:21], v[86:87] scope:SCOPE_SYS
.LBB2_314:                              ;   in Loop: Header=BB2_315 Depth=2
	s_wait_xcnt 0x0
	s_or_b32 exec_lo, exec_lo, s13
	v_add_nc_u32_e32 v102, v100, v102
	s_mov_b32 s18, 0
	s_and_not1_b32 exec_lo, exec_lo, s15
	s_cbranch_execz .LBB2_384
.LBB2_315:                              ;   Parent Loop BB2_47 Depth=1
                                        ; =>  This Loop Header: Depth=2
                                        ;       Child Loop BB2_321 Depth 3
                                        ;       Child Loop BB2_345 Depth 3
	;; [unrolled: 1-line block ×3, first 2 shown]
	s_delay_alu instid0(VALU_DEP_1) | instskip(SKIP_2) | instid1(VALU_DEP_2)
	v_sub_nc_u32_e32 v2, v42, v102
	v_and_b32_e32 v8, 8, v30
	s_mov_b32 s27, exec_lo
	v_min_i32_e32 v100, v100, v2
	s_delay_alu instid0(VALU_DEP_2)
	v_cmpx_ne_u32_e32 0, v8
	s_cbranch_execz .LBB2_337
; %bb.316:                              ;   in Loop: Header=BB2_315 Depth=2
	s_wait_loadcnt_dscnt 0x1
	v_add_nc_u64_e32 v[10:11], 8, v[28:29]
	v_add_nc_u64_e32 v[8:9], 2, v[86:87]
	s_mov_b32 s40, exec_lo
	s_delay_alu instid0(VALU_DEP_1)
	v_cmpx_lt_u64_e64 v[10:11], v[8:9]
	s_cbranch_execz .LBB2_328
; %bb.317:                              ;   in Loop: Header=BB2_315 Depth=2
	v_and_b32_e32 v2, 64, v30
	s_mov_b32 s41, 0
	s_mov_b32 s63, 0
                                        ; implicit-def: $sgpr60
                                        ; implicit-def: $sgpr61
                                        ; implicit-def: $sgpr62
	s_delay_alu instid0(VALU_DEP_1)
	v_cmp_eq_u32_e32 vcc_lo, 0, v2
	s_branch .LBB2_321
.LBB2_318:                              ;   in Loop: Header=BB2_321 Depth=3
	s_wait_loadcnt_dscnt 0x0
	v_add_nc_u64_e32 v[10:11], 8, v[28:29]
	s_or_b32 s74, s74, exec_lo
	s_delay_alu instid0(VALU_DEP_1)
	v_cmp_ge_u64_e64 s13, v[10:11], v[8:9]
	s_or_not1_b32 s73, s13, exec_lo
.LBB2_319:                              ;   in Loop: Header=BB2_321 Depth=3
	s_or_b32 exec_lo, exec_lo, s76
	s_delay_alu instid0(SALU_CYCLE_1)
	s_and_not1_b32 s13, s62, exec_lo
	s_and_b32 s62, s74, exec_lo
	s_and_not1_b32 s61, s61, exec_lo
	s_and_b32 s73, s73, exec_lo
	s_or_b32 s62, s13, s62
	s_or_b32 s61, s61, s73
.LBB2_320:                              ;   in Loop: Header=BB2_321 Depth=3
	s_or_b32 exec_lo, exec_lo, s72
	s_delay_alu instid0(SALU_CYCLE_1) | instskip(NEXT) | instid1(SALU_CYCLE_1)
	s_and_b32 s13, exec_lo, s61
	s_or_b32 s41, s13, s41
	s_and_not1_b32 s13, s60, exec_lo
	s_and_b32 s60, s62, exec_lo
	s_delay_alu instid0(SALU_CYCLE_1)
	s_or_b32 s60, s13, s60
	s_and_not1_b32 exec_lo, exec_lo, s41
	s_cbranch_execz .LBB2_325
.LBB2_321:                              ;   Parent Loop BB2_47 Depth=1
                                        ;     Parent Loop BB2_315 Depth=2
                                        ; =>    This Inner Loop Header: Depth=3
	s_sleep 1
	s_wait_loadcnt_dscnt 0x0
	flat_load_b64 v[28:29], v[20:21] scope:SCOPE_SYS
	s_or_b32 s62, s62, exec_lo
	s_or_b32 s61, s61, exec_lo
                                        ; implicit-def: $vgpr2
	s_wait_xcnt 0x0
	s_and_saveexec_b32 s72, vcc_lo
	s_cbranch_execz .LBB2_320
; %bb.322:                              ;   in Loop: Header=BB2_321 Depth=3
	s_cmp_lt_i32 s63, 0x270f
	s_mov_b32 s73, -1
	s_cselect_b32 s75, -1, 0
	s_cmp_gt_i32 s63, 0x270e
	s_cbranch_scc0 .LBB2_324
; %bb.323:                              ;   in Loop: Header=BB2_321 Depth=3
	s_trap 2
	ds_load_b64 v[10:11], v0
	s_and_not1_b32 s63, s75, exec_lo
	s_mov_b32 s74, 0
	s_wait_storecnt 0x0
	s_wait_loadcnt_dscnt 0x0
	flat_load_b32 v2, v[10:11] scope:SCOPE_SYS
	s_wait_loadcnt_dscnt 0x0
	global_inv scope:SCOPE_SYS
	v_cmp_eq_u32_e64 s13, 0, v2
	s_and_b32 s13, s13, exec_lo
	s_delay_alu instid0(SALU_CYCLE_1)
	s_or_b32 s75, s63, s13
	s_mov_b32 s63, 0
	s_and_saveexec_b32 s76, s75
	s_cbranch_execz .LBB2_319
	s_branch .LBB2_318
.LBB2_324:                              ;   in Loop: Header=BB2_321 Depth=3
	s_add_co_i32 s63, s63, 1
	s_mov_b32 s74, -1
                                        ; implicit-def: $vgpr2
	s_and_saveexec_b32 s76, s75
	s_cbranch_execz .LBB2_319
	s_branch .LBB2_318
.LBB2_325:                              ;   in Loop: Header=BB2_315 Depth=2
	s_or_b32 exec_lo, exec_lo, s41
	s_xor_b32 s13, s60, -1
	s_delay_alu instid0(SALU_CYCLE_1) | instskip(NEXT) | instid1(SALU_CYCLE_1)
	s_and_saveexec_b32 s41, s13
	s_xor_b32 s13, exec_lo, s41
	s_cbranch_execz .LBB2_327
; %bb.326:                              ;   in Loop: Header=BB2_315 Depth=2
	v_or_b32_e32 v30, 64, v30
	s_wait_storecnt 0x0
	s_wait_loadcnt_dscnt 0x0
	ds_store_b32 v0, v2
	s_trap 2
.LBB2_327:                              ;   in Loop: Header=BB2_315 Depth=2
	s_or_b32 exec_lo, exec_lo, s13
.LBB2_328:                              ;   in Loop: Header=BB2_315 Depth=2
	s_delay_alu instid0(SALU_CYCLE_1) | instskip(SKIP_4) | instid1(VALU_DEP_1)
	s_or_b32 exec_lo, exec_lo, s40
	v_and_b32_e32 v2, 0x100, v30
	s_mov_b32 s40, 0
	s_mov_b32 s13, exec_lo
	;;#ASMSTART
	s_wakeup
	;;#ASMEND
                                        ; implicit-def: $vgpr10_vgpr11
	v_cmpx_ne_u32_e32 0, v2
	s_xor_b32 s13, exec_lo, s13
	s_cbranch_execz .LBB2_349
; %bb.329:                              ;   in Loop: Header=BB2_315 Depth=2
	v_dual_ashrrev_i32 v101, 31, v100 :: v_dual_bitop2_b32 v2, 7, v86 bitop3:0x40
	s_mov_b32 s40, -1
	s_mov_b32 s41, exec_lo
	s_delay_alu instid0(VALU_DEP_1) | instskip(NEXT) | instid1(VALU_DEP_2)
	v_mad_nc_u64_u32 v[86:87], v2, 24, v[6:7]
	v_lshlrev_b64_e32 v[10:11], 1, v[100:101]
	s_clause 0x1
	flat_load_b32 v103, v[86:87]
	flat_store_b64 v[86:87], v[10:11] offset:8
                                        ; implicit-def: $vgpr10_vgpr11
	s_wait_loadcnt_dscnt 0x1
	v_cmpx_eq_u32_e32 1, v103
	s_cbranch_execz .LBB2_331
; %bb.330:                              ;   in Loop: Header=BB2_315 Depth=2
	flat_load_b32 v10, v[86:87] offset:4 scope:SCOPE_SYS
	s_xor_b32 s40, exec_lo, -1
	s_wait_loadcnt_dscnt 0x0
	v_ashrrev_i32_e32 v11, 31, v10
	s_delay_alu instid0(VALU_DEP_1)
	v_lshrrev_b64 v[10:11], 1, v[10:11]
.LBB2_331:                              ;   in Loop: Header=BB2_315 Depth=2
	s_wait_xcnt 0x0
	s_or_b32 exec_lo, exec_lo, s41
	s_delay_alu instid0(SALU_CYCLE_1)
	s_and_b32 s40, s40, exec_lo
                                        ; implicit-def: $vgpr86_vgpr87
	s_and_not1_saveexec_b32 s13, s13
	s_cbranch_execnz .LBB2_350
.LBB2_332:                              ;   in Loop: Header=BB2_315 Depth=2
	s_or_b32 exec_lo, exec_lo, s13
	s_and_saveexec_b32 s13, s40
.LBB2_333:                              ;   in Loop: Header=BB2_315 Depth=2
	v_mul_u64_e32 v[10:11], v[2:3], v[22:23]
.LBB2_334:                              ;   in Loop: Header=BB2_315 Depth=2
	s_or_b32 exec_lo, exec_lo, s13
	v_and_b32_e32 v2, 0x2000, v30
	s_delay_alu instid0(VALU_DEP_2)
	v_lshl_add_u64 v[10:11], v[10:11], 1, v[24:25]
	s_mov_b32 s13, exec_lo
	ds_store_b64 v0, v[10:11] offset:784
	v_cmpx_ne_u32_e32 0, v2
	s_cbranch_execz .LBB2_336
; %bb.335:                              ;   in Loop: Header=BB2_315 Depth=2
	ds_load_b64 v[10:11], v0 offset:872
	s_wait_dscnt 0x0
	v_add_nc_u64_e32 v[10:11], 1, v[10:11]
	ds_store_b64 v0, v[10:11] offset:872
.LBB2_336:                              ;   in Loop: Header=BB2_315 Depth=2
	s_or_b32 exec_lo, exec_lo, s13
	v_mov_b64_e32 v[86:87], v[8:9]
.LBB2_337:                              ;   in Loop: Header=BB2_315 Depth=2
	s_or_b32 exec_lo, exec_lo, s27
	s_xor_b32 s13, s18, -1
	s_delay_alu instid0(SALU_CYCLE_1) | instskip(NEXT) | instid1(SALU_CYCLE_1)
	s_and_b32 s13, exec_lo, s13
	s_or_b32 s15, s13, s15
	s_and_saveexec_b32 s13, s2
	s_cbranch_execz .LBB2_358
; %bb.338:                              ;   in Loop: Header=BB2_315 Depth=2
	s_and_saveexec_b32 s18, s3
	s_delay_alu instid0(SALU_CYCLE_1)
	s_xor_b32 s18, exec_lo, s18
	s_cbranch_execz .LBB2_355
; %bb.339:                              ;   in Loop: Header=BB2_315 Depth=2
	s_and_saveexec_b32 s27, s6
	s_cbranch_execz .LBB2_354
; %bb.340:                              ;   in Loop: Header=BB2_315 Depth=2
	s_mov_b32 s41, exec_lo
	s_mov_b32 s40, exec_lo
	v_mbcnt_lo_u32_b32 v2, s41, 0
	global_wb scope:SCOPE_DEV
	s_wait_storecnt 0x0
	s_wait_loadcnt_dscnt 0x0
	global_inv scope:SCOPE_DEV
	v_cmpx_eq_u32_e32 0, v2
	s_cbranch_execz .LBB2_342
; %bb.341:                              ;   in Loop: Header=BB2_315 Depth=2
	s_bcnt1_i32_b32 s41, s41
	s_delay_alu instid0(SALU_CYCLE_1)
	v_mov_b32_e32 v2, s41
	s_wait_loadcnt 0x0
	ds_add_u64 v0, v[2:3]
	s_trap 2
.LBB2_342:                              ;   in Loop: Header=BB2_315 Depth=2
	s_or_b32 exec_lo, exec_lo, s40
	s_trap 2
	ds_load_b64 v[8:9], v0
	s_wait_dscnt 0x0
	v_add_nc_u64_e32 v[12:13], v[12:13], v[32:33]
	s_mov_b32 s40, exec_lo
	s_delay_alu instid0(VALU_DEP_1)
	v_cmpx_lt_u64_e64 v[8:9], v[12:13]
	s_cbranch_execz .LBB2_353
; %bb.343:                              ;   in Loop: Header=BB2_315 Depth=2
	s_mov_b32 s41, 0
	s_mov_b32 s62, 0
                                        ; implicit-def: $sgpr60
                                        ; implicit-def: $sgpr61
	s_branch .LBB2_345
.LBB2_344:                              ;   in Loop: Header=BB2_345 Depth=3
	s_or_b32 exec_lo, exec_lo, s72
	s_delay_alu instid0(SALU_CYCLE_1) | instskip(NEXT) | instid1(SALU_CYCLE_1)
	s_and_b32 s63, exec_lo, s73
	s_or_b32 s41, s63, s41
	s_and_not1_b32 s60, s60, exec_lo
	s_and_b32 s63, s61, exec_lo
	s_delay_alu instid0(SALU_CYCLE_1)
	s_or_b32 s60, s60, s63
	s_and_not1_b32 exec_lo, exec_lo, s41
	s_cbranch_execz .LBB2_351
.LBB2_345:                              ;   Parent Loop BB2_47 Depth=1
                                        ;     Parent Loop BB2_315 Depth=2
                                        ; =>    This Inner Loop Header: Depth=3
	s_add_co_i32 s62, s62, 1
	s_delay_alu instid0(SALU_CYCLE_1) | instskip(SKIP_1) | instid1(SALU_CYCLE_1)
	s_cmp_lg_u32 s62, 0x2710
	s_cselect_b32 s63, -1, 0
	s_and_b32 vcc_lo, exec_lo, s63
	s_cbranch_vccz .LBB2_347
; %bb.346:                              ;   in Loop: Header=BB2_345 Depth=3
	s_mov_b32 s73, -1
	s_or_b32 s61, s61, exec_lo
	s_and_saveexec_b32 s72, s63
	s_cbranch_execz .LBB2_344
	s_branch .LBB2_348
.LBB2_347:                              ;   in Loop: Header=BB2_345 Depth=3
	s_trap 2
	ds_load_b64 v[8:9], v0
	s_and_not1_b32 s63, s63, exec_lo
	s_mov_b32 s62, 0
	s_wait_loadcnt_dscnt 0x0
	flat_load_b32 v2, v[8:9] scope:SCOPE_SYS
	s_wait_loadcnt_dscnt 0x0
	global_inv scope:SCOPE_SYS
	v_cmp_eq_u32_e32 vcc_lo, 0, v2
	s_and_b32 s72, vcc_lo, exec_lo
	s_delay_alu instid0(SALU_CYCLE_1)
	s_or_b32 s63, s63, s72
	s_mov_b32 s73, -1
	s_or_b32 s61, s61, exec_lo
	s_and_saveexec_b32 s72, s63
	s_cbranch_execz .LBB2_344
.LBB2_348:                              ;   in Loop: Header=BB2_345 Depth=3
	s_sleep 1
	s_trap 2
	ds_load_b64 v[8:9], v0
	s_wait_dscnt 0x0
	s_and_not1_b32 s61, s61, exec_lo
	v_cmp_ge_u64_e32 vcc_lo, v[8:9], v[12:13]
	s_or_not1_b32 s73, vcc_lo, exec_lo
	s_branch .LBB2_344
.LBB2_349:                              ;   in Loop: Header=BB2_315 Depth=2
	s_and_not1_saveexec_b32 s13, s13
	s_cbranch_execz .LBB2_332
.LBB2_350:                              ;   in Loop: Header=BB2_315 Depth=2
	v_and_b32_e32 v2, 7, v86
	s_or_b32 s40, s40, exec_lo
	s_or_b32 exec_lo, exec_lo, s13
	s_and_saveexec_b32 s13, s40
	s_cbranch_execnz .LBB2_333
	s_branch .LBB2_334
.LBB2_351:                              ;   in Loop: Header=BB2_315 Depth=2
	s_or_b32 exec_lo, exec_lo, s41
	s_and_saveexec_b32 s41, s60
	s_delay_alu instid0(SALU_CYCLE_1)
	s_xor_b32 s41, exec_lo, s41
	s_cbranch_execz .LBB2_353
; %bb.352:                              ;   in Loop: Header=BB2_315 Depth=2
	ds_store_b32 v0, v59
	s_trap 2
.LBB2_353:                              ;   in Loop: Header=BB2_315 Depth=2
	s_or_b32 exec_lo, exec_lo, s40
	;;#ASMSTART
	s_wakeup
	;;#ASMEND
.LBB2_354:                              ;   in Loop: Header=BB2_315 Depth=2
	s_or_b32 exec_lo, exec_lo, s27
.LBB2_355:                              ;   in Loop: Header=BB2_315 Depth=2
	s_and_not1_saveexec_b32 s18, s18
	s_cbranch_execz .LBB2_357
; %bb.356:                              ;   in Loop: Header=BB2_315 Depth=2
	global_wb scope:SCOPE_DEV
	s_wait_storecnt 0x0
	s_wait_loadcnt_dscnt 0x0
	global_inv scope:SCOPE_DEV
	s_barrier_signal -1
	s_barrier_wait -1
.LBB2_357:                              ;   in Loop: Header=BB2_315 Depth=2
	s_or_b32 exec_lo, exec_lo, s18
.LBB2_358:                              ;   in Loop: Header=BB2_315 Depth=2
	s_delay_alu instid0(SALU_CYCLE_1) | instskip(SKIP_2) | instid1(SALU_CYCLE_1)
	s_or_b32 exec_lo, exec_lo, s13
	v_and_b32_e32 v8, 16, v30
	s_and_saveexec_b32 s13, s12
	s_xor_b32 s18, exec_lo, s13
	s_cbranch_execz .LBB2_362
; %bb.359:                              ;   in Loop: Header=BB2_315 Depth=2
	s_trap 2
	ds_load_b32 v2, v0
	v_cmp_lt_i32_e32 vcc_lo, 0, v100
	v_and_b32_e32 v8, 16, v30
	s_wait_dscnt 0x0
	v_readfirstlane_b32 s13, v2
	v_and_b32_e32 v2, 16, v30
	s_cmp_eq_u32 s13, 0
	s_delay_alu instid0(VALU_DEP_1) | instskip(SKIP_1) | instid1(SALU_CYCLE_1)
	v_cmp_ne_u32_e64 s13, 0, v2
	s_cselect_b32 s27, -1, 0
	s_and_b32 s27, vcc_lo, s27
	s_delay_alu instid0(SALU_CYCLE_1) | instskip(NEXT) | instid1(SALU_CYCLE_1)
	s_and_b32 s27, s13, s27
	s_and_saveexec_b32 s13, s27
	s_cbranch_execz .LBB2_361
; %bb.360:                              ;   in Loop: Header=BB2_315 Depth=2
	v_mov_b32_e32 v8, 1
	global_wb scope:SCOPE_SYS
	s_wait_loadcnt 0x0
	s_wait_storecnt 0x0
	global_inv scope:SCOPE_SYS
.LBB2_361:                              ;   in Loop: Header=BB2_315 Depth=2
	s_or_b32 exec_lo, exec_lo, s13
.LBB2_362:                              ;   in Loop: Header=BB2_315 Depth=2
	s_and_not1_saveexec_b32 s13, s18
	s_cbranch_execz .LBB2_381
; %bb.363:                              ;   in Loop: Header=BB2_315 Depth=2
	s_and_saveexec_b32 s18, s3
	s_delay_alu instid0(SALU_CYCLE_1)
	s_xor_b32 s18, exec_lo, s18
	s_cbranch_execz .LBB2_378
; %bb.364:                              ;   in Loop: Header=BB2_315 Depth=2
	s_and_saveexec_b32 s27, s6
	s_cbranch_execz .LBB2_377
; %bb.365:                              ;   in Loop: Header=BB2_315 Depth=2
	s_mov_b32 s41, exec_lo
	s_mov_b32 s40, exec_lo
	v_mbcnt_lo_u32_b32 v2, s41, 0
	;;#ASMSTART
	s_waitcnt lgkmcnt(0) vmcnt(0)
	;;#ASMEND
	s_delay_alu instid0(VALU_DEP_1)
	v_cmpx_eq_u32_e32 0, v2
	s_cbranch_execz .LBB2_367
; %bb.366:                              ;   in Loop: Header=BB2_315 Depth=2
	s_bcnt1_i32_b32 s41, s41
	s_delay_alu instid0(SALU_CYCLE_1)
	v_mov_b32_e32 v2, s41
	s_wait_storecnt 0x0
	s_wait_loadcnt_dscnt 0x0
	ds_add_u64 v0, v[2:3]
	s_trap 2
.LBB2_367:                              ;   in Loop: Header=BB2_315 Depth=2
	s_or_b32 exec_lo, exec_lo, s40
	s_trap 2
	ds_load_b64 v[10:11], v0
	s_wait_dscnt 0x0
	v_add_nc_u64_e32 v[12:13], v[12:13], v[32:33]
	s_mov_b32 s40, exec_lo
	s_delay_alu instid0(VALU_DEP_1)
	v_cmpx_lt_u64_e64 v[10:11], v[12:13]
	s_cbranch_execz .LBB2_376
; %bb.368:                              ;   in Loop: Header=BB2_315 Depth=2
	s_mov_b32 s41, 0
	s_mov_b32 s62, 0
                                        ; implicit-def: $sgpr60
                                        ; implicit-def: $sgpr61
	s_branch .LBB2_370
.LBB2_369:                              ;   in Loop: Header=BB2_370 Depth=3
	s_or_b32 exec_lo, exec_lo, s72
	s_delay_alu instid0(SALU_CYCLE_1) | instskip(NEXT) | instid1(SALU_CYCLE_1)
	s_and_b32 s63, exec_lo, s73
	s_or_b32 s41, s63, s41
	s_and_not1_b32 s60, s60, exec_lo
	s_and_b32 s63, s61, exec_lo
	s_delay_alu instid0(SALU_CYCLE_1)
	s_or_b32 s60, s60, s63
	s_and_not1_b32 exec_lo, exec_lo, s41
	s_cbranch_execz .LBB2_374
.LBB2_370:                              ;   Parent Loop BB2_47 Depth=1
                                        ;     Parent Loop BB2_315 Depth=2
                                        ; =>    This Inner Loop Header: Depth=3
	s_add_co_i32 s62, s62, 1
	s_delay_alu instid0(SALU_CYCLE_1) | instskip(SKIP_1) | instid1(SALU_CYCLE_1)
	s_cmp_lg_u32 s62, 0x2710
	s_cselect_b32 s63, -1, 0
	s_and_b32 vcc_lo, exec_lo, s63
	s_cbranch_vccz .LBB2_372
; %bb.371:                              ;   in Loop: Header=BB2_370 Depth=3
	s_mov_b32 s73, -1
	s_or_b32 s61, s61, exec_lo
	s_and_saveexec_b32 s72, s63
	s_cbranch_execz .LBB2_369
	s_branch .LBB2_373
.LBB2_372:                              ;   in Loop: Header=BB2_370 Depth=3
	s_trap 2
	ds_load_b64 v[10:11], v0
	s_and_not1_b32 s63, s63, exec_lo
	s_mov_b32 s62, 0
	s_wait_storecnt 0x0
	s_wait_loadcnt_dscnt 0x0
	flat_load_b32 v2, v[10:11] scope:SCOPE_SYS
	s_wait_loadcnt_dscnt 0x0
	global_inv scope:SCOPE_SYS
	v_cmp_eq_u32_e32 vcc_lo, 0, v2
	s_and_b32 s72, vcc_lo, exec_lo
	s_delay_alu instid0(SALU_CYCLE_1)
	s_or_b32 s63, s63, s72
	s_mov_b32 s73, -1
	s_or_b32 s61, s61, exec_lo
	s_and_saveexec_b32 s72, s63
	s_cbranch_execz .LBB2_369
.LBB2_373:                              ;   in Loop: Header=BB2_370 Depth=3
	s_sleep 1
	s_trap 2
	ds_load_b64 v[10:11], v0
	s_wait_dscnt 0x0
	s_and_not1_b32 s61, s61, exec_lo
	v_cmp_ge_u64_e32 vcc_lo, v[10:11], v[12:13]
	s_or_not1_b32 s73, vcc_lo, exec_lo
	s_branch .LBB2_369
.LBB2_374:                              ;   in Loop: Header=BB2_315 Depth=2
	s_or_b32 exec_lo, exec_lo, s41
	s_and_saveexec_b32 s41, s60
	s_delay_alu instid0(SALU_CYCLE_1)
	s_xor_b32 s41, exec_lo, s41
	s_cbranch_execz .LBB2_376
; %bb.375:                              ;   in Loop: Header=BB2_315 Depth=2
	ds_store_b32 v0, v59
	s_trap 2
.LBB2_376:                              ;   in Loop: Header=BB2_315 Depth=2
	s_or_b32 exec_lo, exec_lo, s40
	;;#ASMSTART
	s_wakeup
	;;#ASMEND
.LBB2_377:                              ;   in Loop: Header=BB2_315 Depth=2
	s_or_b32 exec_lo, exec_lo, s27
.LBB2_378:                              ;   in Loop: Header=BB2_315 Depth=2
	s_and_not1_saveexec_b32 s18, s18
	s_cbranch_execz .LBB2_380
; %bb.379:                              ;   in Loop: Header=BB2_315 Depth=2
	;;#ASMSTART
	s_waitcnt lgkmcnt(0) vmcnt(0)
	;;#ASMEND
	s_barrier_signal -1
	s_barrier_wait -1
.LBB2_380:                              ;   in Loop: Header=BB2_315 Depth=2
	s_or_b32 exec_lo, exec_lo, s18
.LBB2_381:                              ;   in Loop: Header=BB2_315 Depth=2
	s_delay_alu instid0(SALU_CYCLE_1) | instskip(NEXT) | instid1(SALU_CYCLE_1)
	s_or_b32 exec_lo, exec_lo, s13
	s_mov_b32 s13, exec_lo
	v_cmpx_ne_u32_e32 0, v8
	s_cbranch_execz .LBB2_314
; %bb.382:                              ;   in Loop: Header=BB2_315 Depth=2
	s_and_saveexec_b32 s18, s5
	s_cbranch_execz .LBB2_313
; %bb.383:                              ;   in Loop: Header=BB2_315 Depth=2
	global_wb scope:SCOPE_SYS
	s_wait_storecnt 0x0
	s_wait_loadcnt_dscnt 0x0
	flat_store_b32 v[26:27], v59 scope:SCOPE_SYS
	s_branch .LBB2_313
.LBB2_384:                              ;   in Loop: Header=BB2_47 Depth=1
	s_or_b32 exec_lo, exec_lo, s15
.LBB2_385:                              ;   in Loop: Header=BB2_47 Depth=1
	s_delay_alu instid0(SALU_CYCLE_1) | instskip(NEXT) | instid1(SALU_CYCLE_1)
	s_or_b32 exec_lo, exec_lo, s14
	s_and_not1_b32 vcc_lo, exec_lo, s46
	s_cbranch_vccnz .LBB2_776
; %bb.386:                              ;   in Loop: Header=BB2_47 Depth=1
	s_mov_b32 s14, 2
	s_branch .LBB2_389
.LBB2_387:                              ;   in Loop: Header=BB2_389 Depth=2
	s_or_b32 exec_lo, exec_lo, s18
.LBB2_388:                              ;   in Loop: Header=BB2_389 Depth=2
	s_delay_alu instid0(SALU_CYCLE_1) | instskip(SKIP_1) | instid1(SALU_CYCLE_1)
	s_or_b32 exec_lo, exec_lo, s15
	s_add_co_i32 s14, s14, 1
	s_cmp_eq_u32 s14, s16
	s_cbranch_scc1 .LBB2_776
.LBB2_389:                              ;   Parent Loop BB2_47 Depth=1
                                        ; =>  This Loop Header: Depth=2
                                        ;       Child Loop BB2_392 Depth 3
                                        ;         Child Loop BB2_400 Depth 4
                                        ;         Child Loop BB2_428 Depth 4
	;; [unrolled: 1-line block ×9, first 2 shown]
                                        ;       Child Loop BB2_704 Depth 3
                                        ;         Child Loop BB2_710 Depth 4
                                        ;         Child Loop BB2_738 Depth 4
	;; [unrolled: 1-line block ×3, first 2 shown]
	s_sub_co_i32 s13, s44, s14
	s_mov_b32 s18, 0
	s_cmp_ge_i32 s13, s16
	v_mov_b32_e32 v102, 0
	s_cselect_b32 s15, s16, 0
	s_delay_alu instid0(SALU_CYCLE_1) | instskip(NEXT) | instid1(SALU_CYCLE_1)
	s_sub_co_i32 s40, s13, s15
	s_ashr_i32 s41, s40, 31
	s_delay_alu instid0(SALU_CYCLE_1) | instskip(NEXT) | instid1(VALU_DEP_1)
	v_mul_u64_e32 v[112:113], s[40:41], v[84:85]
	v_sub_nc_u64_e32 v[8:9], v[96:97], v[112:113]
	s_delay_alu instid0(VALU_DEP_1) | instskip(NEXT) | instid1(VALU_DEP_1)
	v_min_i64 v[8:9], v[84:85], v[8:9]
	v_max_i32_e32 v44, 0, v8
	v_cmp_lt_i32_e32 vcc_lo, 0, v8
	s_delay_alu instid0(VALU_DEP_2) | instskip(SKIP_1) | instid1(VALU_DEP_1)
	v_add_nc_u32_e32 v2, 31, v44
	s_and_b32 s13, s57, vcc_lo
	v_lshrrev_b32_e32 v2, 1, v2
	s_delay_alu instid0(VALU_DEP_1) | instskip(NEXT) | instid1(VALU_DEP_1)
	v_and_b32_e32 v9, 0x3ffffff0, v2
	v_dual_mov_b32 v2, 0 :: v_dual_max_i32 v100, s45, v9
	s_and_saveexec_b32 s15, s13
	s_cbranch_execz .LBB2_701
; %bb.390:                              ;   in Loop: Header=BB2_389 Depth=2
	v_mov_b32_e32 v102, 0
	s_mov_b32 s40, 1
	s_mov_b32 s27, -1
	s_branch .LBB2_392
.LBB2_391:                              ;   in Loop: Header=BB2_392 Depth=3
	s_wait_xcnt 0x0
	s_or_b32 exec_lo, exec_lo, s13
	v_dual_add_nc_u32 v102, v100, v102 :: v_dual_mov_b32 v2, s40
	s_xor_b32 s13, s27, -1
	s_mov_b32 s27, 0
	s_mov_b32 s40, 2
	s_delay_alu instid0(VALU_DEP_1) | instskip(SKIP_1) | instid1(SALU_CYCLE_1)
	v_cmp_ge_i32_e32 vcc_lo, v102, v44
	s_or_b32 s13, s13, vcc_lo
	s_and_b32 s13, exec_lo, s13
	s_delay_alu instid0(SALU_CYCLE_1) | instskip(NEXT) | instid1(SALU_CYCLE_1)
	s_or_b32 s18, s13, s18
	s_and_not1_b32 exec_lo, exec_lo, s18
	s_cbranch_execz .LBB2_700
.LBB2_392:                              ;   Parent Loop BB2_47 Depth=1
                                        ;     Parent Loop BB2_389 Depth=2
                                        ; =>    This Loop Header: Depth=3
                                        ;         Child Loop BB2_400 Depth 4
                                        ;         Child Loop BB2_428 Depth 4
	;; [unrolled: 1-line block ×9, first 2 shown]
	s_and_saveexec_b32 s13, s0
	s_cbranch_execz .LBB2_394
; %bb.393:                              ;   in Loop: Header=BB2_392 Depth=3
	s_trap 2
	ds_load_b64 v[8:9], v0
	v_ashrrev_i32_e32 v103, 31, v102
	s_wait_dscnt 0x0
	v_lshl_add_u64 v[8:9], v[98:99], 1, v[8:9]
	s_delay_alu instid0(VALU_DEP_1) | instskip(NEXT) | instid1(VALU_DEP_1)
	v_lshl_add_u64 v[8:9], v[112:113], 1, v[8:9]
	v_lshl_add_u64 v[8:9], v[102:103], 1, v[8:9]
	ds_store_b64 v0, v[8:9]
	ds_store_b64 v0, v[34:35]
.LBB2_394:                              ;   in Loop: Header=BB2_392 Depth=3
	s_or_b32 exec_lo, exec_lo, s13
	v_sub_nc_u32_e32 v2, v44, v102
	v_and_b32_e32 v8, 12, v30
	s_mov_b32 s41, exec_lo
	s_delay_alu instid0(VALU_DEP_2) | instskip(NEXT) | instid1(VALU_DEP_2)
	v_min_i32_e32 v100, v100, v2
	v_cmpx_ne_u32_e32 0, v8
	s_cbranch_execz .LBB2_420
; %bb.395:                              ;   in Loop: Header=BB2_392 Depth=3
	v_and_b32_e32 v2, 8, v30
	v_add_nc_u64_e32 v[8:9], 2, v[86:87]
	s_mov_b32 s60, exec_lo
	s_wait_loadcnt_dscnt 0x1
	s_delay_alu instid0(VALU_DEP_2) | instskip(NEXT) | instid1(VALU_DEP_1)
	v_add_nc_u64_e32 v[10:11], v[28:29], v[2:3]
	v_cmpx_lt_u64_e64 v[10:11], v[8:9]
	s_cbranch_execz .LBB2_407
; %bb.396:                              ;   in Loop: Header=BB2_392 Depth=3
	v_and_b32_e32 v10, 64, v30
	s_mov_b32 s61, 0
	s_mov_b32 s73, 0
                                        ; implicit-def: $sgpr62
                                        ; implicit-def: $sgpr63
                                        ; implicit-def: $sgpr72
	s_delay_alu instid0(VALU_DEP_1)
	v_cmp_eq_u32_e32 vcc_lo, 0, v10
	s_branch .LBB2_400
.LBB2_397:                              ;   in Loop: Header=BB2_400 Depth=4
	s_wait_loadcnt_dscnt 0x0
	v_add_nc_u64_e32 v[114:115], v[28:29], v[2:3]
	s_or_b32 s76, s76, exec_lo
	s_delay_alu instid0(VALU_DEP_1)
	v_cmp_ge_u64_e64 s13, v[114:115], v[8:9]
	s_or_not1_b32 s75, s13, exec_lo
.LBB2_398:                              ;   in Loop: Header=BB2_400 Depth=4
	s_or_b32 exec_lo, exec_lo, s78
	s_delay_alu instid0(SALU_CYCLE_1)
	s_and_not1_b32 s13, s72, exec_lo
	s_and_b32 s72, s76, exec_lo
	s_and_not1_b32 s63, s63, exec_lo
	s_and_b32 s75, s75, exec_lo
	s_or_b32 s72, s13, s72
	s_or_b32 s63, s63, s75
.LBB2_399:                              ;   in Loop: Header=BB2_400 Depth=4
	s_or_b32 exec_lo, exec_lo, s74
	s_delay_alu instid0(SALU_CYCLE_1) | instskip(NEXT) | instid1(SALU_CYCLE_1)
	s_and_b32 s13, exec_lo, s63
	s_or_b32 s61, s13, s61
	s_and_not1_b32 s13, s62, exec_lo
	s_and_b32 s62, s72, exec_lo
	s_delay_alu instid0(SALU_CYCLE_1)
	s_or_b32 s62, s13, s62
	s_and_not1_b32 exec_lo, exec_lo, s61
	s_cbranch_execz .LBB2_404
.LBB2_400:                              ;   Parent Loop BB2_47 Depth=1
                                        ;     Parent Loop BB2_389 Depth=2
                                        ;       Parent Loop BB2_392 Depth=3
                                        ; =>      This Inner Loop Header: Depth=4
	s_sleep 1
	s_wait_loadcnt_dscnt 0x0
	flat_load_b64 v[28:29], v[20:21] scope:SCOPE_SYS
	s_or_b32 s72, s72, exec_lo
	s_or_b32 s63, s63, exec_lo
                                        ; implicit-def: $vgpr10
	s_wait_xcnt 0x0
	s_and_saveexec_b32 s74, vcc_lo
	s_cbranch_execz .LBB2_399
; %bb.401:                              ;   in Loop: Header=BB2_400 Depth=4
	s_cmp_lt_i32 s73, 0x270f
	s_mov_b32 s75, -1
	s_cselect_b32 s77, -1, 0
	s_cmp_gt_i32 s73, 0x270e
	s_cbranch_scc0 .LBB2_403
; %bb.402:                              ;   in Loop: Header=BB2_400 Depth=4
	s_trap 2
	ds_load_b64 v[10:11], v0
	s_and_not1_b32 s73, s77, exec_lo
	s_mov_b32 s76, 0
	s_wait_storecnt 0x0
	s_wait_loadcnt_dscnt 0x0
	flat_load_b32 v10, v[10:11] scope:SCOPE_SYS
	s_wait_loadcnt_dscnt 0x0
	global_inv scope:SCOPE_SYS
	v_cmp_eq_u32_e64 s13, 0, v10
	s_and_b32 s13, s13, exec_lo
	s_delay_alu instid0(SALU_CYCLE_1)
	s_or_b32 s77, s73, s13
	s_mov_b32 s73, 0
	s_and_saveexec_b32 s78, s77
	s_cbranch_execz .LBB2_398
	s_branch .LBB2_397
.LBB2_403:                              ;   in Loop: Header=BB2_400 Depth=4
	s_add_co_i32 s73, s73, 1
	s_mov_b32 s76, -1
                                        ; implicit-def: $vgpr10
	s_and_saveexec_b32 s78, s77
	s_cbranch_execz .LBB2_398
	s_branch .LBB2_397
.LBB2_404:                              ;   in Loop: Header=BB2_392 Depth=3
	s_or_b32 exec_lo, exec_lo, s61
	s_xor_b32 s13, s62, -1
	s_delay_alu instid0(SALU_CYCLE_1) | instskip(NEXT) | instid1(SALU_CYCLE_1)
	s_and_saveexec_b32 s61, s13
	s_xor_b32 s13, exec_lo, s61
	s_cbranch_execz .LBB2_406
; %bb.405:                              ;   in Loop: Header=BB2_392 Depth=3
	v_or_b32_e32 v30, 64, v30
	s_wait_storecnt 0x0
	s_wait_loadcnt_dscnt 0x0
	ds_store_b32 v0, v10
	s_trap 2
.LBB2_406:                              ;   in Loop: Header=BB2_392 Depth=3
	s_or_b32 exec_lo, exec_lo, s13
.LBB2_407:                              ;   in Loop: Header=BB2_392 Depth=3
	s_delay_alu instid0(SALU_CYCLE_1) | instskip(SKIP_2) | instid1(VALU_DEP_1)
	s_or_b32 exec_lo, exec_lo, s60
	v_and_b32_e32 v10, 0x108, v30
	;;#ASMSTART
	s_wakeup
	;;#ASMEND
	v_cmp_ne_u32_e32 vcc_lo, 0x108, v10
                                        ; implicit-def: $vgpr10_vgpr11
	s_and_saveexec_b32 s13, vcc_lo
	s_delay_alu instid0(SALU_CYCLE_1)
	s_xor_b32 s13, exec_lo, s13
; %bb.408:                              ;   in Loop: Header=BB2_392 Depth=3
	v_dual_mov_b32 v11, v3 :: v_dual_bitop2_b32 v10, 7, v86 bitop3:0x40
                                        ; implicit-def: $vgpr86_vgpr87
; %bb.409:                              ;   in Loop: Header=BB2_392 Depth=3
	s_and_not1_saveexec_b32 s13, s13
	s_cbranch_execz .LBB2_411
; %bb.410:                              ;   in Loop: Header=BB2_392 Depth=3
	v_dual_ashrrev_i32 v101, 31, v100 :: v_dual_bitop2_b32 v10, 7, v86 bitop3:0x40
	v_mov_b32_e32 v11, v3
	s_delay_alu instid0(VALU_DEP_2) | instskip(NEXT) | instid1(VALU_DEP_3)
	v_mad_nc_u64_u32 v[86:87], v10, 24, v[6:7]
	v_lshlrev_b64_e32 v[114:115], 1, v[100:101]
	flat_store_b64 v[86:87], v[114:115] offset:8
.LBB2_411:                              ;   in Loop: Header=BB2_392 Depth=3
	s_wait_xcnt 0x0
	s_or_b32 exec_lo, exec_lo, s13
	v_and_b32_e32 v86, 0x100, v30
	s_mov_b32 s13, -1
	s_delay_alu instid0(VALU_DEP_1)
	v_cmp_ne_u32_e32 vcc_lo, 0, v86
                                        ; implicit-def: $vgpr86_vgpr87
	s_and_saveexec_b32 s60, vcc_lo
	s_cbranch_execz .LBB2_415
; %bb.412:                              ;   in Loop: Header=BB2_392 Depth=3
	v_mad_nc_u64_u32 v[114:115], v10, 24, v[6:7]
	s_delay_alu instid0(VALU_DEP_1)
	v_mad_u32 v115, v11, 24, v115
	flat_load_b32 v86, v[114:115]
	s_wait_loadcnt_dscnt 0x0
	v_cmp_eq_u32_e64 s13, 1, v86
	v_cmp_ne_u32_e32 vcc_lo, 1, v86
                                        ; implicit-def: $vgpr86_vgpr87
	s_wait_xcnt 0x0
	s_and_saveexec_b32 s61, s13
	s_cbranch_execz .LBB2_414
; %bb.413:                              ;   in Loop: Header=BB2_392 Depth=3
	flat_load_b32 v86, v[114:115] offset:4 scope:SCOPE_SYS
	s_wait_loadcnt_dscnt 0x0
	v_ashrrev_i32_e32 v87, 31, v86
	s_delay_alu instid0(VALU_DEP_1)
	v_lshrrev_b64 v[86:87], 1, v[86:87]
.LBB2_414:                              ;   in Loop: Header=BB2_392 Depth=3
	s_wait_xcnt 0x0
	s_or_b32 exec_lo, exec_lo, s61
	s_delay_alu instid0(SALU_CYCLE_1)
	s_or_not1_b32 s13, vcc_lo, exec_lo
.LBB2_415:                              ;   in Loop: Header=BB2_392 Depth=3
	s_or_b32 exec_lo, exec_lo, s60
	s_and_saveexec_b32 s60, s13
; %bb.416:                              ;   in Loop: Header=BB2_392 Depth=3
	v_mul_u64_e32 v[86:87], v[10:11], v[22:23]
; %bb.417:                              ;   in Loop: Header=BB2_392 Depth=3
	s_or_b32 exec_lo, exec_lo, s60
	v_cmp_eq_u32_e32 vcc_lo, 0, v2
	v_and_b32_e32 v101, 0x2000, v30
	s_delay_alu instid0(VALU_DEP_3) | instskip(SKIP_2) | instid1(VALU_DEP_1)
	v_lshl_add_u64 v[10:11], v[86:87], 1, v[24:25]
	s_mov_b32 s13, exec_lo
	v_cndmask_b32_e32 v2, 0xc8, v60, vcc_lo
	v_add_nc_u32_e32 v2, v0, v2
	ds_store_b64 v2, v[10:11] offset:584
	v_cmpx_ne_u32_e32 0, v101
	s_cbranch_execz .LBB2_419
; %bb.418:                              ;   in Loop: Header=BB2_392 Depth=3
	ds_load_b64 v[10:11], v0 offset:872
	s_wait_dscnt 0x0
	v_add_nc_u64_e32 v[10:11], 1, v[10:11]
	ds_store_b64 v0, v[10:11] offset:872
.LBB2_419:                              ;   in Loop: Header=BB2_392 Depth=3
	s_or_b32 exec_lo, exec_lo, s13
	v_mov_b64_e32 v[86:87], v[8:9]
.LBB2_420:                              ;   in Loop: Header=BB2_392 Depth=3
	s_or_b32 exec_lo, exec_lo, s41
	s_and_saveexec_b32 s13, s2
	s_cbranch_execz .LBB2_439
; %bb.421:                              ;   in Loop: Header=BB2_392 Depth=3
	s_and_saveexec_b32 s41, s3
	s_delay_alu instid0(SALU_CYCLE_1)
	s_xor_b32 s41, exec_lo, s41
	s_cbranch_execz .LBB2_436
; %bb.422:                              ;   in Loop: Header=BB2_392 Depth=3
	s_and_saveexec_b32 s60, s6
	s_cbranch_execz .LBB2_435
; %bb.423:                              ;   in Loop: Header=BB2_392 Depth=3
	s_mov_b32 s62, exec_lo
	s_mov_b32 s61, exec_lo
	v_mbcnt_lo_u32_b32 v2, s62, 0
	global_wb scope:SCOPE_DEV
	s_wait_storecnt 0x0
	s_wait_loadcnt_dscnt 0x0
	global_inv scope:SCOPE_DEV
	v_cmpx_eq_u32_e32 0, v2
	s_cbranch_execz .LBB2_425
; %bb.424:                              ;   in Loop: Header=BB2_392 Depth=3
	s_bcnt1_i32_b32 s62, s62
	s_delay_alu instid0(SALU_CYCLE_1)
	v_mov_b32_e32 v2, s62
	s_wait_loadcnt 0x0
	ds_add_u64 v0, v[2:3]
	s_trap 2
.LBB2_425:                              ;   in Loop: Header=BB2_392 Depth=3
	s_or_b32 exec_lo, exec_lo, s61
	s_trap 2
	ds_load_b64 v[8:9], v0
	s_wait_dscnt 0x0
	v_add_nc_u64_e32 v[12:13], v[12:13], v[32:33]
	s_mov_b32 s61, exec_lo
	s_delay_alu instid0(VALU_DEP_1)
	v_cmpx_lt_u64_e64 v[8:9], v[12:13]
	s_cbranch_execz .LBB2_434
; %bb.426:                              ;   in Loop: Header=BB2_392 Depth=3
	s_mov_b32 s62, 0
	s_mov_b32 s73, 0
                                        ; implicit-def: $sgpr63
                                        ; implicit-def: $sgpr72
	s_branch .LBB2_428
.LBB2_427:                              ;   in Loop: Header=BB2_428 Depth=4
	s_or_b32 exec_lo, exec_lo, s75
	s_delay_alu instid0(SALU_CYCLE_1) | instskip(NEXT) | instid1(SALU_CYCLE_1)
	s_and_b32 s74, exec_lo, s76
	s_or_b32 s62, s74, s62
	s_and_not1_b32 s63, s63, exec_lo
	s_and_b32 s74, s72, exec_lo
	s_delay_alu instid0(SALU_CYCLE_1)
	s_or_b32 s63, s63, s74
	s_and_not1_b32 exec_lo, exec_lo, s62
	s_cbranch_execz .LBB2_432
.LBB2_428:                              ;   Parent Loop BB2_47 Depth=1
                                        ;     Parent Loop BB2_389 Depth=2
                                        ;       Parent Loop BB2_392 Depth=3
                                        ; =>      This Inner Loop Header: Depth=4
	s_add_co_i32 s73, s73, 1
	s_delay_alu instid0(SALU_CYCLE_1) | instskip(SKIP_1) | instid1(SALU_CYCLE_1)
	s_cmp_lg_u32 s73, 0x2710
	s_cselect_b32 s74, -1, 0
	s_and_b32 vcc_lo, exec_lo, s74
	s_cbranch_vccz .LBB2_430
; %bb.429:                              ;   in Loop: Header=BB2_428 Depth=4
	s_mov_b32 s76, -1
	s_or_b32 s72, s72, exec_lo
	s_and_saveexec_b32 s75, s74
	s_cbranch_execz .LBB2_427
	s_branch .LBB2_431
.LBB2_430:                              ;   in Loop: Header=BB2_428 Depth=4
	s_trap 2
	ds_load_b64 v[8:9], v0
	s_and_not1_b32 s74, s74, exec_lo
	s_mov_b32 s73, 0
	s_wait_loadcnt_dscnt 0x0
	flat_load_b32 v2, v[8:9] scope:SCOPE_SYS
	s_wait_loadcnt_dscnt 0x0
	global_inv scope:SCOPE_SYS
	v_cmp_eq_u32_e32 vcc_lo, 0, v2
	s_and_b32 s75, vcc_lo, exec_lo
	s_delay_alu instid0(SALU_CYCLE_1)
	s_or_b32 s74, s74, s75
	s_mov_b32 s76, -1
	s_or_b32 s72, s72, exec_lo
	s_and_saveexec_b32 s75, s74
	s_cbranch_execz .LBB2_427
.LBB2_431:                              ;   in Loop: Header=BB2_428 Depth=4
	s_sleep 1
	s_trap 2
	ds_load_b64 v[8:9], v0
	s_wait_dscnt 0x0
	s_and_not1_b32 s72, s72, exec_lo
	v_cmp_ge_u64_e32 vcc_lo, v[8:9], v[12:13]
	s_or_not1_b32 s76, vcc_lo, exec_lo
	s_branch .LBB2_427
.LBB2_432:                              ;   in Loop: Header=BB2_392 Depth=3
	s_or_b32 exec_lo, exec_lo, s62
	s_and_saveexec_b32 s62, s63
	s_delay_alu instid0(SALU_CYCLE_1)
	s_xor_b32 s62, exec_lo, s62
	s_cbranch_execz .LBB2_434
; %bb.433:                              ;   in Loop: Header=BB2_392 Depth=3
	ds_store_b32 v0, v59
	s_trap 2
.LBB2_434:                              ;   in Loop: Header=BB2_392 Depth=3
	s_or_b32 exec_lo, exec_lo, s61
	;;#ASMSTART
	s_wakeup
	;;#ASMEND
.LBB2_435:                              ;   in Loop: Header=BB2_392 Depth=3
	s_or_b32 exec_lo, exec_lo, s60
.LBB2_436:                              ;   in Loop: Header=BB2_392 Depth=3
	s_and_not1_saveexec_b32 s41, s41
	s_cbranch_execz .LBB2_438
; %bb.437:                              ;   in Loop: Header=BB2_392 Depth=3
	global_wb scope:SCOPE_DEV
	s_wait_storecnt 0x0
	s_wait_loadcnt_dscnt 0x0
	global_inv scope:SCOPE_DEV
	s_barrier_signal -1
	s_barrier_wait -1
.LBB2_438:                              ;   in Loop: Header=BB2_392 Depth=3
	s_or_b32 exec_lo, exec_lo, s41
.LBB2_439:                              ;   in Loop: Header=BB2_392 Depth=3
	s_delay_alu instid0(SALU_CYCLE_1) | instskip(SKIP_4) | instid1(VALU_DEP_1)
	s_or_b32 exec_lo, exec_lo, s13
	s_trap 2
	ds_load_b32 v8, v0
	v_and_b32_e32 v2, 0x4000, v30
	s_xor_b32 s13, s1, -1
	v_cmp_ne_u32_e32 vcc_lo, 0, v2
	s_and_b32 s41, s13, vcc_lo
	s_delay_alu instid0(SALU_CYCLE_1)
	s_and_saveexec_b32 s13, s41
	s_cbranch_execz .LBB2_458
; %bb.440:                              ;   in Loop: Header=BB2_392 Depth=3
	s_and_saveexec_b32 s41, s3
	s_delay_alu instid0(SALU_CYCLE_1)
	s_xor_b32 s41, exec_lo, s41
	s_cbranch_execz .LBB2_455
; %bb.441:                              ;   in Loop: Header=BB2_392 Depth=3
	s_and_saveexec_b32 s60, s6
	s_cbranch_execz .LBB2_454
; %bb.442:                              ;   in Loop: Header=BB2_392 Depth=3
	s_mov_b32 s62, exec_lo
	s_mov_b32 s61, exec_lo
	v_mbcnt_lo_u32_b32 v2, s62, 0
	global_wb scope:SCOPE_DEV
	s_wait_storecnt 0x0
	s_wait_loadcnt_dscnt 0x0
	global_inv scope:SCOPE_DEV
	v_cmpx_eq_u32_e32 0, v2
	s_cbranch_execz .LBB2_444
; %bb.443:                              ;   in Loop: Header=BB2_392 Depth=3
	s_bcnt1_i32_b32 s62, s62
	s_delay_alu instid0(SALU_CYCLE_1)
	v_mov_b32_e32 v2, s62
	s_wait_loadcnt 0x0
	ds_add_u64 v0, v[2:3]
	s_trap 2
.LBB2_444:                              ;   in Loop: Header=BB2_392 Depth=3
	s_or_b32 exec_lo, exec_lo, s61
	s_trap 2
	ds_load_b64 v[10:11], v0
	s_wait_dscnt 0x0
	v_add_nc_u64_e32 v[12:13], v[12:13], v[32:33]
	s_mov_b32 s61, exec_lo
	s_delay_alu instid0(VALU_DEP_1)
	v_cmpx_lt_u64_e64 v[10:11], v[12:13]
	s_cbranch_execz .LBB2_453
; %bb.445:                              ;   in Loop: Header=BB2_392 Depth=3
	s_mov_b32 s62, 0
	s_mov_b32 s73, 0
                                        ; implicit-def: $sgpr63
                                        ; implicit-def: $sgpr72
	s_branch .LBB2_447
.LBB2_446:                              ;   in Loop: Header=BB2_447 Depth=4
	s_or_b32 exec_lo, exec_lo, s75
	s_delay_alu instid0(SALU_CYCLE_1) | instskip(NEXT) | instid1(SALU_CYCLE_1)
	s_and_b32 s74, exec_lo, s76
	s_or_b32 s62, s74, s62
	s_and_not1_b32 s63, s63, exec_lo
	s_and_b32 s74, s72, exec_lo
	s_delay_alu instid0(SALU_CYCLE_1)
	s_or_b32 s63, s63, s74
	s_and_not1_b32 exec_lo, exec_lo, s62
	s_cbranch_execz .LBB2_451
.LBB2_447:                              ;   Parent Loop BB2_47 Depth=1
                                        ;     Parent Loop BB2_389 Depth=2
                                        ;       Parent Loop BB2_392 Depth=3
                                        ; =>      This Inner Loop Header: Depth=4
	s_add_co_i32 s73, s73, 1
	s_delay_alu instid0(SALU_CYCLE_1) | instskip(SKIP_1) | instid1(SALU_CYCLE_1)
	s_cmp_lg_u32 s73, 0x2710
	s_cselect_b32 s74, -1, 0
	s_and_b32 vcc_lo, exec_lo, s74
	s_cbranch_vccz .LBB2_449
; %bb.448:                              ;   in Loop: Header=BB2_447 Depth=4
	s_mov_b32 s76, -1
	s_or_b32 s72, s72, exec_lo
	s_and_saveexec_b32 s75, s74
	s_cbranch_execz .LBB2_446
	s_branch .LBB2_450
.LBB2_449:                              ;   in Loop: Header=BB2_447 Depth=4
	s_trap 2
	ds_load_b64 v[10:11], v0
	s_and_not1_b32 s74, s74, exec_lo
	s_mov_b32 s73, 0
	s_wait_loadcnt_dscnt 0x0
	flat_load_b32 v2, v[10:11] scope:SCOPE_SYS
	s_wait_loadcnt_dscnt 0x0
	global_inv scope:SCOPE_SYS
	v_cmp_eq_u32_e32 vcc_lo, 0, v2
	s_and_b32 s75, vcc_lo, exec_lo
	s_delay_alu instid0(SALU_CYCLE_1)
	s_or_b32 s74, s74, s75
	s_mov_b32 s76, -1
	s_or_b32 s72, s72, exec_lo
	s_and_saveexec_b32 s75, s74
	s_cbranch_execz .LBB2_446
.LBB2_450:                              ;   in Loop: Header=BB2_447 Depth=4
	s_sleep 1
	s_trap 2
	ds_load_b64 v[10:11], v0
	s_wait_dscnt 0x0
	s_and_not1_b32 s72, s72, exec_lo
	v_cmp_ge_u64_e32 vcc_lo, v[10:11], v[12:13]
	s_or_not1_b32 s76, vcc_lo, exec_lo
	s_branch .LBB2_446
.LBB2_451:                              ;   in Loop: Header=BB2_392 Depth=3
	s_or_b32 exec_lo, exec_lo, s62
	s_and_saveexec_b32 s62, s63
	s_delay_alu instid0(SALU_CYCLE_1)
	s_xor_b32 s62, exec_lo, s62
	s_cbranch_execz .LBB2_453
; %bb.452:                              ;   in Loop: Header=BB2_392 Depth=3
	ds_store_b32 v0, v59
	s_trap 2
.LBB2_453:                              ;   in Loop: Header=BB2_392 Depth=3
	s_or_b32 exec_lo, exec_lo, s61
	;;#ASMSTART
	s_wakeup
	;;#ASMEND
.LBB2_454:                              ;   in Loop: Header=BB2_392 Depth=3
	s_or_b32 exec_lo, exec_lo, s60
.LBB2_455:                              ;   in Loop: Header=BB2_392 Depth=3
	s_and_not1_saveexec_b32 s41, s41
	s_cbranch_execz .LBB2_457
; %bb.456:                              ;   in Loop: Header=BB2_392 Depth=3
	global_wb scope:SCOPE_DEV
	s_wait_storecnt 0x0
	s_wait_loadcnt_dscnt 0x0
	global_inv scope:SCOPE_DEV
	s_barrier_signal -1
	s_barrier_wait -1
.LBB2_457:                              ;   in Loop: Header=BB2_392 Depth=3
	s_or_b32 exec_lo, exec_lo, s41
.LBB2_458:                              ;   in Loop: Header=BB2_392 Depth=3
	s_delay_alu instid0(SALU_CYCLE_1)
	s_or_b32 exec_lo, exec_lo, s13
	s_trap 2
	ds_load_b64 v[114:115], v0
	s_wait_dscnt 0x0
	v_cmp_eq_u64_e32 vcc_lo, 0, v[114:115]
	s_cbranch_vccnz .LBB2_466
; %bb.459:                              ;   in Loop: Header=BB2_392 Depth=3
	s_trap 2
	ds_load_b64 v[116:117], v0
	s_wait_dscnt 0x0
	v_cmp_eq_u64_e32 vcc_lo, 0, v[116:117]
	s_cbranch_vccnz .LBB2_466
; %bb.460:                              ;   in Loop: Header=BB2_392 Depth=3
	s_mov_b32 s13, -1
	s_and_saveexec_b32 s41, s11
	s_cbranch_execz .LBB2_462
; %bb.461:                              ;   in Loop: Header=BB2_392 Depth=3
	ds_load_b32 v2, v0 offset:720
	s_wait_dscnt 0x0
	v_and_b32_e32 v2, 15, v2
	s_delay_alu instid0(VALU_DEP_1)
	v_cmp_eq_u32_e32 vcc_lo, 0, v2
	s_or_not1_b32 s13, vcc_lo, exec_lo
.LBB2_462:                              ;   in Loop: Header=BB2_392 Depth=3
	s_or_b32 exec_lo, exec_lo, s41
	s_and_saveexec_b32 s41, s10
	s_cbranch_execz .LBB2_464
; %bb.463:                              ;   in Loop: Header=BB2_392 Depth=3
	ds_load_b32 v2, v0 offset:784
	s_wait_dscnt 0x0
	v_and_b32_e32 v2, 15, v2
	s_delay_alu instid0(VALU_DEP_1) | instskip(SKIP_3) | instid1(SALU_CYCLE_1)
	v_cmp_eq_u32_e32 vcc_lo, 0, v2
	s_and_b32 s60, s13, vcc_lo
	s_and_not1_b32 s13, s13, exec_lo
	s_and_b32 s60, s60, exec_lo
	s_or_b32 s13, s13, s60
.LBB2_464:                              ;   in Loop: Header=BB2_392 Depth=3
	s_or_b32 exec_lo, exec_lo, s41
	v_cmp_eq_u32_e32 vcc_lo, 0, v8
	s_xor_b32 s13, s13, -1
	s_mov_b32 s60, -1
	v_cndmask_b32_e64 v9, 0, 1, s13
	v_dual_mov_b32 v40, 0 :: v_dual_cndmask_b32 v2, 0, v100, vcc_lo
	s_delay_alu instid0(VALU_DEP_2) | instskip(NEXT) | instid1(VALU_DEP_2)
	v_cmp_ne_u32_e32 vcc_lo, 0, v9
	v_lshlrev_b32_e32 v101, 1, v2
	s_cbranch_vccz .LBB2_467
; %bb.465:                              ;   in Loop: Header=BB2_392 Depth=3
	v_mov_b32_e32 v41, v0
	s_and_saveexec_b32 s13, s60
	s_cbranch_execnz .LBB2_606
	s_branch .LBB2_654
.LBB2_466:                              ;   in Loop: Header=BB2_392 Depth=3
	s_mov_b32 s13, 0
	s_and_saveexec_b32 s41, s2
	s_cbranch_execnz .LBB2_655
	s_branch .LBB2_673
.LBB2_467:                              ;   in Loop: Header=BB2_392 Depth=3
	s_delay_alu instid0(VALU_DEP_1) | instskip(SKIP_2) | instid1(VALU_DEP_2)
	v_ashrrev_i32_e32 v8, 31, v101
	s_mov_b32 s41, exec_lo
	v_sub_nc_u32_e32 v45, v101, v36
	v_lshrrev_b32_e32 v8, 23, v8
	s_delay_alu instid0(VALU_DEP_1) | instskip(NEXT) | instid1(VALU_DEP_1)
	v_add_nc_u32_e32 v8, v101, v8
	v_and_b32_e32 v103, 0xfffffe00, v8
	s_delay_alu instid0(VALU_DEP_1) | instskip(NEXT) | instid1(VALU_DEP_1)
	v_dual_ashrrev_i32 v8, 9, v8 :: v_dual_sub_nc_u32 v46, v101, v103
	v_sub_nc_u32_e32 v8, v8, v58
	s_delay_alu instid0(VALU_DEP_2) | instskip(NEXT) | instid1(VALU_DEP_2)
	v_cmp_lt_i32_e32 vcc_lo, 15, v46
	v_add_co_ci_u32_e64 v47, null, 0, v8, vcc_lo
	v_cmpx_lt_i32_e32 15, v45
	s_cbranch_execz .LBB2_535
; %bb.468:                              ;   in Loop: Header=BB2_392 Depth=3
	s_trap 2
	ds_load_b64 v[8:9], v0
	ds_load_b32 v10, v0
	v_add_nc_u64_e32 v[118:119], v[114:115], v[36:37]
	v_add_nc_u64_e32 v[42:43], v[116:117], v[36:37]
	s_mov_b32 s60, 0
	s_wait_dscnt 0x1
	v_add_nc_u64_e32 v[40:41], v[8:9], v[36:37]
	s_wait_dscnt 0x0
	v_lshlrev_b32_e32 v62, 16, v10
	s_branch .LBB2_470
.LBB2_469:                              ;   in Loop: Header=BB2_470 Depth=4
	s_or_b32 exec_lo, exec_lo, s61
	v_dual_lshrrev_b32 v63, 16, v77 :: v_dual_lshrrev_b32 v72, 16, v72
	v_dual_lshrrev_b32 v74, 16, v75 :: v_dual_lshrrev_b32 v73, 16, v73
	v_sub_nc_u32_e32 v45, v45, v52
	s_delay_alu instid0(VALU_DEP_3) | instskip(NEXT) | instid1(VALU_DEP_4)
	v_and_or_b32 v9, 0xffff0000, v9, v63
	v_and_or_b32 v8, 0xffff0000, v8, v72
	s_delay_alu instid0(VALU_DEP_4)
	v_and_or_b32 v10, 0xffff0000, v10, v74
	v_and_or_b32 v11, 0xffff0000, v11, v73
	v_add_nc_u64_e32 v[118:119], v[118:119], v[52:53]
	v_add_nc_u64_e32 v[40:41], v[40:41], v[52:53]
	v_cmp_gt_i32_e64 s13, 16, v45
	v_sub_nc_u32_e32 v47, v47, v32
	global_store_b128 v[42:43], v[8:11], off th:TH_STORE_NT
	s_wait_xcnt 0x0
	v_add_nc_u64_e32 v[42:43], v[42:43], v[52:53]
	s_or_b32 s60, s13, s60
	s_delay_alu instid0(SALU_CYCLE_1)
	s_and_not1_b32 exec_lo, exec_lo, s60
	s_cbranch_execz .LBB2_534
.LBB2_470:                              ;   Parent Loop BB2_47 Depth=1
                                        ;     Parent Loop BB2_389 Depth=2
                                        ;       Parent Loop BB2_392 Depth=3
                                        ; =>      This Inner Loop Header: Depth=4
	global_load_b128 v[8:11], v[118:119], off th:TH_LOAD_NT
	s_wait_loadcnt 0x0
	v_lshlrev_b32_e32 v63, 16, v8
	s_delay_alu instid0(VALU_DEP_1) | instskip(NEXT) | instid1(VALU_DEP_1)
	v_mul_f32_e32 v63, v62, v63
	v_and_b32_e32 v72, 0x7f800000, v63
	s_delay_alu instid0(VALU_DEP_1) | instskip(SKIP_2) | instid1(SALU_CYCLE_1)
	v_cmp_ne_u32_e64 s13, 0x7f800000, v72
                                        ; implicit-def: $vgpr72
	s_wait_xcnt 0x0
	s_and_saveexec_b32 s61, s13
	s_xor_b32 s13, exec_lo, s61
; %bb.471:                              ;   in Loop: Header=BB2_470 Depth=4
	v_bfe_u32 v72, v63, 16, 1
	s_delay_alu instid0(VALU_DEP_1)
	v_add3_u32 v72, v63, v72, 0x7fff
                                        ; implicit-def: $vgpr63
; %bb.472:                              ;   in Loop: Header=BB2_470 Depth=4
	s_and_not1_saveexec_b32 s61, s13
; %bb.473:                              ;   in Loop: Header=BB2_470 Depth=4
	v_and_b32_e32 v72, 0xffff, v63
	v_or_b32_e32 v73, 0x10000, v63
	s_delay_alu instid0(VALU_DEP_2) | instskip(NEXT) | instid1(VALU_DEP_1)
	v_cmp_eq_u32_e64 s13, 0, v72
	v_cndmask_b32_e64 v72, v73, v63, s13
; %bb.474:                              ;   in Loop: Header=BB2_470 Depth=4
	s_or_b32 exec_lo, exec_lo, s61
	v_and_b32_e32 v8, 0xffff0000, v8
                                        ; implicit-def: $vgpr78
	s_delay_alu instid0(VALU_DEP_1) | instskip(NEXT) | instid1(VALU_DEP_1)
	v_mul_f32_e32 v8, v62, v8
	v_and_b32_e32 v63, 0x7f800000, v8
	s_delay_alu instid0(VALU_DEP_1) | instskip(SKIP_1) | instid1(SALU_CYCLE_1)
	v_cmp_ne_u32_e64 s13, 0x7f800000, v63
	s_and_saveexec_b32 s61, s13
	s_xor_b32 s13, exec_lo, s61
; %bb.475:                              ;   in Loop: Header=BB2_470 Depth=4
	v_bfe_u32 v63, v8, 16, 1
	s_delay_alu instid0(VALU_DEP_1)
	v_add3_u32 v78, v8, v63, 0x7fff
                                        ; implicit-def: $vgpr8
; %bb.476:                              ;   in Loop: Header=BB2_470 Depth=4
	s_and_not1_saveexec_b32 s61, s13
; %bb.477:                              ;   in Loop: Header=BB2_470 Depth=4
	v_and_b32_e32 v63, 0xffff, v8
	v_or_b32_e32 v73, 0x10000, v8
	s_delay_alu instid0(VALU_DEP_2) | instskip(NEXT) | instid1(VALU_DEP_1)
	v_cmp_eq_u32_e64 s13, 0, v63
	v_cndmask_b32_e64 v78, v73, v8, s13
; %bb.478:                              ;   in Loop: Header=BB2_470 Depth=4
	s_or_b32 exec_lo, exec_lo, s61
	v_lshlrev_b32_e32 v8, 16, v9
                                        ; implicit-def: $vgpr77
	s_delay_alu instid0(VALU_DEP_1) | instskip(NEXT) | instid1(VALU_DEP_1)
	v_mul_f32_e32 v8, v62, v8
	v_and_b32_e32 v63, 0x7f800000, v8
	s_delay_alu instid0(VALU_DEP_1) | instskip(SKIP_1) | instid1(SALU_CYCLE_1)
	v_cmp_ne_u32_e64 s13, 0x7f800000, v63
	s_and_saveexec_b32 s61, s13
	s_xor_b32 s13, exec_lo, s61
; %bb.479:                              ;   in Loop: Header=BB2_470 Depth=4
	v_bfe_u32 v63, v8, 16, 1
	s_delay_alu instid0(VALU_DEP_1)
	v_add3_u32 v77, v8, v63, 0x7fff
                                        ; implicit-def: $vgpr8
; %bb.480:                              ;   in Loop: Header=BB2_470 Depth=4
	s_and_not1_saveexec_b32 s61, s13
; %bb.481:                              ;   in Loop: Header=BB2_470 Depth=4
	v_and_b32_e32 v63, 0xffff, v8
	v_or_b32_e32 v73, 0x10000, v8
	s_delay_alu instid0(VALU_DEP_2) | instskip(NEXT) | instid1(VALU_DEP_1)
	v_cmp_eq_u32_e64 s13, 0, v63
	v_cndmask_b32_e64 v77, v73, v8, s13
; %bb.482:                              ;   in Loop: Header=BB2_470 Depth=4
	s_or_b32 exec_lo, exec_lo, s61
	v_and_b32_e32 v8, 0xffff0000, v9
                                        ; implicit-def: $vgpr76
	s_delay_alu instid0(VALU_DEP_1) | instskip(NEXT) | instid1(VALU_DEP_1)
	v_mul_f32_e32 v8, v62, v8
	v_and_b32_e32 v9, 0x7f800000, v8
	s_delay_alu instid0(VALU_DEP_1) | instskip(SKIP_1) | instid1(SALU_CYCLE_1)
	v_cmp_ne_u32_e64 s13, 0x7f800000, v9
	s_and_saveexec_b32 s61, s13
	s_xor_b32 s13, exec_lo, s61
; %bb.483:                              ;   in Loop: Header=BB2_470 Depth=4
	v_bfe_u32 v9, v8, 16, 1
	s_delay_alu instid0(VALU_DEP_1)
	v_add3_u32 v76, v8, v9, 0x7fff
                                        ; implicit-def: $vgpr8
; %bb.484:                              ;   in Loop: Header=BB2_470 Depth=4
	s_and_not1_saveexec_b32 s61, s13
; %bb.485:                              ;   in Loop: Header=BB2_470 Depth=4
	v_and_b32_e32 v9, 0xffff, v8
	v_or_b32_e32 v63, 0x10000, v8
	s_delay_alu instid0(VALU_DEP_2) | instskip(NEXT) | instid1(VALU_DEP_1)
	v_cmp_eq_u32_e64 s13, 0, v9
	v_cndmask_b32_e64 v76, v63, v8, s13
; %bb.486:                              ;   in Loop: Header=BB2_470 Depth=4
	s_or_b32 exec_lo, exec_lo, s61
	v_lshlrev_b32_e32 v8, 16, v10
                                        ; implicit-def: $vgpr75
	s_delay_alu instid0(VALU_DEP_1) | instskip(NEXT) | instid1(VALU_DEP_1)
	v_mul_f32_e32 v8, v62, v8
	v_and_b32_e32 v9, 0x7f800000, v8
	s_delay_alu instid0(VALU_DEP_1) | instskip(SKIP_1) | instid1(SALU_CYCLE_1)
	v_cmp_ne_u32_e64 s13, 0x7f800000, v9
	s_and_saveexec_b32 s61, s13
	s_xor_b32 s13, exec_lo, s61
; %bb.487:                              ;   in Loop: Header=BB2_470 Depth=4
	v_bfe_u32 v9, v8, 16, 1
	s_delay_alu instid0(VALU_DEP_1)
	v_add3_u32 v75, v8, v9, 0x7fff
                                        ; implicit-def: $vgpr8
; %bb.488:                              ;   in Loop: Header=BB2_470 Depth=4
	s_and_not1_saveexec_b32 s61, s13
; %bb.489:                              ;   in Loop: Header=BB2_470 Depth=4
	v_and_b32_e32 v9, 0xffff, v8
	v_or_b32_e32 v63, 0x10000, v8
	s_delay_alu instid0(VALU_DEP_2) | instskip(NEXT) | instid1(VALU_DEP_1)
	v_cmp_eq_u32_e64 s13, 0, v9
	v_cndmask_b32_e64 v75, v63, v8, s13
; %bb.490:                              ;   in Loop: Header=BB2_470 Depth=4
	s_or_b32 exec_lo, exec_lo, s61
	v_and_b32_e32 v8, 0xffff0000, v10
                                        ; implicit-def: $vgpr74
	s_delay_alu instid0(VALU_DEP_1) | instskip(NEXT) | instid1(VALU_DEP_1)
	v_mul_f32_e32 v8, v62, v8
	v_and_b32_e32 v9, 0x7f800000, v8
	s_delay_alu instid0(VALU_DEP_1) | instskip(SKIP_1) | instid1(SALU_CYCLE_1)
	v_cmp_ne_u32_e64 s13, 0x7f800000, v9
	s_and_saveexec_b32 s61, s13
	s_xor_b32 s13, exec_lo, s61
; %bb.491:                              ;   in Loop: Header=BB2_470 Depth=4
	v_bfe_u32 v9, v8, 16, 1
	s_delay_alu instid0(VALU_DEP_1)
	v_add3_u32 v74, v8, v9, 0x7fff
                                        ; implicit-def: $vgpr8
; %bb.492:                              ;   in Loop: Header=BB2_470 Depth=4
	s_and_not1_saveexec_b32 s61, s13
; %bb.493:                              ;   in Loop: Header=BB2_470 Depth=4
	v_and_b32_e32 v9, 0xffff, v8
	v_or_b32_e32 v10, 0x10000, v8
	s_delay_alu instid0(VALU_DEP_2) | instskip(NEXT) | instid1(VALU_DEP_1)
	v_cmp_eq_u32_e64 s13, 0, v9
	v_cndmask_b32_e64 v74, v10, v8, s13
; %bb.494:                              ;   in Loop: Header=BB2_470 Depth=4
	s_or_b32 exec_lo, exec_lo, s61
	v_lshlrev_b32_e32 v8, 16, v11
                                        ; implicit-def: $vgpr73
	s_delay_alu instid0(VALU_DEP_1) | instskip(NEXT) | instid1(VALU_DEP_1)
	v_mul_f32_e32 v8, v62, v8
	v_and_b32_e32 v9, 0x7f800000, v8
	s_delay_alu instid0(VALU_DEP_1) | instskip(SKIP_1) | instid1(SALU_CYCLE_1)
	v_cmp_ne_u32_e64 s13, 0x7f800000, v9
	s_and_saveexec_b32 s61, s13
	s_xor_b32 s13, exec_lo, s61
; %bb.495:                              ;   in Loop: Header=BB2_470 Depth=4
	v_bfe_u32 v9, v8, 16, 1
	s_delay_alu instid0(VALU_DEP_1)
	v_add3_u32 v73, v8, v9, 0x7fff
                                        ; implicit-def: $vgpr8
; %bb.496:                              ;   in Loop: Header=BB2_470 Depth=4
	s_and_not1_saveexec_b32 s61, s13
; %bb.497:                              ;   in Loop: Header=BB2_470 Depth=4
	v_and_b32_e32 v9, 0xffff, v8
	v_or_b32_e32 v10, 0x10000, v8
	s_delay_alu instid0(VALU_DEP_2) | instskip(NEXT) | instid1(VALU_DEP_1)
	v_cmp_eq_u32_e64 s13, 0, v9
	v_cndmask_b32_e64 v73, v10, v8, s13
; %bb.498:                              ;   in Loop: Header=BB2_470 Depth=4
	s_or_b32 exec_lo, exec_lo, s61
	v_and_b32_e32 v8, 0xffff0000, v11
                                        ; implicit-def: $vgpr63
	s_delay_alu instid0(VALU_DEP_1) | instskip(NEXT) | instid1(VALU_DEP_1)
	v_mul_f32_e32 v8, v62, v8
	v_and_b32_e32 v9, 0x7f800000, v8
	s_delay_alu instid0(VALU_DEP_1) | instskip(SKIP_1) | instid1(SALU_CYCLE_1)
	v_cmp_ne_u32_e64 s13, 0x7f800000, v9
	s_and_saveexec_b32 s61, s13
	s_xor_b32 s13, exec_lo, s61
; %bb.499:                              ;   in Loop: Header=BB2_470 Depth=4
	v_bfe_u32 v9, v8, 16, 1
	s_delay_alu instid0(VALU_DEP_1)
	v_add3_u32 v63, v8, v9, 0x7fff
                                        ; implicit-def: $vgpr8
; %bb.500:                              ;   in Loop: Header=BB2_470 Depth=4
	s_and_not1_saveexec_b32 s61, s13
; %bb.501:                              ;   in Loop: Header=BB2_470 Depth=4
	v_and_b32_e32 v9, 0xffff, v8
	v_or_b32_e32 v10, 0x10000, v8
	s_delay_alu instid0(VALU_DEP_2) | instskip(NEXT) | instid1(VALU_DEP_1)
	v_cmp_eq_u32_e64 s13, 0, v9
	v_cndmask_b32_e64 v63, v10, v8, s13
; %bb.502:                              ;   in Loop: Header=BB2_470 Depth=4
	s_or_b32 exec_lo, exec_lo, s61
	global_load_b128 v[8:11], v[40:41], off th:TH_LOAD_NT
	v_and_b32_e32 v72, 0xffff0000, v72
	s_wait_loadcnt 0x0
	v_lshlrev_b32_e32 v79, 16, v8
	s_delay_alu instid0(VALU_DEP_1) | instskip(NEXT) | instid1(VALU_DEP_1)
	v_add_f32_e32 v79, v72, v79
	v_and_b32_e32 v72, 0x7f800000, v79
	s_delay_alu instid0(VALU_DEP_1) | instskip(SKIP_2) | instid1(SALU_CYCLE_1)
	v_cmp_ne_u32_e64 s13, 0x7f800000, v72
                                        ; implicit-def: $vgpr72
	s_wait_xcnt 0x0
	s_and_saveexec_b32 s61, s13
	s_xor_b32 s13, exec_lo, s61
; %bb.503:                              ;   in Loop: Header=BB2_470 Depth=4
	v_bfe_u32 v72, v79, 16, 1
	s_delay_alu instid0(VALU_DEP_1)
	v_add3_u32 v72, v79, v72, 0x7fff
                                        ; implicit-def: $vgpr79
; %bb.504:                              ;   in Loop: Header=BB2_470 Depth=4
	s_and_not1_saveexec_b32 s61, s13
; %bb.505:                              ;   in Loop: Header=BB2_470 Depth=4
	v_and_b32_e32 v72, 0xffff, v79
	v_or_b32_e32 v88, 0x10000, v79
	s_delay_alu instid0(VALU_DEP_2) | instskip(NEXT) | instid1(VALU_DEP_1)
	v_cmp_eq_u32_e64 s13, 0, v72
	v_cndmask_b32_e64 v72, v88, v79, s13
; %bb.506:                              ;   in Loop: Header=BB2_470 Depth=4
	s_or_b32 exec_lo, exec_lo, s61
	v_and_b32_e32 v78, 0xffff0000, v78
	v_and_b32_e32 v8, 0xffff0000, v8
	s_delay_alu instid0(VALU_DEP_1) | instskip(NEXT) | instid1(VALU_DEP_1)
	v_add_f32_e32 v78, v78, v8
	v_and_b32_e32 v8, 0x7f800000, v78
	s_delay_alu instid0(VALU_DEP_1) | instskip(SKIP_1) | instid1(SALU_CYCLE_1)
	v_cmp_ne_u32_e64 s13, 0x7f800000, v8
                                        ; implicit-def: $vgpr8
	s_and_saveexec_b32 s61, s13
	s_xor_b32 s13, exec_lo, s61
; %bb.507:                              ;   in Loop: Header=BB2_470 Depth=4
	v_bfe_u32 v8, v78, 16, 1
	s_delay_alu instid0(VALU_DEP_1)
	v_add3_u32 v8, v78, v8, 0x7fff
                                        ; implicit-def: $vgpr78
; %bb.508:                              ;   in Loop: Header=BB2_470 Depth=4
	s_and_not1_saveexec_b32 s61, s13
; %bb.509:                              ;   in Loop: Header=BB2_470 Depth=4
	v_and_b32_e32 v8, 0xffff, v78
	v_or_b32_e32 v79, 0x10000, v78
	s_delay_alu instid0(VALU_DEP_2) | instskip(NEXT) | instid1(VALU_DEP_1)
	v_cmp_eq_u32_e64 s13, 0, v8
	v_cndmask_b32_e64 v8, v79, v78, s13
; %bb.510:                              ;   in Loop: Header=BB2_470 Depth=4
	s_or_b32 exec_lo, exec_lo, s61
	v_and_b32_e32 v77, 0xffff0000, v77
	v_lshlrev_b32_e32 v78, 16, v9
	s_delay_alu instid0(VALU_DEP_1) | instskip(NEXT) | instid1(VALU_DEP_1)
	v_add_f32_e32 v78, v77, v78
	v_and_b32_e32 v77, 0x7f800000, v78
	s_delay_alu instid0(VALU_DEP_1) | instskip(SKIP_1) | instid1(SALU_CYCLE_1)
	v_cmp_ne_u32_e64 s13, 0x7f800000, v77
                                        ; implicit-def: $vgpr77
	s_and_saveexec_b32 s61, s13
	s_xor_b32 s13, exec_lo, s61
; %bb.511:                              ;   in Loop: Header=BB2_470 Depth=4
	v_bfe_u32 v77, v78, 16, 1
	s_delay_alu instid0(VALU_DEP_1)
	v_add3_u32 v77, v78, v77, 0x7fff
                                        ; implicit-def: $vgpr78
; %bb.512:                              ;   in Loop: Header=BB2_470 Depth=4
	s_and_not1_saveexec_b32 s61, s13
; %bb.513:                              ;   in Loop: Header=BB2_470 Depth=4
	v_and_b32_e32 v77, 0xffff, v78
	v_or_b32_e32 v79, 0x10000, v78
	s_delay_alu instid0(VALU_DEP_2) | instskip(NEXT) | instid1(VALU_DEP_1)
	v_cmp_eq_u32_e64 s13, 0, v77
	v_cndmask_b32_e64 v77, v79, v78, s13
; %bb.514:                              ;   in Loop: Header=BB2_470 Depth=4
	s_or_b32 exec_lo, exec_lo, s61
	v_and_b32_e32 v76, 0xffff0000, v76
	v_and_b32_e32 v9, 0xffff0000, v9
	s_delay_alu instid0(VALU_DEP_1) | instskip(NEXT) | instid1(VALU_DEP_1)
	v_add_f32_e32 v76, v76, v9
	v_and_b32_e32 v9, 0x7f800000, v76
	s_delay_alu instid0(VALU_DEP_1) | instskip(SKIP_1) | instid1(SALU_CYCLE_1)
	v_cmp_ne_u32_e64 s13, 0x7f800000, v9
                                        ; implicit-def: $vgpr9
	s_and_saveexec_b32 s61, s13
	s_xor_b32 s13, exec_lo, s61
; %bb.515:                              ;   in Loop: Header=BB2_470 Depth=4
	v_bfe_u32 v9, v76, 16, 1
	s_delay_alu instid0(VALU_DEP_1)
	v_add3_u32 v9, v76, v9, 0x7fff
                                        ; implicit-def: $vgpr76
; %bb.516:                              ;   in Loop: Header=BB2_470 Depth=4
	s_and_not1_saveexec_b32 s61, s13
; %bb.517:                              ;   in Loop: Header=BB2_470 Depth=4
	v_and_b32_e32 v9, 0xffff, v76
	v_or_b32_e32 v78, 0x10000, v76
	s_delay_alu instid0(VALU_DEP_2) | instskip(NEXT) | instid1(VALU_DEP_1)
	v_cmp_eq_u32_e64 s13, 0, v9
	v_cndmask_b32_e64 v9, v78, v76, s13
; %bb.518:                              ;   in Loop: Header=BB2_470 Depth=4
	s_or_b32 exec_lo, exec_lo, s61
	v_and_b32_e32 v75, 0xffff0000, v75
	v_lshlrev_b32_e32 v76, 16, v10
	s_delay_alu instid0(VALU_DEP_1) | instskip(NEXT) | instid1(VALU_DEP_1)
	v_add_f32_e32 v76, v75, v76
	v_and_b32_e32 v75, 0x7f800000, v76
	s_delay_alu instid0(VALU_DEP_1) | instskip(SKIP_1) | instid1(SALU_CYCLE_1)
	v_cmp_ne_u32_e64 s13, 0x7f800000, v75
                                        ; implicit-def: $vgpr75
	s_and_saveexec_b32 s61, s13
	s_xor_b32 s13, exec_lo, s61
; %bb.519:                              ;   in Loop: Header=BB2_470 Depth=4
	v_bfe_u32 v75, v76, 16, 1
	s_delay_alu instid0(VALU_DEP_1)
	v_add3_u32 v75, v76, v75, 0x7fff
                                        ; implicit-def: $vgpr76
; %bb.520:                              ;   in Loop: Header=BB2_470 Depth=4
	s_and_not1_saveexec_b32 s61, s13
; %bb.521:                              ;   in Loop: Header=BB2_470 Depth=4
	v_and_b32_e32 v75, 0xffff, v76
	v_or_b32_e32 v78, 0x10000, v76
	s_delay_alu instid0(VALU_DEP_2) | instskip(NEXT) | instid1(VALU_DEP_1)
	v_cmp_eq_u32_e64 s13, 0, v75
	v_cndmask_b32_e64 v75, v78, v76, s13
; %bb.522:                              ;   in Loop: Header=BB2_470 Depth=4
	s_or_b32 exec_lo, exec_lo, s61
	v_and_b32_e32 v74, 0xffff0000, v74
	v_and_b32_e32 v10, 0xffff0000, v10
	s_delay_alu instid0(VALU_DEP_1) | instskip(NEXT) | instid1(VALU_DEP_1)
	v_add_f32_e32 v74, v74, v10
	v_and_b32_e32 v10, 0x7f800000, v74
	s_delay_alu instid0(VALU_DEP_1) | instskip(SKIP_1) | instid1(SALU_CYCLE_1)
	v_cmp_ne_u32_e64 s13, 0x7f800000, v10
                                        ; implicit-def: $vgpr10
	s_and_saveexec_b32 s61, s13
	s_xor_b32 s13, exec_lo, s61
; %bb.523:                              ;   in Loop: Header=BB2_470 Depth=4
	v_bfe_u32 v10, v74, 16, 1
	s_delay_alu instid0(VALU_DEP_1)
	v_add3_u32 v10, v74, v10, 0x7fff
                                        ; implicit-def: $vgpr74
; %bb.524:                              ;   in Loop: Header=BB2_470 Depth=4
	s_and_not1_saveexec_b32 s61, s13
; %bb.525:                              ;   in Loop: Header=BB2_470 Depth=4
	v_and_b32_e32 v10, 0xffff, v74
	v_or_b32_e32 v76, 0x10000, v74
	s_delay_alu instid0(VALU_DEP_2) | instskip(NEXT) | instid1(VALU_DEP_1)
	v_cmp_eq_u32_e64 s13, 0, v10
	v_cndmask_b32_e64 v10, v76, v74, s13
; %bb.526:                              ;   in Loop: Header=BB2_470 Depth=4
	s_or_b32 exec_lo, exec_lo, s61
	v_and_b32_e32 v73, 0xffff0000, v73
	v_lshlrev_b32_e32 v74, 16, v11
	s_delay_alu instid0(VALU_DEP_1) | instskip(NEXT) | instid1(VALU_DEP_1)
	v_add_f32_e32 v74, v73, v74
	v_and_b32_e32 v73, 0x7f800000, v74
	s_delay_alu instid0(VALU_DEP_1) | instskip(SKIP_1) | instid1(SALU_CYCLE_1)
	v_cmp_ne_u32_e64 s13, 0x7f800000, v73
                                        ; implicit-def: $vgpr73
	s_and_saveexec_b32 s61, s13
	s_xor_b32 s13, exec_lo, s61
; %bb.527:                              ;   in Loop: Header=BB2_470 Depth=4
	v_bfe_u32 v73, v74, 16, 1
	s_delay_alu instid0(VALU_DEP_1)
	v_add3_u32 v73, v74, v73, 0x7fff
                                        ; implicit-def: $vgpr74
; %bb.528:                              ;   in Loop: Header=BB2_470 Depth=4
	s_and_not1_saveexec_b32 s61, s13
; %bb.529:                              ;   in Loop: Header=BB2_470 Depth=4
	v_and_b32_e32 v73, 0xffff, v74
	v_or_b32_e32 v76, 0x10000, v74
	s_delay_alu instid0(VALU_DEP_2) | instskip(NEXT) | instid1(VALU_DEP_1)
	v_cmp_eq_u32_e64 s13, 0, v73
	v_cndmask_b32_e64 v73, v76, v74, s13
; %bb.530:                              ;   in Loop: Header=BB2_470 Depth=4
	s_or_b32 exec_lo, exec_lo, s61
	v_and_b32_e32 v63, 0xffff0000, v63
	v_and_b32_e32 v11, 0xffff0000, v11
	s_delay_alu instid0(VALU_DEP_1) | instskip(NEXT) | instid1(VALU_DEP_1)
	v_add_f32_e32 v63, v63, v11
	v_and_b32_e32 v11, 0x7f800000, v63
	s_delay_alu instid0(VALU_DEP_1) | instskip(SKIP_1) | instid1(SALU_CYCLE_1)
	v_cmp_ne_u32_e64 s13, 0x7f800000, v11
                                        ; implicit-def: $vgpr11
	s_and_saveexec_b32 s61, s13
	s_xor_b32 s13, exec_lo, s61
; %bb.531:                              ;   in Loop: Header=BB2_470 Depth=4
	v_bfe_u32 v11, v63, 16, 1
	s_delay_alu instid0(VALU_DEP_1)
	v_add3_u32 v11, v63, v11, 0x7fff
                                        ; implicit-def: $vgpr63
; %bb.532:                              ;   in Loop: Header=BB2_470 Depth=4
	s_and_not1_saveexec_b32 s61, s13
	s_cbranch_execz .LBB2_469
; %bb.533:                              ;   in Loop: Header=BB2_470 Depth=4
	v_and_b32_e32 v11, 0xffff, v63
	v_or_b32_e32 v74, 0x10000, v63
	s_delay_alu instid0(VALU_DEP_2) | instskip(NEXT) | instid1(VALU_DEP_1)
	v_cmp_eq_u32_e64 s13, 0, v11
	v_cndmask_b32_e64 v11, v74, v63, s13
	s_branch .LBB2_469
.LBB2_534:                              ;   in Loop: Header=BB2_392 Depth=3
	s_or_b32 exec_lo, exec_lo, s60
.LBB2_535:                              ;   in Loop: Header=BB2_392 Depth=3
	s_delay_alu instid0(SALU_CYCLE_1) | instskip(SKIP_3) | instid1(VALU_DEP_1)
	s_or_b32 exec_lo, exec_lo, s41
	v_dual_mov_b32 v40, 0 :: v_dual_bitop2_b32 v8, 14, v101 bitop3:0x40
	s_mov_b32 s60, 0
	s_mov_b32 s41, exec_lo
                                        ; implicit-def: $vgpr101
                                        ; implicit-def: $vgpr41
	v_cndmask_b32_e32 v45, v46, v8, vcc_lo
	s_delay_alu instid0(VALU_DEP_1)
	v_cmpx_ne_u32_e32 0, v45
	s_cbranch_execz .LBB2_605
; %bb.536:                              ;   in Loop: Header=BB2_392 Depth=3
	v_cmp_lt_i32_e64 s13, 0, v47
	s_mov_b32 s60, exec_lo
	v_dual_ashrrev_i32 v11, 31, v45 :: v_dual_sub_nc_u32 v118, v46, v8
	s_delay_alu instid0(VALU_DEP_1) | instskip(NEXT) | instid1(VALU_DEP_1)
	v_dual_cndmask_b32 v9, 0, v32, s13 :: v_dual_lshrrev_b32 v11, 23, v11
	v_sub_nc_u32_e32 v9, v9, v47
	s_delay_alu instid0(VALU_DEP_1) | instskip(NEXT) | instid1(VALU_DEP_1)
	v_lshl_or_b32 v9, v9, 5, v57
	v_ashrrev_i32_e32 v10, 31, v9
	s_delay_alu instid0(VALU_DEP_1) | instskip(NEXT) | instid1(VALU_DEP_1)
	v_lshrrev_b32_e32 v10, 27, v10
	v_add_nc_u32_e32 v10, v9, v10
	v_add_nc_u32_e32 v11, v45, v11
	s_delay_alu instid0(VALU_DEP_2) | instskip(NEXT) | instid1(VALU_DEP_1)
	v_and_b32_e32 v101, 0xffffffe0, v10
	v_dual_sub_nc_u32 v47, v9, v101 :: v_dual_ashrrev_i32 v9, 5, v10
	s_delay_alu instid0(VALU_DEP_3) | instskip(SKIP_1) | instid1(VALU_DEP_2)
	v_and_b32_e32 v62, 0xfffffe00, v11
	v_ashrrev_i32_e32 v11, 9, v11
	v_dual_lshlrev_b32 v10, 4, v47 :: v_dual_sub_nc_u32 v101, v45, v62
	s_delay_alu instid0(VALU_DEP_1) | instskip(SKIP_1) | instid1(VALU_DEP_3)
	v_lshl_add_u32 v8, v9, 9, v10
	v_cndmask_b32_e32 v10, 0, v118, vcc_lo
	v_cmp_lt_i32_e32 vcc_lo, 15, v101
	s_delay_alu instid0(VALU_DEP_3) | instskip(SKIP_1) | instid1(VALU_DEP_1)
	v_sub_nc_u32_e32 v63, v45, v8
	v_add_co_ci_u32_e64 v11, null, 0, v11, vcc_lo
	v_dual_add_nc_u32 v103, v10, v103 :: v_dual_sub_nc_u32 v46, v11, v9
	s_delay_alu instid0(VALU_DEP_3)
	v_cmpx_lt_i32_e32 15, v63
	s_cbranch_execz .LBB2_604
; %bb.537:                              ;   in Loop: Header=BB2_392 Depth=3
	s_trap 2
	ds_load_b64 v[10:11], v0
	ds_load_b32 v72, v0
	v_add_nc_u32_e32 v8, v8, v103
	s_mov_b32 s61, 0
	s_wait_dscnt 0x0
	v_lshlrev_b32_e32 v72, 16, v72
	s_delay_alu instid0(VALU_DEP_2) | instskip(NEXT) | instid1(VALU_DEP_1)
	v_ashrrev_i32_e32 v9, 31, v8
	v_add_nc_u64_e32 v[118:119], v[8:9], v[114:115]
	v_add_nc_u64_e32 v[40:41], v[10:11], v[8:9]
	;; [unrolled: 1-line block ×3, first 2 shown]
	s_branch .LBB2_539
.LBB2_538:                              ;   in Loop: Header=BB2_539 Depth=4
	s_or_b32 exec_lo, exec_lo, s62
	v_dual_lshrrev_b32 v73, 16, v79 :: v_dual_lshrrev_b32 v74, 16, v74
	v_dual_lshrrev_b32 v76, 16, v77 :: v_dual_lshrrev_b32 v75, 16, v75
	v_sub_nc_u32_e32 v63, v63, v52
	s_delay_alu instid0(VALU_DEP_3) | instskip(NEXT) | instid1(VALU_DEP_4)
	v_and_or_b32 v9, 0xffff0000, v9, v73
	v_and_or_b32 v8, 0xffff0000, v8, v74
	s_delay_alu instid0(VALU_DEP_4)
	v_and_or_b32 v10, 0xffff0000, v10, v76
	v_and_or_b32 v11, 0xffff0000, v11, v75
	v_add_nc_u64_e32 v[118:119], v[118:119], v[52:53]
	v_add_nc_u64_e32 v[40:41], v[40:41], v[52:53]
	v_cmp_gt_i32_e64 s13, 16, v63
	v_sub_nc_u32_e32 v46, v46, v32
	global_store_b128 v[42:43], v[8:11], off th:TH_STORE_NT
	s_wait_xcnt 0x0
	v_add_nc_u64_e32 v[42:43], v[42:43], v[52:53]
	s_or_b32 s61, s13, s61
	s_delay_alu instid0(SALU_CYCLE_1)
	s_and_not1_b32 exec_lo, exec_lo, s61
	s_cbranch_execz .LBB2_603
.LBB2_539:                              ;   Parent Loop BB2_47 Depth=1
                                        ;     Parent Loop BB2_389 Depth=2
                                        ;       Parent Loop BB2_392 Depth=3
                                        ; =>      This Inner Loop Header: Depth=4
	global_load_b128 v[8:11], v[118:119], off th:TH_LOAD_NT
	s_wait_loadcnt 0x0
	v_lshlrev_b32_e32 v73, 16, v8
	s_delay_alu instid0(VALU_DEP_1) | instskip(NEXT) | instid1(VALU_DEP_1)
	v_mul_f32_e32 v73, v72, v73
	v_and_b32_e32 v74, 0x7f800000, v73
	s_delay_alu instid0(VALU_DEP_1) | instskip(SKIP_2) | instid1(SALU_CYCLE_1)
	v_cmp_ne_u32_e64 s13, 0x7f800000, v74
                                        ; implicit-def: $vgpr74
	s_wait_xcnt 0x0
	s_and_saveexec_b32 s62, s13
	s_xor_b32 s13, exec_lo, s62
; %bb.540:                              ;   in Loop: Header=BB2_539 Depth=4
	v_bfe_u32 v74, v73, 16, 1
	s_delay_alu instid0(VALU_DEP_1)
	v_add3_u32 v74, v73, v74, 0x7fff
                                        ; implicit-def: $vgpr73
; %bb.541:                              ;   in Loop: Header=BB2_539 Depth=4
	s_and_not1_saveexec_b32 s62, s13
; %bb.542:                              ;   in Loop: Header=BB2_539 Depth=4
	v_and_b32_e32 v74, 0xffff, v73
	v_or_b32_e32 v75, 0x10000, v73
	s_delay_alu instid0(VALU_DEP_2) | instskip(NEXT) | instid1(VALU_DEP_1)
	v_cmp_eq_u32_e64 s13, 0, v74
	v_cndmask_b32_e64 v74, v75, v73, s13
; %bb.543:                              ;   in Loop: Header=BB2_539 Depth=4
	s_or_b32 exec_lo, exec_lo, s62
	v_and_b32_e32 v8, 0xffff0000, v8
                                        ; implicit-def: $vgpr88
	s_delay_alu instid0(VALU_DEP_1) | instskip(NEXT) | instid1(VALU_DEP_1)
	v_mul_f32_e32 v8, v72, v8
	v_and_b32_e32 v73, 0x7f800000, v8
	s_delay_alu instid0(VALU_DEP_1) | instskip(SKIP_1) | instid1(SALU_CYCLE_1)
	v_cmp_ne_u32_e64 s13, 0x7f800000, v73
	s_and_saveexec_b32 s62, s13
	s_xor_b32 s13, exec_lo, s62
; %bb.544:                              ;   in Loop: Header=BB2_539 Depth=4
	v_bfe_u32 v73, v8, 16, 1
	s_delay_alu instid0(VALU_DEP_1)
	v_add3_u32 v88, v8, v73, 0x7fff
                                        ; implicit-def: $vgpr8
; %bb.545:                              ;   in Loop: Header=BB2_539 Depth=4
	s_and_not1_saveexec_b32 s62, s13
; %bb.546:                              ;   in Loop: Header=BB2_539 Depth=4
	v_and_b32_e32 v73, 0xffff, v8
	v_or_b32_e32 v75, 0x10000, v8
	s_delay_alu instid0(VALU_DEP_2) | instskip(NEXT) | instid1(VALU_DEP_1)
	v_cmp_eq_u32_e64 s13, 0, v73
	v_cndmask_b32_e64 v88, v75, v8, s13
; %bb.547:                              ;   in Loop: Header=BB2_539 Depth=4
	s_or_b32 exec_lo, exec_lo, s62
	v_lshlrev_b32_e32 v8, 16, v9
                                        ; implicit-def: $vgpr79
	s_delay_alu instid0(VALU_DEP_1) | instskip(NEXT) | instid1(VALU_DEP_1)
	v_mul_f32_e32 v8, v72, v8
	v_and_b32_e32 v73, 0x7f800000, v8
	s_delay_alu instid0(VALU_DEP_1) | instskip(SKIP_1) | instid1(SALU_CYCLE_1)
	v_cmp_ne_u32_e64 s13, 0x7f800000, v73
	s_and_saveexec_b32 s62, s13
	s_xor_b32 s13, exec_lo, s62
; %bb.548:                              ;   in Loop: Header=BB2_539 Depth=4
	v_bfe_u32 v73, v8, 16, 1
	s_delay_alu instid0(VALU_DEP_1)
	v_add3_u32 v79, v8, v73, 0x7fff
                                        ; implicit-def: $vgpr8
; %bb.549:                              ;   in Loop: Header=BB2_539 Depth=4
	s_and_not1_saveexec_b32 s62, s13
; %bb.550:                              ;   in Loop: Header=BB2_539 Depth=4
	v_and_b32_e32 v73, 0xffff, v8
	v_or_b32_e32 v75, 0x10000, v8
	s_delay_alu instid0(VALU_DEP_2) | instskip(NEXT) | instid1(VALU_DEP_1)
	v_cmp_eq_u32_e64 s13, 0, v73
	v_cndmask_b32_e64 v79, v75, v8, s13
; %bb.551:                              ;   in Loop: Header=BB2_539 Depth=4
	s_or_b32 exec_lo, exec_lo, s62
	v_and_b32_e32 v8, 0xffff0000, v9
                                        ; implicit-def: $vgpr78
	s_delay_alu instid0(VALU_DEP_1) | instskip(NEXT) | instid1(VALU_DEP_1)
	v_mul_f32_e32 v8, v72, v8
	v_and_b32_e32 v9, 0x7f800000, v8
	s_delay_alu instid0(VALU_DEP_1) | instskip(SKIP_1) | instid1(SALU_CYCLE_1)
	v_cmp_ne_u32_e64 s13, 0x7f800000, v9
	s_and_saveexec_b32 s62, s13
	s_xor_b32 s13, exec_lo, s62
; %bb.552:                              ;   in Loop: Header=BB2_539 Depth=4
	v_bfe_u32 v9, v8, 16, 1
	s_delay_alu instid0(VALU_DEP_1)
	v_add3_u32 v78, v8, v9, 0x7fff
                                        ; implicit-def: $vgpr8
; %bb.553:                              ;   in Loop: Header=BB2_539 Depth=4
	s_and_not1_saveexec_b32 s62, s13
; %bb.554:                              ;   in Loop: Header=BB2_539 Depth=4
	v_and_b32_e32 v9, 0xffff, v8
	v_or_b32_e32 v73, 0x10000, v8
	s_delay_alu instid0(VALU_DEP_2) | instskip(NEXT) | instid1(VALU_DEP_1)
	v_cmp_eq_u32_e64 s13, 0, v9
	v_cndmask_b32_e64 v78, v73, v8, s13
; %bb.555:                              ;   in Loop: Header=BB2_539 Depth=4
	s_or_b32 exec_lo, exec_lo, s62
	v_lshlrev_b32_e32 v8, 16, v10
                                        ; implicit-def: $vgpr77
	s_delay_alu instid0(VALU_DEP_1) | instskip(NEXT) | instid1(VALU_DEP_1)
	v_mul_f32_e32 v8, v72, v8
	v_and_b32_e32 v9, 0x7f800000, v8
	s_delay_alu instid0(VALU_DEP_1) | instskip(SKIP_1) | instid1(SALU_CYCLE_1)
	v_cmp_ne_u32_e64 s13, 0x7f800000, v9
	s_and_saveexec_b32 s62, s13
	s_xor_b32 s13, exec_lo, s62
; %bb.556:                              ;   in Loop: Header=BB2_539 Depth=4
	v_bfe_u32 v9, v8, 16, 1
	s_delay_alu instid0(VALU_DEP_1)
	v_add3_u32 v77, v8, v9, 0x7fff
                                        ; implicit-def: $vgpr8
; %bb.557:                              ;   in Loop: Header=BB2_539 Depth=4
	s_and_not1_saveexec_b32 s62, s13
; %bb.558:                              ;   in Loop: Header=BB2_539 Depth=4
	v_and_b32_e32 v9, 0xffff, v8
	v_or_b32_e32 v73, 0x10000, v8
	s_delay_alu instid0(VALU_DEP_2) | instskip(NEXT) | instid1(VALU_DEP_1)
	v_cmp_eq_u32_e64 s13, 0, v9
	v_cndmask_b32_e64 v77, v73, v8, s13
; %bb.559:                              ;   in Loop: Header=BB2_539 Depth=4
	s_or_b32 exec_lo, exec_lo, s62
	v_and_b32_e32 v8, 0xffff0000, v10
                                        ; implicit-def: $vgpr76
	s_delay_alu instid0(VALU_DEP_1) | instskip(NEXT) | instid1(VALU_DEP_1)
	v_mul_f32_e32 v8, v72, v8
	v_and_b32_e32 v9, 0x7f800000, v8
	s_delay_alu instid0(VALU_DEP_1) | instskip(SKIP_1) | instid1(SALU_CYCLE_1)
	v_cmp_ne_u32_e64 s13, 0x7f800000, v9
	s_and_saveexec_b32 s62, s13
	s_xor_b32 s13, exec_lo, s62
; %bb.560:                              ;   in Loop: Header=BB2_539 Depth=4
	v_bfe_u32 v9, v8, 16, 1
	s_delay_alu instid0(VALU_DEP_1)
	v_add3_u32 v76, v8, v9, 0x7fff
                                        ; implicit-def: $vgpr8
; %bb.561:                              ;   in Loop: Header=BB2_539 Depth=4
	s_and_not1_saveexec_b32 s62, s13
; %bb.562:                              ;   in Loop: Header=BB2_539 Depth=4
	v_and_b32_e32 v9, 0xffff, v8
	v_or_b32_e32 v10, 0x10000, v8
	s_delay_alu instid0(VALU_DEP_2) | instskip(NEXT) | instid1(VALU_DEP_1)
	v_cmp_eq_u32_e64 s13, 0, v9
	v_cndmask_b32_e64 v76, v10, v8, s13
; %bb.563:                              ;   in Loop: Header=BB2_539 Depth=4
	s_or_b32 exec_lo, exec_lo, s62
	v_lshlrev_b32_e32 v8, 16, v11
                                        ; implicit-def: $vgpr75
	s_delay_alu instid0(VALU_DEP_1) | instskip(NEXT) | instid1(VALU_DEP_1)
	v_mul_f32_e32 v8, v72, v8
	v_and_b32_e32 v9, 0x7f800000, v8
	s_delay_alu instid0(VALU_DEP_1) | instskip(SKIP_1) | instid1(SALU_CYCLE_1)
	v_cmp_ne_u32_e64 s13, 0x7f800000, v9
	s_and_saveexec_b32 s62, s13
	s_xor_b32 s13, exec_lo, s62
; %bb.564:                              ;   in Loop: Header=BB2_539 Depth=4
	v_bfe_u32 v9, v8, 16, 1
	s_delay_alu instid0(VALU_DEP_1)
	v_add3_u32 v75, v8, v9, 0x7fff
                                        ; implicit-def: $vgpr8
; %bb.565:                              ;   in Loop: Header=BB2_539 Depth=4
	s_and_not1_saveexec_b32 s62, s13
; %bb.566:                              ;   in Loop: Header=BB2_539 Depth=4
	v_and_b32_e32 v9, 0xffff, v8
	v_or_b32_e32 v10, 0x10000, v8
	s_delay_alu instid0(VALU_DEP_2) | instskip(NEXT) | instid1(VALU_DEP_1)
	v_cmp_eq_u32_e64 s13, 0, v9
	v_cndmask_b32_e64 v75, v10, v8, s13
; %bb.567:                              ;   in Loop: Header=BB2_539 Depth=4
	s_or_b32 exec_lo, exec_lo, s62
	v_and_b32_e32 v8, 0xffff0000, v11
                                        ; implicit-def: $vgpr73
	s_delay_alu instid0(VALU_DEP_1) | instskip(NEXT) | instid1(VALU_DEP_1)
	v_mul_f32_e32 v8, v72, v8
	v_and_b32_e32 v9, 0x7f800000, v8
	s_delay_alu instid0(VALU_DEP_1) | instskip(SKIP_1) | instid1(SALU_CYCLE_1)
	v_cmp_ne_u32_e64 s13, 0x7f800000, v9
	s_and_saveexec_b32 s62, s13
	s_xor_b32 s13, exec_lo, s62
; %bb.568:                              ;   in Loop: Header=BB2_539 Depth=4
	v_bfe_u32 v9, v8, 16, 1
	s_delay_alu instid0(VALU_DEP_1)
	v_add3_u32 v73, v8, v9, 0x7fff
                                        ; implicit-def: $vgpr8
; %bb.569:                              ;   in Loop: Header=BB2_539 Depth=4
	s_and_not1_saveexec_b32 s62, s13
; %bb.570:                              ;   in Loop: Header=BB2_539 Depth=4
	v_and_b32_e32 v9, 0xffff, v8
	v_or_b32_e32 v10, 0x10000, v8
	s_delay_alu instid0(VALU_DEP_2) | instskip(NEXT) | instid1(VALU_DEP_1)
	v_cmp_eq_u32_e64 s13, 0, v9
	v_cndmask_b32_e64 v73, v10, v8, s13
; %bb.571:                              ;   in Loop: Header=BB2_539 Depth=4
	s_or_b32 exec_lo, exec_lo, s62
	global_load_b128 v[8:11], v[40:41], off th:TH_LOAD_NT
	v_and_b32_e32 v74, 0xffff0000, v74
	s_wait_loadcnt 0x0
	v_lshlrev_b32_e32 v89, 16, v8
	s_delay_alu instid0(VALU_DEP_1) | instskip(NEXT) | instid1(VALU_DEP_1)
	v_add_f32_e32 v89, v74, v89
	v_and_b32_e32 v74, 0x7f800000, v89
	s_delay_alu instid0(VALU_DEP_1) | instskip(SKIP_2) | instid1(SALU_CYCLE_1)
	v_cmp_ne_u32_e64 s13, 0x7f800000, v74
                                        ; implicit-def: $vgpr74
	s_wait_xcnt 0x0
	s_and_saveexec_b32 s62, s13
	s_xor_b32 s13, exec_lo, s62
; %bb.572:                              ;   in Loop: Header=BB2_539 Depth=4
	v_bfe_u32 v74, v89, 16, 1
	s_delay_alu instid0(VALU_DEP_1)
	v_add3_u32 v74, v89, v74, 0x7fff
                                        ; implicit-def: $vgpr89
; %bb.573:                              ;   in Loop: Header=BB2_539 Depth=4
	s_and_not1_saveexec_b32 s62, s13
; %bb.574:                              ;   in Loop: Header=BB2_539 Depth=4
	v_and_b32_e32 v74, 0xffff, v89
	v_or_b32_e32 v90, 0x10000, v89
	s_delay_alu instid0(VALU_DEP_2) | instskip(NEXT) | instid1(VALU_DEP_1)
	v_cmp_eq_u32_e64 s13, 0, v74
	v_cndmask_b32_e64 v74, v90, v89, s13
; %bb.575:                              ;   in Loop: Header=BB2_539 Depth=4
	s_or_b32 exec_lo, exec_lo, s62
	v_and_b32_e32 v88, 0xffff0000, v88
	v_and_b32_e32 v8, 0xffff0000, v8
	s_delay_alu instid0(VALU_DEP_1) | instskip(NEXT) | instid1(VALU_DEP_1)
	v_add_f32_e32 v88, v88, v8
	v_and_b32_e32 v8, 0x7f800000, v88
	s_delay_alu instid0(VALU_DEP_1) | instskip(SKIP_1) | instid1(SALU_CYCLE_1)
	v_cmp_ne_u32_e64 s13, 0x7f800000, v8
                                        ; implicit-def: $vgpr8
	s_and_saveexec_b32 s62, s13
	s_xor_b32 s13, exec_lo, s62
; %bb.576:                              ;   in Loop: Header=BB2_539 Depth=4
	v_bfe_u32 v8, v88, 16, 1
	s_delay_alu instid0(VALU_DEP_1)
	v_add3_u32 v8, v88, v8, 0x7fff
                                        ; implicit-def: $vgpr88
; %bb.577:                              ;   in Loop: Header=BB2_539 Depth=4
	s_and_not1_saveexec_b32 s62, s13
; %bb.578:                              ;   in Loop: Header=BB2_539 Depth=4
	v_and_b32_e32 v8, 0xffff, v88
	v_or_b32_e32 v89, 0x10000, v88
	s_delay_alu instid0(VALU_DEP_2) | instskip(NEXT) | instid1(VALU_DEP_1)
	v_cmp_eq_u32_e64 s13, 0, v8
	v_cndmask_b32_e64 v8, v89, v88, s13
; %bb.579:                              ;   in Loop: Header=BB2_539 Depth=4
	s_or_b32 exec_lo, exec_lo, s62
	v_and_b32_e32 v79, 0xffff0000, v79
	v_lshlrev_b32_e32 v88, 16, v9
	s_delay_alu instid0(VALU_DEP_1) | instskip(NEXT) | instid1(VALU_DEP_1)
	v_add_f32_e32 v88, v79, v88
	v_and_b32_e32 v79, 0x7f800000, v88
	s_delay_alu instid0(VALU_DEP_1) | instskip(SKIP_1) | instid1(SALU_CYCLE_1)
	v_cmp_ne_u32_e64 s13, 0x7f800000, v79
                                        ; implicit-def: $vgpr79
	s_and_saveexec_b32 s62, s13
	s_xor_b32 s13, exec_lo, s62
; %bb.580:                              ;   in Loop: Header=BB2_539 Depth=4
	v_bfe_u32 v79, v88, 16, 1
	s_delay_alu instid0(VALU_DEP_1)
	v_add3_u32 v79, v88, v79, 0x7fff
                                        ; implicit-def: $vgpr88
; %bb.581:                              ;   in Loop: Header=BB2_539 Depth=4
	s_and_not1_saveexec_b32 s62, s13
; %bb.582:                              ;   in Loop: Header=BB2_539 Depth=4
	v_and_b32_e32 v79, 0xffff, v88
	v_or_b32_e32 v89, 0x10000, v88
	s_delay_alu instid0(VALU_DEP_2) | instskip(NEXT) | instid1(VALU_DEP_1)
	v_cmp_eq_u32_e64 s13, 0, v79
	v_cndmask_b32_e64 v79, v89, v88, s13
; %bb.583:                              ;   in Loop: Header=BB2_539 Depth=4
	s_or_b32 exec_lo, exec_lo, s62
	v_and_b32_e32 v78, 0xffff0000, v78
	v_and_b32_e32 v9, 0xffff0000, v9
	s_delay_alu instid0(VALU_DEP_1) | instskip(NEXT) | instid1(VALU_DEP_1)
	v_add_f32_e32 v78, v78, v9
	v_and_b32_e32 v9, 0x7f800000, v78
	s_delay_alu instid0(VALU_DEP_1) | instskip(SKIP_1) | instid1(SALU_CYCLE_1)
	v_cmp_ne_u32_e64 s13, 0x7f800000, v9
                                        ; implicit-def: $vgpr9
	s_and_saveexec_b32 s62, s13
	s_xor_b32 s13, exec_lo, s62
; %bb.584:                              ;   in Loop: Header=BB2_539 Depth=4
	v_bfe_u32 v9, v78, 16, 1
	s_delay_alu instid0(VALU_DEP_1)
	v_add3_u32 v9, v78, v9, 0x7fff
                                        ; implicit-def: $vgpr78
; %bb.585:                              ;   in Loop: Header=BB2_539 Depth=4
	s_and_not1_saveexec_b32 s62, s13
; %bb.586:                              ;   in Loop: Header=BB2_539 Depth=4
	v_and_b32_e32 v9, 0xffff, v78
	v_or_b32_e32 v88, 0x10000, v78
	s_delay_alu instid0(VALU_DEP_2) | instskip(NEXT) | instid1(VALU_DEP_1)
	v_cmp_eq_u32_e64 s13, 0, v9
	v_cndmask_b32_e64 v9, v88, v78, s13
; %bb.587:                              ;   in Loop: Header=BB2_539 Depth=4
	s_or_b32 exec_lo, exec_lo, s62
	v_and_b32_e32 v77, 0xffff0000, v77
	v_lshlrev_b32_e32 v78, 16, v10
	s_delay_alu instid0(VALU_DEP_1) | instskip(NEXT) | instid1(VALU_DEP_1)
	v_add_f32_e32 v78, v77, v78
	v_and_b32_e32 v77, 0x7f800000, v78
	s_delay_alu instid0(VALU_DEP_1) | instskip(SKIP_1) | instid1(SALU_CYCLE_1)
	v_cmp_ne_u32_e64 s13, 0x7f800000, v77
                                        ; implicit-def: $vgpr77
	s_and_saveexec_b32 s62, s13
	s_xor_b32 s13, exec_lo, s62
; %bb.588:                              ;   in Loop: Header=BB2_539 Depth=4
	v_bfe_u32 v77, v78, 16, 1
	s_delay_alu instid0(VALU_DEP_1)
	v_add3_u32 v77, v78, v77, 0x7fff
                                        ; implicit-def: $vgpr78
; %bb.589:                              ;   in Loop: Header=BB2_539 Depth=4
	s_and_not1_saveexec_b32 s62, s13
; %bb.590:                              ;   in Loop: Header=BB2_539 Depth=4
	v_and_b32_e32 v77, 0xffff, v78
	v_or_b32_e32 v88, 0x10000, v78
	s_delay_alu instid0(VALU_DEP_2) | instskip(NEXT) | instid1(VALU_DEP_1)
	v_cmp_eq_u32_e64 s13, 0, v77
	v_cndmask_b32_e64 v77, v88, v78, s13
; %bb.591:                              ;   in Loop: Header=BB2_539 Depth=4
	s_or_b32 exec_lo, exec_lo, s62
	v_and_b32_e32 v76, 0xffff0000, v76
	v_and_b32_e32 v10, 0xffff0000, v10
	s_delay_alu instid0(VALU_DEP_1) | instskip(NEXT) | instid1(VALU_DEP_1)
	v_add_f32_e32 v76, v76, v10
	v_and_b32_e32 v10, 0x7f800000, v76
	s_delay_alu instid0(VALU_DEP_1) | instskip(SKIP_1) | instid1(SALU_CYCLE_1)
	v_cmp_ne_u32_e64 s13, 0x7f800000, v10
                                        ; implicit-def: $vgpr10
	s_and_saveexec_b32 s62, s13
	s_xor_b32 s13, exec_lo, s62
; %bb.592:                              ;   in Loop: Header=BB2_539 Depth=4
	v_bfe_u32 v10, v76, 16, 1
	s_delay_alu instid0(VALU_DEP_1)
	v_add3_u32 v10, v76, v10, 0x7fff
                                        ; implicit-def: $vgpr76
; %bb.593:                              ;   in Loop: Header=BB2_539 Depth=4
	s_and_not1_saveexec_b32 s62, s13
; %bb.594:                              ;   in Loop: Header=BB2_539 Depth=4
	v_and_b32_e32 v10, 0xffff, v76
	v_or_b32_e32 v78, 0x10000, v76
	s_delay_alu instid0(VALU_DEP_2) | instskip(NEXT) | instid1(VALU_DEP_1)
	v_cmp_eq_u32_e64 s13, 0, v10
	v_cndmask_b32_e64 v10, v78, v76, s13
; %bb.595:                              ;   in Loop: Header=BB2_539 Depth=4
	s_or_b32 exec_lo, exec_lo, s62
	v_and_b32_e32 v75, 0xffff0000, v75
	v_lshlrev_b32_e32 v76, 16, v11
	s_delay_alu instid0(VALU_DEP_1) | instskip(NEXT) | instid1(VALU_DEP_1)
	v_add_f32_e32 v76, v75, v76
	v_and_b32_e32 v75, 0x7f800000, v76
	s_delay_alu instid0(VALU_DEP_1) | instskip(SKIP_1) | instid1(SALU_CYCLE_1)
	v_cmp_ne_u32_e64 s13, 0x7f800000, v75
                                        ; implicit-def: $vgpr75
	s_and_saveexec_b32 s62, s13
	s_xor_b32 s13, exec_lo, s62
; %bb.596:                              ;   in Loop: Header=BB2_539 Depth=4
	v_bfe_u32 v75, v76, 16, 1
	s_delay_alu instid0(VALU_DEP_1)
	v_add3_u32 v75, v76, v75, 0x7fff
                                        ; implicit-def: $vgpr76
; %bb.597:                              ;   in Loop: Header=BB2_539 Depth=4
	s_and_not1_saveexec_b32 s62, s13
; %bb.598:                              ;   in Loop: Header=BB2_539 Depth=4
	v_and_b32_e32 v75, 0xffff, v76
	v_or_b32_e32 v78, 0x10000, v76
	s_delay_alu instid0(VALU_DEP_2) | instskip(NEXT) | instid1(VALU_DEP_1)
	v_cmp_eq_u32_e64 s13, 0, v75
	v_cndmask_b32_e64 v75, v78, v76, s13
; %bb.599:                              ;   in Loop: Header=BB2_539 Depth=4
	s_or_b32 exec_lo, exec_lo, s62
	v_and_b32_e32 v73, 0xffff0000, v73
	v_and_b32_e32 v11, 0xffff0000, v11
	s_delay_alu instid0(VALU_DEP_1) | instskip(NEXT) | instid1(VALU_DEP_1)
	v_add_f32_e32 v73, v73, v11
	v_and_b32_e32 v11, 0x7f800000, v73
	s_delay_alu instid0(VALU_DEP_1) | instskip(SKIP_1) | instid1(SALU_CYCLE_1)
	v_cmp_ne_u32_e64 s13, 0x7f800000, v11
                                        ; implicit-def: $vgpr11
	s_and_saveexec_b32 s62, s13
	s_xor_b32 s13, exec_lo, s62
; %bb.600:                              ;   in Loop: Header=BB2_539 Depth=4
	v_bfe_u32 v11, v73, 16, 1
	s_delay_alu instid0(VALU_DEP_1)
	v_add3_u32 v11, v73, v11, 0x7fff
                                        ; implicit-def: $vgpr73
; %bb.601:                              ;   in Loop: Header=BB2_539 Depth=4
	s_and_not1_saveexec_b32 s62, s13
	s_cbranch_execz .LBB2_538
; %bb.602:                              ;   in Loop: Header=BB2_539 Depth=4
	v_and_b32_e32 v11, 0xffff, v73
	v_or_b32_e32 v76, 0x10000, v73
	s_delay_alu instid0(VALU_DEP_2) | instskip(NEXT) | instid1(VALU_DEP_1)
	v_cmp_eq_u32_e64 s13, 0, v11
	v_cndmask_b32_e64 v11, v76, v73, s13
	s_branch .LBB2_538
.LBB2_603:                              ;   in Loop: Header=BB2_392 Depth=3
	s_or_b32 exec_lo, exec_lo, s61
.LBB2_604:                              ;   in Loop: Header=BB2_392 Depth=3
	s_delay_alu instid0(SALU_CYCLE_1) | instskip(NEXT) | instid1(VALU_DEP_2)
	s_or_b32 exec_lo, exec_lo, s60
	v_cmp_lt_i32_e64 s13, 0, v46
	s_delay_alu instid0(VALU_DEP_1) | instskip(NEXT) | instid1(VALU_DEP_1)
	v_dual_cndmask_b32 v10, 0, v32, s13 :: v_dual_bitop2_b32 v8, 14, v45 bitop3:0x40
	v_dual_sub_nc_u32 v9, v101, v8 :: v_dual_cndmask_b32 v101, v101, v8, vcc_lo
	s_delay_alu instid0(VALU_DEP_1) | instskip(NEXT) | instid1(VALU_DEP_2)
	v_dual_cndmask_b32 v8, 0, v9 :: v_dual_sub_nc_u32 v9, v10, v46
	v_cmp_ne_u32_e32 vcc_lo, 0, v101
	s_delay_alu instid0(VALU_DEP_2) | instskip(NEXT) | instid1(VALU_DEP_3)
	v_add3_u32 v40, v62, v103, v8
	v_lshl_add_u32 v41, v9, 5, v47
	s_and_b32 s60, vcc_lo, exec_lo
.LBB2_605:                              ;   in Loop: Header=BB2_392 Depth=3
	s_or_b32 exec_lo, exec_lo, s41
	s_and_saveexec_b32 s13, s60
	s_cbranch_execz .LBB2_654
.LBB2_606:                              ;   in Loop: Header=BB2_392 Depth=3
	v_ashrrev_i32_e32 v9, 31, v101
	s_mov_b32 s41, exec_lo
	s_delay_alu instid0(VALU_DEP_1) | instskip(NEXT) | instid1(VALU_DEP_1)
	v_lshrrev_b32_e32 v9, 24, v9
	v_add_nc_u32_e32 v9, v101, v9
	s_delay_alu instid0(VALU_DEP_1) | instskip(SKIP_1) | instid1(VALU_DEP_1)
	v_ashrrev_i32_e32 v43, 8, v9
	v_ashrrev_i32_e32 v8, 31, v41
	v_lshrrev_b32_e32 v8, 27, v8
	s_delay_alu instid0(VALU_DEP_1) | instskip(NEXT) | instid1(VALU_DEP_1)
	v_add_nc_u32_e32 v8, v41, v8
	v_ashrrev_i32_e32 v103, 5, v8
	s_delay_alu instid0(VALU_DEP_1) | instskip(NEXT) | instid1(VALU_DEP_1)
	v_sub_nc_u32_e32 v42, v43, v103
	v_cmpx_lt_i32_e32 0, v42
	s_cbranch_execz .LBB2_642
; %bb.607:                              ;   in Loop: Header=BB2_392 Depth=3
	v_and_b32_e32 v8, 0x7fffffe0, v8
	s_trap 2
	ds_load_b64 v[10:11], v0
	ds_load_b32 v45, v0
	s_mov_b32 s60, 0
	v_dual_sub_nc_u32 v8, v41, v8 :: v_dual_lshlrev_b32 v9, 8, v103
	s_delay_alu instid0(VALU_DEP_1) | instskip(NEXT) | instid1(VALU_DEP_1)
	v_lshlrev_b32_e32 v8, 1, v8
	v_add3_u32 v118, v8, v40, v9
	s_wait_dscnt 0x0
	s_delay_alu instid0(VALU_DEP_1) | instskip(NEXT) | instid1(VALU_DEP_1)
	v_dual_ashrrev_i32 v119, 31, v118 :: v_dual_lshlrev_b32 v45, 16, v45
	v_add_nc_u64_e32 v[8:9], v[118:119], v[114:115]
	v_add_nc_u64_e32 v[10:11], v[10:11], v[118:119]
	;; [unrolled: 1-line block ×3, first 2 shown]
	s_branch .LBB2_609
.LBB2_608:                              ;   in Loop: Header=BB2_609 Depth=4
	s_or_b32 exec_lo, exec_lo, s61
	v_sub_nc_u32_e32 v42, v42, v32
	s_clause 0x3
	flat_store_d16_hi_b16 v[118:119], v46 th:TH_STORE_NT
	flat_store_d16_hi_b16 v[118:119], v47 offset:64 th:TH_STORE_NT
	flat_store_d16_hi_b16 v[118:119], v62 offset:128 th:TH_STORE_NT
	;; [unrolled: 1-line block ×3, first 2 shown]
	v_add_nc_u64_e32 v[8:9], v[8:9], v[54:55]
	v_add_nc_u64_e32 v[10:11], v[10:11], v[54:55]
	s_wait_xcnt 0x0
	v_add_nc_u64_e32 v[118:119], v[118:119], v[54:55]
	v_cmp_gt_i32_e32 vcc_lo, 1, v42
	s_or_b32 s60, vcc_lo, s60
	s_delay_alu instid0(SALU_CYCLE_1)
	s_and_not1_b32 exec_lo, exec_lo, s60
	s_cbranch_execz .LBB2_641
.LBB2_609:                              ;   Parent Loop BB2_47 Depth=1
                                        ;     Parent Loop BB2_389 Depth=2
                                        ;       Parent Loop BB2_392 Depth=3
                                        ; =>      This Inner Loop Header: Depth=4
	flat_load_u16 v46, v[8:9] th:TH_LOAD_NT
	s_wait_loadcnt_dscnt 0x0
	v_lshlrev_b32_e32 v46, 16, v46
	s_delay_alu instid0(VALU_DEP_1) | instskip(NEXT) | instid1(VALU_DEP_1)
	v_mul_f32_e32 v47, v45, v46
	v_and_b32_e32 v46, 0x7f800000, v47
	s_delay_alu instid0(VALU_DEP_1) | instskip(SKIP_2) | instid1(SALU_CYCLE_1)
	v_cmp_ne_u32_e32 vcc_lo, 0x7f800000, v46
                                        ; implicit-def: $vgpr46
	s_wait_xcnt 0x0
	s_and_saveexec_b32 s61, vcc_lo
	s_xor_b32 s61, exec_lo, s61
; %bb.610:                              ;   in Loop: Header=BB2_609 Depth=4
	v_bfe_u32 v46, v47, 16, 1
	s_delay_alu instid0(VALU_DEP_1)
	v_add3_u32 v46, v47, v46, 0x7fff
                                        ; implicit-def: $vgpr47
; %bb.611:                              ;   in Loop: Header=BB2_609 Depth=4
	s_and_not1_saveexec_b32 s61, s61
; %bb.612:                              ;   in Loop: Header=BB2_609 Depth=4
	v_and_b32_e32 v46, 0xffff, v47
	v_or_b32_e32 v62, 0x10000, v47
	s_delay_alu instid0(VALU_DEP_2) | instskip(NEXT) | instid1(VALU_DEP_2)
	v_cmp_eq_u32_e32 vcc_lo, 0, v46
	v_cndmask_b32_e32 v46, v62, v47, vcc_lo
; %bb.613:                              ;   in Loop: Header=BB2_609 Depth=4
	s_or_b32 exec_lo, exec_lo, s61
	flat_load_u16 v47, v[8:9] offset:64 th:TH_LOAD_NT
	s_wait_loadcnt_dscnt 0x0
	v_lshlrev_b32_e32 v47, 16, v47
	s_delay_alu instid0(VALU_DEP_1) | instskip(NEXT) | instid1(VALU_DEP_1)
	v_mul_f32_e32 v62, v45, v47
	v_and_b32_e32 v47, 0x7f800000, v62
	s_delay_alu instid0(VALU_DEP_1) | instskip(SKIP_2) | instid1(SALU_CYCLE_1)
	v_cmp_ne_u32_e32 vcc_lo, 0x7f800000, v47
                                        ; implicit-def: $vgpr47
	s_wait_xcnt 0x0
	s_and_saveexec_b32 s61, vcc_lo
	s_xor_b32 s61, exec_lo, s61
; %bb.614:                              ;   in Loop: Header=BB2_609 Depth=4
	v_bfe_u32 v47, v62, 16, 1
	s_delay_alu instid0(VALU_DEP_1)
	v_add3_u32 v47, v62, v47, 0x7fff
                                        ; implicit-def: $vgpr62
; %bb.615:                              ;   in Loop: Header=BB2_609 Depth=4
	s_and_not1_saveexec_b32 s61, s61
; %bb.616:                              ;   in Loop: Header=BB2_609 Depth=4
	v_and_b32_e32 v47, 0xffff, v62
	v_or_b32_e32 v63, 0x10000, v62
	s_delay_alu instid0(VALU_DEP_2) | instskip(NEXT) | instid1(VALU_DEP_2)
	v_cmp_eq_u32_e32 vcc_lo, 0, v47
	v_cndmask_b32_e32 v47, v63, v62, vcc_lo
; %bb.617:                              ;   in Loop: Header=BB2_609 Depth=4
	s_or_b32 exec_lo, exec_lo, s61
	flat_load_u16 v62, v[8:9] offset:128 th:TH_LOAD_NT
	s_wait_loadcnt_dscnt 0x0
	v_lshlrev_b32_e32 v62, 16, v62
	s_delay_alu instid0(VALU_DEP_1) | instskip(NEXT) | instid1(VALU_DEP_1)
	v_mul_f32_e32 v63, v45, v62
	v_and_b32_e32 v62, 0x7f800000, v63
	s_delay_alu instid0(VALU_DEP_1) | instskip(SKIP_2) | instid1(SALU_CYCLE_1)
	v_cmp_ne_u32_e32 vcc_lo, 0x7f800000, v62
                                        ; implicit-def: $vgpr62
	s_wait_xcnt 0x0
	s_and_saveexec_b32 s61, vcc_lo
	s_xor_b32 s61, exec_lo, s61
; %bb.618:                              ;   in Loop: Header=BB2_609 Depth=4
	v_bfe_u32 v62, v63, 16, 1
	s_delay_alu instid0(VALU_DEP_1)
	v_add3_u32 v62, v63, v62, 0x7fff
                                        ; implicit-def: $vgpr63
; %bb.619:                              ;   in Loop: Header=BB2_609 Depth=4
	s_and_not1_saveexec_b32 s61, s61
; %bb.620:                              ;   in Loop: Header=BB2_609 Depth=4
	v_and_b32_e32 v62, 0xffff, v63
	v_or_b32_e32 v72, 0x10000, v63
	s_delay_alu instid0(VALU_DEP_2) | instskip(NEXT) | instid1(VALU_DEP_2)
	v_cmp_eq_u32_e32 vcc_lo, 0, v62
	v_cndmask_b32_e32 v62, v72, v63, vcc_lo
; %bb.621:                              ;   in Loop: Header=BB2_609 Depth=4
	s_or_b32 exec_lo, exec_lo, s61
	flat_load_u16 v63, v[8:9] offset:192 th:TH_LOAD_NT
	s_wait_loadcnt_dscnt 0x0
	v_lshlrev_b32_e32 v63, 16, v63
	s_delay_alu instid0(VALU_DEP_1) | instskip(NEXT) | instid1(VALU_DEP_1)
	v_mul_f32_e32 v72, v45, v63
	v_and_b32_e32 v63, 0x7f800000, v72
	s_delay_alu instid0(VALU_DEP_1) | instskip(SKIP_2) | instid1(SALU_CYCLE_1)
	v_cmp_ne_u32_e32 vcc_lo, 0x7f800000, v63
                                        ; implicit-def: $vgpr63
	s_wait_xcnt 0x0
	s_and_saveexec_b32 s61, vcc_lo
	s_xor_b32 s61, exec_lo, s61
; %bb.622:                              ;   in Loop: Header=BB2_609 Depth=4
	v_bfe_u32 v63, v72, 16, 1
	s_delay_alu instid0(VALU_DEP_1)
	v_add3_u32 v63, v72, v63, 0x7fff
                                        ; implicit-def: $vgpr72
; %bb.623:                              ;   in Loop: Header=BB2_609 Depth=4
	s_and_not1_saveexec_b32 s61, s61
; %bb.624:                              ;   in Loop: Header=BB2_609 Depth=4
	v_and_b32_e32 v63, 0xffff, v72
	v_or_b32_e32 v73, 0x10000, v72
	s_delay_alu instid0(VALU_DEP_2) | instskip(NEXT) | instid1(VALU_DEP_2)
	v_cmp_eq_u32_e32 vcc_lo, 0, v63
	v_cndmask_b32_e32 v63, v73, v72, vcc_lo
; %bb.625:                              ;   in Loop: Header=BB2_609 Depth=4
	s_or_b32 exec_lo, exec_lo, s61
	s_clause 0x3
	flat_load_u16 v73, v[10:11] offset:128 th:TH_LOAD_NT
	flat_load_u16 v72, v[10:11] offset:192 th:TH_LOAD_NT
	flat_load_u16 v75, v[10:11] th:TH_LOAD_NT
	flat_load_u16 v74, v[10:11] offset:64 th:TH_LOAD_NT
	v_and_b32_e32 v46, 0xffff0000, v46
	s_wait_loadcnt_dscnt 0x101
	v_lshlrev_b32_e32 v75, 16, v75
	s_delay_alu instid0(VALU_DEP_1) | instskip(NEXT) | instid1(VALU_DEP_1)
	v_add_f32_e32 v75, v46, v75
	v_and_b32_e32 v46, 0x7f800000, v75
	s_delay_alu instid0(VALU_DEP_1) | instskip(SKIP_2) | instid1(SALU_CYCLE_1)
	v_cmp_ne_u32_e32 vcc_lo, 0x7f800000, v46
                                        ; implicit-def: $vgpr46
	s_wait_xcnt 0x0
	s_and_saveexec_b32 s61, vcc_lo
	s_xor_b32 s61, exec_lo, s61
; %bb.626:                              ;   in Loop: Header=BB2_609 Depth=4
	v_bfe_u32 v46, v75, 16, 1
	s_delay_alu instid0(VALU_DEP_1)
	v_add3_u32 v46, v75, v46, 0x7fff
                                        ; implicit-def: $vgpr75
; %bb.627:                              ;   in Loop: Header=BB2_609 Depth=4
	s_and_not1_saveexec_b32 s61, s61
; %bb.628:                              ;   in Loop: Header=BB2_609 Depth=4
	v_and_b32_e32 v46, 0xffff, v75
	v_or_b32_e32 v76, 0x10000, v75
	s_delay_alu instid0(VALU_DEP_2) | instskip(NEXT) | instid1(VALU_DEP_2)
	v_cmp_eq_u32_e32 vcc_lo, 0, v46
	v_cndmask_b32_e32 v46, v76, v75, vcc_lo
; %bb.629:                              ;   in Loop: Header=BB2_609 Depth=4
	s_or_b32 exec_lo, exec_lo, s61
	v_and_b32_e32 v47, 0xffff0000, v47
	s_wait_loadcnt_dscnt 0x0
	v_lshlrev_b32_e32 v74, 16, v74
	s_delay_alu instid0(VALU_DEP_1) | instskip(NEXT) | instid1(VALU_DEP_1)
	v_add_f32_e32 v74, v47, v74
	v_and_b32_e32 v47, 0x7f800000, v74
	s_delay_alu instid0(VALU_DEP_1) | instskip(SKIP_1) | instid1(SALU_CYCLE_1)
	v_cmp_ne_u32_e32 vcc_lo, 0x7f800000, v47
                                        ; implicit-def: $vgpr47
	s_and_saveexec_b32 s61, vcc_lo
	s_xor_b32 s61, exec_lo, s61
; %bb.630:                              ;   in Loop: Header=BB2_609 Depth=4
	v_bfe_u32 v47, v74, 16, 1
	s_delay_alu instid0(VALU_DEP_1)
	v_add3_u32 v47, v74, v47, 0x7fff
                                        ; implicit-def: $vgpr74
; %bb.631:                              ;   in Loop: Header=BB2_609 Depth=4
	s_and_not1_saveexec_b32 s61, s61
; %bb.632:                              ;   in Loop: Header=BB2_609 Depth=4
	v_and_b32_e32 v47, 0xffff, v74
	v_or_b32_e32 v75, 0x10000, v74
	s_delay_alu instid0(VALU_DEP_2) | instskip(NEXT) | instid1(VALU_DEP_2)
	v_cmp_eq_u32_e32 vcc_lo, 0, v47
	v_cndmask_b32_e32 v47, v75, v74, vcc_lo
; %bb.633:                              ;   in Loop: Header=BB2_609 Depth=4
	s_or_b32 exec_lo, exec_lo, s61
	v_and_b32_e32 v62, 0xffff0000, v62
	v_lshlrev_b32_e32 v73, 16, v73
	s_delay_alu instid0(VALU_DEP_1) | instskip(NEXT) | instid1(VALU_DEP_1)
	v_add_f32_e32 v73, v62, v73
	v_and_b32_e32 v62, 0x7f800000, v73
	s_delay_alu instid0(VALU_DEP_1) | instskip(SKIP_1) | instid1(SALU_CYCLE_1)
	v_cmp_ne_u32_e32 vcc_lo, 0x7f800000, v62
                                        ; implicit-def: $vgpr62
	s_and_saveexec_b32 s61, vcc_lo
	s_xor_b32 s61, exec_lo, s61
; %bb.634:                              ;   in Loop: Header=BB2_609 Depth=4
	v_bfe_u32 v62, v73, 16, 1
	s_delay_alu instid0(VALU_DEP_1)
	v_add3_u32 v62, v73, v62, 0x7fff
                                        ; implicit-def: $vgpr73
; %bb.635:                              ;   in Loop: Header=BB2_609 Depth=4
	s_and_not1_saveexec_b32 s61, s61
; %bb.636:                              ;   in Loop: Header=BB2_609 Depth=4
	v_and_b32_e32 v62, 0xffff, v73
	v_or_b32_e32 v74, 0x10000, v73
	s_delay_alu instid0(VALU_DEP_2) | instskip(NEXT) | instid1(VALU_DEP_2)
	v_cmp_eq_u32_e32 vcc_lo, 0, v62
	v_cndmask_b32_e32 v62, v74, v73, vcc_lo
; %bb.637:                              ;   in Loop: Header=BB2_609 Depth=4
	s_or_b32 exec_lo, exec_lo, s61
	v_and_b32_e32 v63, 0xffff0000, v63
	v_lshlrev_b32_e32 v72, 16, v72
	s_delay_alu instid0(VALU_DEP_1) | instskip(NEXT) | instid1(VALU_DEP_1)
	v_add_f32_e32 v72, v63, v72
	v_and_b32_e32 v63, 0x7f800000, v72
	s_delay_alu instid0(VALU_DEP_1) | instskip(SKIP_1) | instid1(SALU_CYCLE_1)
	v_cmp_ne_u32_e32 vcc_lo, 0x7f800000, v63
                                        ; implicit-def: $vgpr63
	s_and_saveexec_b32 s61, vcc_lo
	s_xor_b32 s61, exec_lo, s61
; %bb.638:                              ;   in Loop: Header=BB2_609 Depth=4
	v_bfe_u32 v63, v72, 16, 1
	s_delay_alu instid0(VALU_DEP_1)
	v_add3_u32 v63, v72, v63, 0x7fff
                                        ; implicit-def: $vgpr72
; %bb.639:                              ;   in Loop: Header=BB2_609 Depth=4
	s_and_not1_saveexec_b32 s61, s61
	s_cbranch_execz .LBB2_608
; %bb.640:                              ;   in Loop: Header=BB2_609 Depth=4
	v_and_b32_e32 v63, 0xffff, v72
	v_or_b32_e32 v73, 0x10000, v72
	s_delay_alu instid0(VALU_DEP_2) | instskip(NEXT) | instid1(VALU_DEP_2)
	v_cmp_eq_u32_e32 vcc_lo, 0, v63
	v_cndmask_b32_e32 v63, v73, v72, vcc_lo
	s_branch .LBB2_608
.LBB2_641:                              ;   in Loop: Header=BB2_392 Depth=3
	s_or_b32 exec_lo, exec_lo, s60
.LBB2_642:                              ;   in Loop: Header=BB2_392 Depth=3
	s_delay_alu instid0(SALU_CYCLE_1) | instskip(SKIP_1) | instid1(VALU_DEP_1)
	s_or_b32 exec_lo, exec_lo, s41
	v_lshlrev_b32_e32 v8, 8, v43
	v_cmp_ne_u32_e32 vcc_lo, v101, v8
	s_and_b32 exec_lo, exec_lo, vcc_lo
	s_cbranch_execz .LBB2_654
; %bb.643:                              ;   in Loop: Header=BB2_392 Depth=3
	v_dual_lshlrev_b32 v9, 5, v103 :: v_dual_lshlrev_b32 v10, 5, v42
	s_delay_alu instid0(VALU_DEP_1) | instskip(NEXT) | instid1(VALU_DEP_1)
	v_sub_nc_u32_e32 v9, v41, v9
	v_sub_nc_u32_e32 v9, v9, v10
	s_delay_alu instid0(VALU_DEP_1) | instskip(NEXT) | instid1(VALU_DEP_1)
	v_ashrrev_i32_e32 v10, 31, v9
	v_lshrrev_b32_e32 v10, 27, v10
	s_delay_alu instid0(VALU_DEP_1) | instskip(NEXT) | instid1(VALU_DEP_1)
	v_add_nc_u32_e32 v10, v9, v10
	v_and_b32_e32 v11, 0x7fffffe0, v10
	s_delay_alu instid0(VALU_DEP_1) | instskip(NEXT) | instid1(VALU_DEP_1)
	v_dual_lshlrev_b32 v10, 1, v10 :: v_dual_sub_nc_u32 v9, v9, v11
	v_and_b32_e32 v10, 0xffffffc0, v10
	s_delay_alu instid0(VALU_DEP_2) | instskip(NEXT) | instid1(VALU_DEP_1)
	v_lshlrev_b32_e32 v9, 1, v9
	v_add3_u32 v8, v10, v9, v8
	s_delay_alu instid0(VALU_DEP_1) | instskip(NEXT) | instid1(VALU_DEP_1)
	v_sub_nc_u32_e32 v101, v101, v8
	v_cmp_lt_i32_e32 vcc_lo, 1, v101
	s_and_b32 exec_lo, exec_lo, vcc_lo
	s_cbranch_execz .LBB2_654
; %bb.644:                              ;   in Loop: Header=BB2_392 Depth=3
	s_trap 2
	ds_load_b64 v[10:11], v0
	ds_load_b32 v103, v0
	v_add_nc_u32_e32 v118, v8, v40
	s_mov_b32 s41, 0
	s_wait_dscnt 0x0
	s_delay_alu instid0(VALU_DEP_1) | instskip(NEXT) | instid1(VALU_DEP_1)
	v_dual_lshlrev_b32 v103, 16, v103 :: v_dual_ashrrev_i32 v119, 31, v118
	v_add_nc_u64_e32 v[8:9], v[118:119], v[114:115]
	v_add_nc_u64_e32 v[10:11], v[10:11], v[118:119]
	v_add_nc_u64_e32 v[114:115], v[118:119], v[116:117]
	s_branch .LBB2_646
.LBB2_645:                              ;   in Loop: Header=BB2_646 Depth=4
	s_or_b32 exec_lo, exec_lo, s60
	v_sub_nc_u32_e32 v101, v101, v64
	flat_store_d16_hi_b16 v[114:115], v116 th:TH_STORE_NT
	v_add_nc_u64_e32 v[8:9], v[8:9], v[64:65]
	v_add_nc_u64_e32 v[10:11], v[10:11], v[64:65]
	s_wait_xcnt 0x0
	v_add_nc_u64_e32 v[114:115], v[114:115], v[64:65]
	v_cmp_gt_i32_e32 vcc_lo, 2, v101
	s_or_b32 s41, vcc_lo, s41
	s_delay_alu instid0(SALU_CYCLE_1)
	s_and_not1_b32 exec_lo, exec_lo, s41
	s_cbranch_execz .LBB2_654
.LBB2_646:                              ;   Parent Loop BB2_47 Depth=1
                                        ;     Parent Loop BB2_389 Depth=2
                                        ;       Parent Loop BB2_392 Depth=3
                                        ; =>      This Inner Loop Header: Depth=4
	flat_load_u16 v116, v[8:9] th:TH_LOAD_NT
	s_wait_loadcnt_dscnt 0x0
	v_lshlrev_b32_e32 v116, 16, v116
	s_delay_alu instid0(VALU_DEP_1) | instskip(NEXT) | instid1(VALU_DEP_1)
	v_mul_f32_e32 v116, v103, v116
	v_and_b32_e32 v117, 0x7f800000, v116
	s_delay_alu instid0(VALU_DEP_1) | instskip(SKIP_2) | instid1(SALU_CYCLE_1)
	v_cmp_ne_u32_e32 vcc_lo, 0x7f800000, v117
                                        ; implicit-def: $vgpr117
	s_wait_xcnt 0x0
	s_and_saveexec_b32 s60, vcc_lo
	s_xor_b32 s60, exec_lo, s60
; %bb.647:                              ;   in Loop: Header=BB2_646 Depth=4
	v_bfe_u32 v117, v116, 16, 1
	s_delay_alu instid0(VALU_DEP_1)
	v_add3_u32 v117, v116, v117, 0x7fff
                                        ; implicit-def: $vgpr116
; %bb.648:                              ;   in Loop: Header=BB2_646 Depth=4
	s_and_not1_saveexec_b32 s60, s60
; %bb.649:                              ;   in Loop: Header=BB2_646 Depth=4
	v_and_b32_e32 v117, 0xffff, v116
	v_or_b32_e32 v118, 0x10000, v116
	s_delay_alu instid0(VALU_DEP_2) | instskip(NEXT) | instid1(VALU_DEP_2)
	v_cmp_eq_u32_e32 vcc_lo, 0, v117
	v_cndmask_b32_e32 v117, v118, v116, vcc_lo
; %bb.650:                              ;   in Loop: Header=BB2_646 Depth=4
	s_or_b32 exec_lo, exec_lo, s60
	flat_load_u16 v116, v[10:11] th:TH_LOAD_NT
	v_and_b32_e32 v117, 0xffff0000, v117
	s_wait_loadcnt_dscnt 0x0
	v_lshlrev_b32_e32 v116, 16, v116
	s_delay_alu instid0(VALU_DEP_1) | instskip(NEXT) | instid1(VALU_DEP_1)
	v_add_f32_e32 v117, v117, v116
	v_and_b32_e32 v116, 0x7f800000, v117
	s_delay_alu instid0(VALU_DEP_1) | instskip(SKIP_2) | instid1(SALU_CYCLE_1)
	v_cmp_ne_u32_e32 vcc_lo, 0x7f800000, v116
                                        ; implicit-def: $vgpr116
	s_wait_xcnt 0x0
	s_and_saveexec_b32 s60, vcc_lo
	s_xor_b32 s60, exec_lo, s60
; %bb.651:                              ;   in Loop: Header=BB2_646 Depth=4
	v_bfe_u32 v116, v117, 16, 1
	s_delay_alu instid0(VALU_DEP_1)
	v_add3_u32 v116, v117, v116, 0x7fff
                                        ; implicit-def: $vgpr117
; %bb.652:                              ;   in Loop: Header=BB2_646 Depth=4
	s_and_not1_saveexec_b32 s60, s60
	s_cbranch_execz .LBB2_645
; %bb.653:                              ;   in Loop: Header=BB2_646 Depth=4
	v_and_b32_e32 v116, 0xffff, v117
	v_or_b32_e32 v118, 0x10000, v117
	s_delay_alu instid0(VALU_DEP_2) | instskip(NEXT) | instid1(VALU_DEP_2)
	v_cmp_eq_u32_e32 vcc_lo, 0, v116
	v_cndmask_b32_e32 v116, v118, v117, vcc_lo
	s_branch .LBB2_645
.LBB2_654:                              ;   in Loop: Header=BB2_392 Depth=3
	s_or_b32 exec_lo, exec_lo, s13
	v_cmp_lt_i32_e64 s13, 0, v2
	s_and_saveexec_b32 s41, s2
	s_cbranch_execz .LBB2_673
.LBB2_655:                              ;   in Loop: Header=BB2_392 Depth=3
	s_and_saveexec_b32 s60, s3
	s_delay_alu instid0(SALU_CYCLE_1)
	s_xor_b32 s60, exec_lo, s60
	s_cbranch_execz .LBB2_670
; %bb.656:                              ;   in Loop: Header=BB2_392 Depth=3
	s_and_saveexec_b32 s61, s6
	s_cbranch_execz .LBB2_669
; %bb.657:                              ;   in Loop: Header=BB2_392 Depth=3
	s_mov_b32 s63, exec_lo
	s_mov_b32 s62, exec_lo
	v_mbcnt_lo_u32_b32 v2, s63, 0
	global_wb scope:SCOPE_DEV
	s_wait_storecnt 0x0
	s_wait_loadcnt_dscnt 0x0
	global_inv scope:SCOPE_DEV
	v_cmpx_eq_u32_e32 0, v2
	s_cbranch_execz .LBB2_659
; %bb.658:                              ;   in Loop: Header=BB2_392 Depth=3
	s_bcnt1_i32_b32 s63, s63
	s_delay_alu instid0(SALU_CYCLE_1)
	v_mov_b32_e32 v2, s63
	s_wait_loadcnt 0x0
	ds_add_u64 v0, v[2:3]
	s_trap 2
.LBB2_659:                              ;   in Loop: Header=BB2_392 Depth=3
	s_or_b32 exec_lo, exec_lo, s62
	s_trap 2
	ds_load_b64 v[8:9], v0
	s_wait_dscnt 0x0
	v_add_nc_u64_e32 v[12:13], v[12:13], v[32:33]
	s_mov_b32 s62, exec_lo
	s_delay_alu instid0(VALU_DEP_1)
	v_cmpx_lt_u64_e64 v[8:9], v[12:13]
	s_cbranch_execz .LBB2_668
; %bb.660:                              ;   in Loop: Header=BB2_392 Depth=3
	s_mov_b32 s63, 0
	s_mov_b32 s74, 0
                                        ; implicit-def: $sgpr72
                                        ; implicit-def: $sgpr73
	s_branch .LBB2_662
.LBB2_661:                              ;   in Loop: Header=BB2_662 Depth=4
	s_or_b32 exec_lo, exec_lo, s76
	s_delay_alu instid0(SALU_CYCLE_1) | instskip(NEXT) | instid1(SALU_CYCLE_1)
	s_and_b32 s75, exec_lo, s77
	s_or_b32 s63, s75, s63
	s_and_not1_b32 s72, s72, exec_lo
	s_and_b32 s75, s73, exec_lo
	s_delay_alu instid0(SALU_CYCLE_1)
	s_or_b32 s72, s72, s75
	s_and_not1_b32 exec_lo, exec_lo, s63
	s_cbranch_execz .LBB2_666
.LBB2_662:                              ;   Parent Loop BB2_47 Depth=1
                                        ;     Parent Loop BB2_389 Depth=2
                                        ;       Parent Loop BB2_392 Depth=3
                                        ; =>      This Inner Loop Header: Depth=4
	s_add_co_i32 s74, s74, 1
	s_delay_alu instid0(SALU_CYCLE_1) | instskip(SKIP_1) | instid1(SALU_CYCLE_1)
	s_cmp_lg_u32 s74, 0x2710
	s_cselect_b32 s75, -1, 0
	s_and_b32 vcc_lo, exec_lo, s75
	s_cbranch_vccz .LBB2_664
; %bb.663:                              ;   in Loop: Header=BB2_662 Depth=4
	s_mov_b32 s77, -1
	s_or_b32 s73, s73, exec_lo
	s_and_saveexec_b32 s76, s75
	s_cbranch_execz .LBB2_661
	s_branch .LBB2_665
.LBB2_664:                              ;   in Loop: Header=BB2_662 Depth=4
	s_trap 2
	ds_load_b64 v[8:9], v0
	s_and_not1_b32 s75, s75, exec_lo
	s_mov_b32 s74, 0
	s_wait_loadcnt_dscnt 0x0
	flat_load_b32 v2, v[8:9] scope:SCOPE_SYS
	s_wait_loadcnt_dscnt 0x0
	global_inv scope:SCOPE_SYS
	v_cmp_eq_u32_e32 vcc_lo, 0, v2
	s_and_b32 s76, vcc_lo, exec_lo
	s_delay_alu instid0(SALU_CYCLE_1)
	s_or_b32 s75, s75, s76
	s_mov_b32 s77, -1
	s_or_b32 s73, s73, exec_lo
	s_and_saveexec_b32 s76, s75
	s_cbranch_execz .LBB2_661
.LBB2_665:                              ;   in Loop: Header=BB2_662 Depth=4
	s_sleep 1
	s_trap 2
	ds_load_b64 v[8:9], v0
	s_wait_dscnt 0x0
	s_and_not1_b32 s73, s73, exec_lo
	v_cmp_ge_u64_e32 vcc_lo, v[8:9], v[12:13]
	s_or_not1_b32 s77, vcc_lo, exec_lo
	s_branch .LBB2_661
.LBB2_666:                              ;   in Loop: Header=BB2_392 Depth=3
	s_or_b32 exec_lo, exec_lo, s63
	s_and_saveexec_b32 s63, s72
	s_delay_alu instid0(SALU_CYCLE_1)
	s_xor_b32 s63, exec_lo, s63
	s_cbranch_execz .LBB2_668
; %bb.667:                              ;   in Loop: Header=BB2_392 Depth=3
	ds_store_b32 v0, v59
	s_trap 2
.LBB2_668:                              ;   in Loop: Header=BB2_392 Depth=3
	s_or_b32 exec_lo, exec_lo, s62
	;;#ASMSTART
	s_wakeup
	;;#ASMEND
.LBB2_669:                              ;   in Loop: Header=BB2_392 Depth=3
	s_or_b32 exec_lo, exec_lo, s61
.LBB2_670:                              ;   in Loop: Header=BB2_392 Depth=3
	s_and_not1_saveexec_b32 s60, s60
	s_cbranch_execz .LBB2_672
; %bb.671:                              ;   in Loop: Header=BB2_392 Depth=3
	global_wb scope:SCOPE_DEV
	s_wait_storecnt 0x0
	s_wait_loadcnt_dscnt 0x0
	global_inv scope:SCOPE_DEV
	s_barrier_signal -1
	s_barrier_wait -1
.LBB2_672:                              ;   in Loop: Header=BB2_392 Depth=3
	s_or_b32 exec_lo, exec_lo, s60
.LBB2_673:                              ;   in Loop: Header=BB2_392 Depth=3
	s_delay_alu instid0(SALU_CYCLE_1) | instskip(SKIP_2) | instid1(SALU_CYCLE_1)
	s_or_b32 exec_lo, exec_lo, s41
	v_and_b32_e32 v8, 16, v30
	s_and_saveexec_b32 s41, s12
	s_xor_b32 s41, exec_lo, s41
	s_cbranch_execz .LBB2_677
; %bb.674:                              ;   in Loop: Header=BB2_392 Depth=3
	v_and_b32_e32 v2, 16, v30
	v_and_b32_e32 v8, 16, v30
	s_delay_alu instid0(VALU_DEP_2) | instskip(SKIP_1) | instid1(SALU_CYCLE_1)
	v_cmp_ne_u32_e32 vcc_lo, 0, v2
	s_and_b32 s60, vcc_lo, s13
	s_and_saveexec_b32 s13, s60
	s_cbranch_execz .LBB2_676
; %bb.675:                              ;   in Loop: Header=BB2_392 Depth=3
	v_mov_b32_e32 v8, 1
	global_wb scope:SCOPE_SYS
	s_wait_storecnt 0x0
	s_wait_loadcnt_dscnt 0x0
	global_inv scope:SCOPE_SYS
.LBB2_676:                              ;   in Loop: Header=BB2_392 Depth=3
	s_or_b32 exec_lo, exec_lo, s13
.LBB2_677:                              ;   in Loop: Header=BB2_392 Depth=3
	s_and_not1_saveexec_b32 s13, s41
	s_cbranch_execz .LBB2_696
; %bb.678:                              ;   in Loop: Header=BB2_392 Depth=3
	s_and_saveexec_b32 s41, s3
	s_delay_alu instid0(SALU_CYCLE_1)
	s_xor_b32 s41, exec_lo, s41
	s_cbranch_execz .LBB2_693
; %bb.679:                              ;   in Loop: Header=BB2_392 Depth=3
	s_and_saveexec_b32 s60, s6
	s_cbranch_execz .LBB2_692
; %bb.680:                              ;   in Loop: Header=BB2_392 Depth=3
	s_mov_b32 s62, exec_lo
	s_mov_b32 s61, exec_lo
	v_mbcnt_lo_u32_b32 v2, s62, 0
	;;#ASMSTART
	s_waitcnt lgkmcnt(0) vmcnt(0)
	;;#ASMEND
	s_delay_alu instid0(VALU_DEP_1)
	v_cmpx_eq_u32_e32 0, v2
	s_cbranch_execz .LBB2_682
; %bb.681:                              ;   in Loop: Header=BB2_392 Depth=3
	s_bcnt1_i32_b32 s62, s62
	s_delay_alu instid0(SALU_CYCLE_1)
	v_mov_b32_e32 v2, s62
	s_wait_storecnt 0x0
	s_wait_loadcnt_dscnt 0x0
	ds_add_u64 v0, v[2:3]
	s_trap 2
.LBB2_682:                              ;   in Loop: Header=BB2_392 Depth=3
	s_or_b32 exec_lo, exec_lo, s61
	s_trap 2
	ds_load_b64 v[10:11], v0
	s_wait_dscnt 0x0
	v_add_nc_u64_e32 v[12:13], v[12:13], v[32:33]
	s_mov_b32 s61, exec_lo
	s_delay_alu instid0(VALU_DEP_1)
	v_cmpx_lt_u64_e64 v[10:11], v[12:13]
	s_cbranch_execz .LBB2_691
; %bb.683:                              ;   in Loop: Header=BB2_392 Depth=3
	s_mov_b32 s62, 0
	s_mov_b32 s73, 0
                                        ; implicit-def: $sgpr63
                                        ; implicit-def: $sgpr72
	s_branch .LBB2_685
.LBB2_684:                              ;   in Loop: Header=BB2_685 Depth=4
	s_or_b32 exec_lo, exec_lo, s75
	s_delay_alu instid0(SALU_CYCLE_1) | instskip(NEXT) | instid1(SALU_CYCLE_1)
	s_and_b32 s74, exec_lo, s76
	s_or_b32 s62, s74, s62
	s_and_not1_b32 s63, s63, exec_lo
	s_and_b32 s74, s72, exec_lo
	s_delay_alu instid0(SALU_CYCLE_1)
	s_or_b32 s63, s63, s74
	s_and_not1_b32 exec_lo, exec_lo, s62
	s_cbranch_execz .LBB2_689
.LBB2_685:                              ;   Parent Loop BB2_47 Depth=1
                                        ;     Parent Loop BB2_389 Depth=2
                                        ;       Parent Loop BB2_392 Depth=3
                                        ; =>      This Inner Loop Header: Depth=4
	s_add_co_i32 s73, s73, 1
	s_delay_alu instid0(SALU_CYCLE_1) | instskip(SKIP_1) | instid1(SALU_CYCLE_1)
	s_cmp_lg_u32 s73, 0x2710
	s_cselect_b32 s74, -1, 0
	s_and_b32 vcc_lo, exec_lo, s74
	s_cbranch_vccz .LBB2_687
; %bb.686:                              ;   in Loop: Header=BB2_685 Depth=4
	s_mov_b32 s76, -1
	s_or_b32 s72, s72, exec_lo
	s_and_saveexec_b32 s75, s74
	s_cbranch_execz .LBB2_684
	s_branch .LBB2_688
.LBB2_687:                              ;   in Loop: Header=BB2_685 Depth=4
	s_trap 2
	ds_load_b64 v[10:11], v0
	s_and_not1_b32 s74, s74, exec_lo
	s_mov_b32 s73, 0
	s_wait_storecnt 0x0
	s_wait_loadcnt_dscnt 0x0
	flat_load_b32 v2, v[10:11] scope:SCOPE_SYS
	s_wait_loadcnt_dscnt 0x0
	global_inv scope:SCOPE_SYS
	v_cmp_eq_u32_e32 vcc_lo, 0, v2
	s_and_b32 s75, vcc_lo, exec_lo
	s_delay_alu instid0(SALU_CYCLE_1)
	s_or_b32 s74, s74, s75
	s_mov_b32 s76, -1
	s_or_b32 s72, s72, exec_lo
	s_and_saveexec_b32 s75, s74
	s_cbranch_execz .LBB2_684
.LBB2_688:                              ;   in Loop: Header=BB2_685 Depth=4
	s_sleep 1
	s_trap 2
	ds_load_b64 v[10:11], v0
	s_wait_dscnt 0x0
	s_and_not1_b32 s72, s72, exec_lo
	v_cmp_ge_u64_e32 vcc_lo, v[10:11], v[12:13]
	s_or_not1_b32 s76, vcc_lo, exec_lo
	s_branch .LBB2_684
.LBB2_689:                              ;   in Loop: Header=BB2_392 Depth=3
	s_or_b32 exec_lo, exec_lo, s62
	s_and_saveexec_b32 s62, s63
	s_delay_alu instid0(SALU_CYCLE_1)
	s_xor_b32 s62, exec_lo, s62
	s_cbranch_execz .LBB2_691
; %bb.690:                              ;   in Loop: Header=BB2_392 Depth=3
	ds_store_b32 v0, v59
	s_trap 2
.LBB2_691:                              ;   in Loop: Header=BB2_392 Depth=3
	s_or_b32 exec_lo, exec_lo, s61
	;;#ASMSTART
	s_wakeup
	;;#ASMEND
.LBB2_692:                              ;   in Loop: Header=BB2_392 Depth=3
	s_or_b32 exec_lo, exec_lo, s60
.LBB2_693:                              ;   in Loop: Header=BB2_392 Depth=3
	s_and_not1_saveexec_b32 s41, s41
	s_cbranch_execz .LBB2_695
; %bb.694:                              ;   in Loop: Header=BB2_392 Depth=3
	;;#ASMSTART
	s_waitcnt lgkmcnt(0) vmcnt(0)
	;;#ASMEND
	s_barrier_signal -1
	s_barrier_wait -1
.LBB2_695:                              ;   in Loop: Header=BB2_392 Depth=3
	s_or_b32 exec_lo, exec_lo, s41
.LBB2_696:                              ;   in Loop: Header=BB2_392 Depth=3
	s_delay_alu instid0(SALU_CYCLE_1) | instskip(SKIP_2) | instid1(SALU_CYCLE_1)
	s_or_b32 exec_lo, exec_lo, s13
	v_cmp_ne_u32_e32 vcc_lo, 0, v8
	s_xor_b32 s13, s4, -1
	s_and_b32 s41, vcc_lo, s13
	s_delay_alu instid0(SALU_CYCLE_1)
	s_and_saveexec_b32 s13, s41
	s_cbranch_execz .LBB2_698
; %bb.697:                              ;   in Loop: Header=BB2_392 Depth=3
	global_wb scope:SCOPE_SYS
	s_wait_storecnt 0x0
	s_wait_loadcnt_dscnt 0x0
	flat_store_b32 v[26:27], v59 scope:SCOPE_SYS
.LBB2_698:                              ;   in Loop: Header=BB2_392 Depth=3
	s_wait_xcnt 0x0
	s_or_b32 exec_lo, exec_lo, s13
	v_and_b32_e32 v2, 48, v30
	s_mov_b32 s13, exec_lo
	s_delay_alu instid0(VALU_DEP_1)
	v_cmpx_ne_u32_e32 0, v2
	s_cbranch_execz .LBB2_391
; %bb.699:                              ;   in Loop: Header=BB2_392 Depth=3
	v_add_nc_u64_e32 v[86:87], 2, v[86:87]
	global_wb scope:SCOPE_SYS
	s_wait_storecnt 0x0
	s_wait_loadcnt_dscnt 0x0
	flat_store_b64 v[20:21], v[86:87] scope:SCOPE_SYS
	s_branch .LBB2_391
.LBB2_700:                              ;   in Loop: Header=BB2_389 Depth=2
	s_or_b32 exec_lo, exec_lo, s18
.LBB2_701:                              ;   in Loop: Header=BB2_389 Depth=2
	s_delay_alu instid0(SALU_CYCLE_1) | instskip(NEXT) | instid1(SALU_CYCLE_1)
	s_or_b32 exec_lo, exec_lo, s15
	s_mov_b32 s15, exec_lo
	v_cmpx_gt_i32_e32 2, v2
	s_cbranch_execz .LBB2_388
; %bb.702:                              ;   in Loop: Header=BB2_389 Depth=2
	v_cmp_eq_u32_e64 s27, 0, v2
	s_mov_b32 s18, 0
	s_branch .LBB2_704
.LBB2_703:                              ;   in Loop: Header=BB2_704 Depth=3
	s_wait_xcnt 0x0
	s_or_b32 exec_lo, exec_lo, s13
	v_add_nc_u32_e32 v102, v100, v102
	s_mov_b32 s27, 0
	s_and_not1_b32 exec_lo, exec_lo, s18
	s_cbranch_execz .LBB2_387
.LBB2_704:                              ;   Parent Loop BB2_47 Depth=1
                                        ;     Parent Loop BB2_389 Depth=2
                                        ; =>    This Loop Header: Depth=3
                                        ;         Child Loop BB2_710 Depth 4
                                        ;         Child Loop BB2_738 Depth 4
                                        ;         Child Loop BB2_757 Depth 4
	s_delay_alu instid0(VALU_DEP_1) | instskip(SKIP_2) | instid1(VALU_DEP_2)
	v_sub_nc_u32_e32 v2, v44, v102
	v_and_b32_e32 v8, 12, v30
	s_mov_b32 s40, exec_lo
	v_min_i32_e32 v100, v100, v2
	s_delay_alu instid0(VALU_DEP_2)
	v_cmpx_ne_u32_e32 0, v8
	s_cbranch_execz .LBB2_730
; %bb.705:                              ;   in Loop: Header=BB2_704 Depth=3
	v_and_b32_e32 v2, 8, v30
	v_add_nc_u64_e32 v[8:9], 2, v[86:87]
	s_mov_b32 s41, exec_lo
	s_wait_loadcnt_dscnt 0x1
	s_delay_alu instid0(VALU_DEP_2) | instskip(NEXT) | instid1(VALU_DEP_1)
	v_add_nc_u64_e32 v[10:11], v[28:29], v[2:3]
	v_cmpx_lt_u64_e64 v[10:11], v[8:9]
	s_cbranch_execz .LBB2_717
; %bb.706:                              ;   in Loop: Header=BB2_704 Depth=3
	v_and_b32_e32 v10, 64, v30
	s_mov_b32 s60, 0
	s_mov_b32 s72, 0
                                        ; implicit-def: $sgpr61
                                        ; implicit-def: $sgpr62
                                        ; implicit-def: $sgpr63
	s_delay_alu instid0(VALU_DEP_1)
	v_cmp_eq_u32_e32 vcc_lo, 0, v10
	s_branch .LBB2_710
.LBB2_707:                              ;   in Loop: Header=BB2_710 Depth=4
	s_wait_loadcnt_dscnt 0x0
	v_add_nc_u64_e32 v[112:113], v[28:29], v[2:3]
	s_or_b32 s75, s75, exec_lo
	s_delay_alu instid0(VALU_DEP_1)
	v_cmp_ge_u64_e64 s13, v[112:113], v[8:9]
	s_or_not1_b32 s74, s13, exec_lo
.LBB2_708:                              ;   in Loop: Header=BB2_710 Depth=4
	s_or_b32 exec_lo, exec_lo, s77
	s_delay_alu instid0(SALU_CYCLE_1)
	s_and_not1_b32 s13, s63, exec_lo
	s_and_b32 s63, s75, exec_lo
	s_and_not1_b32 s62, s62, exec_lo
	s_and_b32 s74, s74, exec_lo
	s_or_b32 s63, s13, s63
	s_or_b32 s62, s62, s74
.LBB2_709:                              ;   in Loop: Header=BB2_710 Depth=4
	s_or_b32 exec_lo, exec_lo, s73
	s_delay_alu instid0(SALU_CYCLE_1) | instskip(NEXT) | instid1(SALU_CYCLE_1)
	s_and_b32 s13, exec_lo, s62
	s_or_b32 s60, s13, s60
	s_and_not1_b32 s13, s61, exec_lo
	s_and_b32 s61, s63, exec_lo
	s_delay_alu instid0(SALU_CYCLE_1)
	s_or_b32 s61, s13, s61
	s_and_not1_b32 exec_lo, exec_lo, s60
	s_cbranch_execz .LBB2_714
.LBB2_710:                              ;   Parent Loop BB2_47 Depth=1
                                        ;     Parent Loop BB2_389 Depth=2
                                        ;       Parent Loop BB2_704 Depth=3
                                        ; =>      This Inner Loop Header: Depth=4
	s_sleep 1
	s_wait_loadcnt_dscnt 0x0
	flat_load_b64 v[28:29], v[20:21] scope:SCOPE_SYS
	s_or_b32 s63, s63, exec_lo
	s_or_b32 s62, s62, exec_lo
                                        ; implicit-def: $vgpr10
	s_wait_xcnt 0x0
	s_and_saveexec_b32 s73, vcc_lo
	s_cbranch_execz .LBB2_709
; %bb.711:                              ;   in Loop: Header=BB2_710 Depth=4
	s_cmp_lt_i32 s72, 0x270f
	s_mov_b32 s74, -1
	s_cselect_b32 s76, -1, 0
	s_cmp_gt_i32 s72, 0x270e
	s_cbranch_scc0 .LBB2_713
; %bb.712:                              ;   in Loop: Header=BB2_710 Depth=4
	s_trap 2
	ds_load_b64 v[10:11], v0
	s_and_not1_b32 s72, s76, exec_lo
	s_mov_b32 s75, 0
	s_wait_storecnt 0x0
	s_wait_loadcnt_dscnt 0x0
	flat_load_b32 v10, v[10:11] scope:SCOPE_SYS
	s_wait_loadcnt_dscnt 0x0
	global_inv scope:SCOPE_SYS
	v_cmp_eq_u32_e64 s13, 0, v10
	s_and_b32 s13, s13, exec_lo
	s_delay_alu instid0(SALU_CYCLE_1)
	s_or_b32 s76, s72, s13
	s_mov_b32 s72, 0
	s_and_saveexec_b32 s77, s76
	s_cbranch_execz .LBB2_708
	s_branch .LBB2_707
.LBB2_713:                              ;   in Loop: Header=BB2_710 Depth=4
	s_add_co_i32 s72, s72, 1
	s_mov_b32 s75, -1
                                        ; implicit-def: $vgpr10
	s_and_saveexec_b32 s77, s76
	s_cbranch_execz .LBB2_708
	s_branch .LBB2_707
.LBB2_714:                              ;   in Loop: Header=BB2_704 Depth=3
	s_or_b32 exec_lo, exec_lo, s60
	s_xor_b32 s13, s61, -1
	s_delay_alu instid0(SALU_CYCLE_1) | instskip(NEXT) | instid1(SALU_CYCLE_1)
	s_and_saveexec_b32 s60, s13
	s_xor_b32 s13, exec_lo, s60
	s_cbranch_execz .LBB2_716
; %bb.715:                              ;   in Loop: Header=BB2_704 Depth=3
	v_or_b32_e32 v30, 64, v30
	s_wait_storecnt 0x0
	s_wait_loadcnt_dscnt 0x0
	ds_store_b32 v0, v10
	s_trap 2
.LBB2_716:                              ;   in Loop: Header=BB2_704 Depth=3
	s_or_b32 exec_lo, exec_lo, s13
.LBB2_717:                              ;   in Loop: Header=BB2_704 Depth=3
	s_delay_alu instid0(SALU_CYCLE_1) | instskip(SKIP_2) | instid1(VALU_DEP_1)
	s_or_b32 exec_lo, exec_lo, s41
	v_and_b32_e32 v10, 0x108, v30
	;;#ASMSTART
	s_wakeup
	;;#ASMEND
	v_cmp_ne_u32_e32 vcc_lo, 0x108, v10
                                        ; implicit-def: $vgpr10_vgpr11
	s_and_saveexec_b32 s13, vcc_lo
	s_delay_alu instid0(SALU_CYCLE_1)
	s_xor_b32 s13, exec_lo, s13
; %bb.718:                              ;   in Loop: Header=BB2_704 Depth=3
	v_dual_mov_b32 v11, v3 :: v_dual_bitop2_b32 v10, 7, v86 bitop3:0x40
                                        ; implicit-def: $vgpr86_vgpr87
; %bb.719:                              ;   in Loop: Header=BB2_704 Depth=3
	s_and_not1_saveexec_b32 s13, s13
	s_cbranch_execz .LBB2_721
; %bb.720:                              ;   in Loop: Header=BB2_704 Depth=3
	v_dual_ashrrev_i32 v101, 31, v100 :: v_dual_bitop2_b32 v10, 7, v86 bitop3:0x40
	v_mov_b32_e32 v11, v3
	s_delay_alu instid0(VALU_DEP_2) | instskip(NEXT) | instid1(VALU_DEP_3)
	v_mad_nc_u64_u32 v[86:87], v10, 24, v[6:7]
	v_lshlrev_b64_e32 v[112:113], 1, v[100:101]
	flat_store_b64 v[86:87], v[112:113] offset:8
.LBB2_721:                              ;   in Loop: Header=BB2_704 Depth=3
	s_wait_xcnt 0x0
	s_or_b32 exec_lo, exec_lo, s13
	v_and_b32_e32 v86, 0x100, v30
	s_mov_b32 s13, -1
	s_delay_alu instid0(VALU_DEP_1)
	v_cmp_ne_u32_e32 vcc_lo, 0, v86
                                        ; implicit-def: $vgpr86_vgpr87
	s_and_saveexec_b32 s41, vcc_lo
	s_cbranch_execz .LBB2_725
; %bb.722:                              ;   in Loop: Header=BB2_704 Depth=3
	v_mad_nc_u64_u32 v[112:113], v10, 24, v[6:7]
	s_delay_alu instid0(VALU_DEP_1)
	v_mad_u32 v113, v11, 24, v113
	flat_load_b32 v86, v[112:113]
	s_wait_loadcnt_dscnt 0x0
	v_cmp_eq_u32_e64 s13, 1, v86
	v_cmp_ne_u32_e32 vcc_lo, 1, v86
                                        ; implicit-def: $vgpr86_vgpr87
	s_wait_xcnt 0x0
	s_and_saveexec_b32 s60, s13
	s_cbranch_execz .LBB2_724
; %bb.723:                              ;   in Loop: Header=BB2_704 Depth=3
	flat_load_b32 v86, v[112:113] offset:4 scope:SCOPE_SYS
	s_wait_loadcnt_dscnt 0x0
	v_ashrrev_i32_e32 v87, 31, v86
	s_delay_alu instid0(VALU_DEP_1)
	v_lshrrev_b64 v[86:87], 1, v[86:87]
.LBB2_724:                              ;   in Loop: Header=BB2_704 Depth=3
	s_wait_xcnt 0x0
	s_or_b32 exec_lo, exec_lo, s60
	s_delay_alu instid0(SALU_CYCLE_1)
	s_or_not1_b32 s13, vcc_lo, exec_lo
.LBB2_725:                              ;   in Loop: Header=BB2_704 Depth=3
	s_or_b32 exec_lo, exec_lo, s41
	s_and_saveexec_b32 s41, s13
; %bb.726:                              ;   in Loop: Header=BB2_704 Depth=3
	v_mul_u64_e32 v[86:87], v[10:11], v[22:23]
; %bb.727:                              ;   in Loop: Header=BB2_704 Depth=3
	s_or_b32 exec_lo, exec_lo, s41
	v_cmp_eq_u32_e32 vcc_lo, 0, v2
	v_and_b32_e32 v101, 0x2000, v30
	s_delay_alu instid0(VALU_DEP_3) | instskip(SKIP_2) | instid1(VALU_DEP_1)
	v_lshl_add_u64 v[10:11], v[86:87], 1, v[24:25]
	s_mov_b32 s13, exec_lo
	v_cndmask_b32_e32 v2, 0xc8, v60, vcc_lo
	v_add_nc_u32_e32 v2, v0, v2
	ds_store_b64 v2, v[10:11] offset:584
	v_cmpx_ne_u32_e32 0, v101
	s_cbranch_execz .LBB2_729
; %bb.728:                              ;   in Loop: Header=BB2_704 Depth=3
	ds_load_b64 v[10:11], v0 offset:872
	s_wait_dscnt 0x0
	v_add_nc_u64_e32 v[10:11], 1, v[10:11]
	ds_store_b64 v0, v[10:11] offset:872
.LBB2_729:                              ;   in Loop: Header=BB2_704 Depth=3
	s_or_b32 exec_lo, exec_lo, s13
	v_mov_b64_e32 v[86:87], v[8:9]
.LBB2_730:                              ;   in Loop: Header=BB2_704 Depth=3
	s_or_b32 exec_lo, exec_lo, s40
	s_xor_b32 s13, s27, -1
	s_delay_alu instid0(SALU_CYCLE_1) | instskip(NEXT) | instid1(SALU_CYCLE_1)
	s_and_b32 s13, exec_lo, s13
	s_or_b32 s18, s13, s18
	s_and_saveexec_b32 s13, s2
	s_cbranch_execz .LBB2_749
; %bb.731:                              ;   in Loop: Header=BB2_704 Depth=3
	s_and_saveexec_b32 s27, s3
	s_delay_alu instid0(SALU_CYCLE_1)
	s_xor_b32 s27, exec_lo, s27
	s_cbranch_execz .LBB2_746
; %bb.732:                              ;   in Loop: Header=BB2_704 Depth=3
	s_and_saveexec_b32 s40, s6
	s_cbranch_execz .LBB2_745
; %bb.733:                              ;   in Loop: Header=BB2_704 Depth=3
	s_mov_b32 s60, exec_lo
	s_mov_b32 s41, exec_lo
	v_mbcnt_lo_u32_b32 v2, s60, 0
	global_wb scope:SCOPE_DEV
	s_wait_storecnt 0x0
	s_wait_loadcnt_dscnt 0x0
	global_inv scope:SCOPE_DEV
	v_cmpx_eq_u32_e32 0, v2
	s_cbranch_execz .LBB2_735
; %bb.734:                              ;   in Loop: Header=BB2_704 Depth=3
	s_bcnt1_i32_b32 s60, s60
	s_delay_alu instid0(SALU_CYCLE_1)
	v_mov_b32_e32 v2, s60
	s_wait_loadcnt 0x0
	ds_add_u64 v0, v[2:3]
	s_trap 2
.LBB2_735:                              ;   in Loop: Header=BB2_704 Depth=3
	s_or_b32 exec_lo, exec_lo, s41
	s_trap 2
	ds_load_b64 v[8:9], v0
	s_wait_dscnt 0x0
	v_add_nc_u64_e32 v[12:13], v[12:13], v[32:33]
	s_mov_b32 s41, exec_lo
	s_delay_alu instid0(VALU_DEP_1)
	v_cmpx_lt_u64_e64 v[8:9], v[12:13]
	s_cbranch_execz .LBB2_744
; %bb.736:                              ;   in Loop: Header=BB2_704 Depth=3
	s_mov_b32 s60, 0
	s_mov_b32 s63, 0
                                        ; implicit-def: $sgpr61
                                        ; implicit-def: $sgpr62
	s_branch .LBB2_738
.LBB2_737:                              ;   in Loop: Header=BB2_738 Depth=4
	s_or_b32 exec_lo, exec_lo, s73
	s_delay_alu instid0(SALU_CYCLE_1) | instskip(NEXT) | instid1(SALU_CYCLE_1)
	s_and_b32 s72, exec_lo, s74
	s_or_b32 s60, s72, s60
	s_and_not1_b32 s61, s61, exec_lo
	s_and_b32 s72, s62, exec_lo
	s_delay_alu instid0(SALU_CYCLE_1)
	s_or_b32 s61, s61, s72
	s_and_not1_b32 exec_lo, exec_lo, s60
	s_cbranch_execz .LBB2_742
.LBB2_738:                              ;   Parent Loop BB2_47 Depth=1
                                        ;     Parent Loop BB2_389 Depth=2
                                        ;       Parent Loop BB2_704 Depth=3
                                        ; =>      This Inner Loop Header: Depth=4
	s_add_co_i32 s63, s63, 1
	s_delay_alu instid0(SALU_CYCLE_1) | instskip(SKIP_1) | instid1(SALU_CYCLE_1)
	s_cmp_lg_u32 s63, 0x2710
	s_cselect_b32 s72, -1, 0
	s_and_b32 vcc_lo, exec_lo, s72
	s_cbranch_vccz .LBB2_740
; %bb.739:                              ;   in Loop: Header=BB2_738 Depth=4
	s_mov_b32 s74, -1
	s_or_b32 s62, s62, exec_lo
	s_and_saveexec_b32 s73, s72
	s_cbranch_execz .LBB2_737
	s_branch .LBB2_741
.LBB2_740:                              ;   in Loop: Header=BB2_738 Depth=4
	s_trap 2
	ds_load_b64 v[8:9], v0
	s_and_not1_b32 s72, s72, exec_lo
	s_mov_b32 s63, 0
	s_wait_loadcnt_dscnt 0x0
	flat_load_b32 v2, v[8:9] scope:SCOPE_SYS
	s_wait_loadcnt_dscnt 0x0
	global_inv scope:SCOPE_SYS
	v_cmp_eq_u32_e32 vcc_lo, 0, v2
	s_and_b32 s73, vcc_lo, exec_lo
	s_delay_alu instid0(SALU_CYCLE_1)
	s_or_b32 s72, s72, s73
	s_mov_b32 s74, -1
	s_or_b32 s62, s62, exec_lo
	s_and_saveexec_b32 s73, s72
	s_cbranch_execz .LBB2_737
.LBB2_741:                              ;   in Loop: Header=BB2_738 Depth=4
	s_sleep 1
	s_trap 2
	ds_load_b64 v[8:9], v0
	s_wait_dscnt 0x0
	s_and_not1_b32 s62, s62, exec_lo
	v_cmp_ge_u64_e32 vcc_lo, v[8:9], v[12:13]
	s_or_not1_b32 s74, vcc_lo, exec_lo
	s_branch .LBB2_737
.LBB2_742:                              ;   in Loop: Header=BB2_704 Depth=3
	s_or_b32 exec_lo, exec_lo, s60
	s_and_saveexec_b32 s60, s61
	s_delay_alu instid0(SALU_CYCLE_1)
	s_xor_b32 s60, exec_lo, s60
	s_cbranch_execz .LBB2_744
; %bb.743:                              ;   in Loop: Header=BB2_704 Depth=3
	ds_store_b32 v0, v59
	s_trap 2
.LBB2_744:                              ;   in Loop: Header=BB2_704 Depth=3
	s_or_b32 exec_lo, exec_lo, s41
	;;#ASMSTART
	s_wakeup
	;;#ASMEND
.LBB2_745:                              ;   in Loop: Header=BB2_704 Depth=3
	s_or_b32 exec_lo, exec_lo, s40
.LBB2_746:                              ;   in Loop: Header=BB2_704 Depth=3
	s_and_not1_saveexec_b32 s27, s27
	s_cbranch_execz .LBB2_748
; %bb.747:                              ;   in Loop: Header=BB2_704 Depth=3
	global_wb scope:SCOPE_DEV
	s_wait_storecnt 0x0
	s_wait_loadcnt_dscnt 0x0
	global_inv scope:SCOPE_DEV
	s_barrier_signal -1
	s_barrier_wait -1
.LBB2_748:                              ;   in Loop: Header=BB2_704 Depth=3
	s_or_b32 exec_lo, exec_lo, s27
.LBB2_749:                              ;   in Loop: Header=BB2_704 Depth=3
	s_delay_alu instid0(SALU_CYCLE_1) | instskip(SKIP_1) | instid1(SALU_CYCLE_1)
	s_or_b32 exec_lo, exec_lo, s13
                                        ; implicit-def: $vgpr2
	s_and_saveexec_b32 s13, s47
	s_xor_b32 s13, exec_lo, s13
	s_cbranch_execz .LBB2_761
; %bb.750:                              ;   in Loop: Header=BB2_704 Depth=3
	s_and_saveexec_b32 s27, s3
	s_delay_alu instid0(SALU_CYCLE_1)
	s_xor_b32 s27, exec_lo, s27
	s_cbranch_execz .LBB2_766
; %bb.751:                              ;   in Loop: Header=BB2_704 Depth=3
	s_and_saveexec_b32 s40, s6
	s_cbranch_execz .LBB2_765
; %bb.752:                              ;   in Loop: Header=BB2_704 Depth=3
	s_mov_b32 s60, exec_lo
	s_mov_b32 s41, exec_lo
	v_mbcnt_lo_u32_b32 v2, s60, 0
	;;#ASMSTART
	s_waitcnt lgkmcnt(0) vmcnt(0)
	;;#ASMEND
	s_delay_alu instid0(VALU_DEP_1)
	v_cmpx_eq_u32_e32 0, v2
	s_cbranch_execz .LBB2_754
; %bb.753:                              ;   in Loop: Header=BB2_704 Depth=3
	s_bcnt1_i32_b32 s60, s60
	s_delay_alu instid0(SALU_CYCLE_1)
	v_mov_b32_e32 v2, s60
	s_wait_storecnt 0x0
	s_wait_loadcnt_dscnt 0x0
	ds_add_u64 v0, v[2:3]
	s_trap 2
.LBB2_754:                              ;   in Loop: Header=BB2_704 Depth=3
	s_or_b32 exec_lo, exec_lo, s41
	s_trap 2
	ds_load_b64 v[8:9], v0
	s_wait_dscnt 0x0
	v_add_nc_u64_e32 v[12:13], v[12:13], v[32:33]
	s_mov_b32 s41, exec_lo
	s_delay_alu instid0(VALU_DEP_1)
	v_cmpx_lt_u64_e64 v[8:9], v[12:13]
	s_cbranch_execz .LBB2_764
; %bb.755:                              ;   in Loop: Header=BB2_704 Depth=3
	s_mov_b32 s60, 0
	s_mov_b32 s63, 0
                                        ; implicit-def: $sgpr61
                                        ; implicit-def: $sgpr62
	s_branch .LBB2_757
.LBB2_756:                              ;   in Loop: Header=BB2_757 Depth=4
	s_or_b32 exec_lo, exec_lo, s73
	s_delay_alu instid0(SALU_CYCLE_1) | instskip(NEXT) | instid1(SALU_CYCLE_1)
	s_and_b32 s72, exec_lo, s74
	s_or_b32 s60, s72, s60
	s_and_not1_b32 s61, s61, exec_lo
	s_and_b32 s72, s62, exec_lo
	s_delay_alu instid0(SALU_CYCLE_1)
	s_or_b32 s61, s61, s72
	s_and_not1_b32 exec_lo, exec_lo, s60
	s_cbranch_execz .LBB2_762
.LBB2_757:                              ;   Parent Loop BB2_47 Depth=1
                                        ;     Parent Loop BB2_389 Depth=2
                                        ;       Parent Loop BB2_704 Depth=3
                                        ; =>      This Inner Loop Header: Depth=4
	s_add_co_i32 s63, s63, 1
	s_delay_alu instid0(SALU_CYCLE_1) | instskip(SKIP_1) | instid1(SALU_CYCLE_1)
	s_cmp_lg_u32 s63, 0x2710
	s_cselect_b32 s72, -1, 0
	s_and_b32 vcc_lo, exec_lo, s72
	s_cbranch_vccz .LBB2_759
; %bb.758:                              ;   in Loop: Header=BB2_757 Depth=4
	s_mov_b32 s74, -1
	s_or_b32 s62, s62, exec_lo
	s_and_saveexec_b32 s73, s72
	s_cbranch_execz .LBB2_756
	s_branch .LBB2_760
.LBB2_759:                              ;   in Loop: Header=BB2_757 Depth=4
	s_trap 2
	ds_load_b64 v[8:9], v0
	s_and_not1_b32 s72, s72, exec_lo
	s_mov_b32 s63, 0
	s_wait_storecnt 0x0
	s_wait_loadcnt_dscnt 0x0
	flat_load_b32 v2, v[8:9] scope:SCOPE_SYS
	s_wait_loadcnt_dscnt 0x0
	global_inv scope:SCOPE_SYS
	v_cmp_eq_u32_e32 vcc_lo, 0, v2
	s_and_b32 s73, vcc_lo, exec_lo
	s_delay_alu instid0(SALU_CYCLE_1)
	s_or_b32 s72, s72, s73
	s_mov_b32 s74, -1
	s_or_b32 s62, s62, exec_lo
	s_and_saveexec_b32 s73, s72
	s_cbranch_execz .LBB2_756
.LBB2_760:                              ;   in Loop: Header=BB2_757 Depth=4
	s_sleep 1
	s_trap 2
	ds_load_b64 v[8:9], v0
	s_wait_dscnt 0x0
	s_and_not1_b32 s62, s62, exec_lo
	v_cmp_ge_u64_e32 vcc_lo, v[8:9], v[12:13]
	s_or_not1_b32 s74, vcc_lo, exec_lo
	s_branch .LBB2_756
.LBB2_761:                              ;   in Loop: Header=BB2_704 Depth=3
	s_and_not1_saveexec_b32 s27, s13
	s_cbranch_execnz .LBB2_769
	s_branch .LBB2_772
.LBB2_762:                              ;   in Loop: Header=BB2_704 Depth=3
	s_or_b32 exec_lo, exec_lo, s60
	s_and_saveexec_b32 s60, s61
	s_delay_alu instid0(SALU_CYCLE_1)
	s_xor_b32 s60, exec_lo, s60
	s_cbranch_execz .LBB2_764
; %bb.763:                              ;   in Loop: Header=BB2_704 Depth=3
	ds_store_b32 v0, v59
	s_trap 2
.LBB2_764:                              ;   in Loop: Header=BB2_704 Depth=3
	s_or_b32 exec_lo, exec_lo, s41
	;;#ASMSTART
	s_wakeup
	;;#ASMEND
.LBB2_765:                              ;   in Loop: Header=BB2_704 Depth=3
	s_or_b32 exec_lo, exec_lo, s40
.LBB2_766:                              ;   in Loop: Header=BB2_704 Depth=3
	s_and_not1_saveexec_b32 s27, s27
	s_cbranch_execz .LBB2_768
; %bb.767:                              ;   in Loop: Header=BB2_704 Depth=3
	;;#ASMSTART
	s_waitcnt lgkmcnt(0) vmcnt(0)
	;;#ASMEND
	s_barrier_signal -1
	s_barrier_wait -1
.LBB2_768:                              ;   in Loop: Header=BB2_704 Depth=3
	s_or_b32 exec_lo, exec_lo, s27
	v_and_b32_e32 v2, 16, v30
	s_and_not1_saveexec_b32 s27, s13
	s_cbranch_execz .LBB2_772
.LBB2_769:                              ;   in Loop: Header=BB2_704 Depth=3
	s_trap 2
	ds_load_b32 v2, v0
	v_cmp_lt_i32_e32 vcc_lo, 0, v100
	s_wait_dscnt 0x0
	v_readfirstlane_b32 s13, v2
	v_and_b32_e32 v2, 16, v30
	s_cmp_eq_u32 s13, 0
	s_delay_alu instid0(VALU_DEP_1) | instskip(SKIP_3) | instid1(SALU_CYCLE_1)
	v_cmp_ne_u32_e64 s13, 0, v2
	s_cselect_b32 s40, -1, 0
	v_and_b32_e32 v2, 16, v30
	s_and_b32 s40, vcc_lo, s40
	s_and_b32 s40, s13, s40
	s_delay_alu instid0(SALU_CYCLE_1)
	s_and_saveexec_b32 s13, s40
	s_cbranch_execz .LBB2_771
; %bb.770:                              ;   in Loop: Header=BB2_704 Depth=3
	v_mov_b32_e32 v2, 1
	global_wb scope:SCOPE_SYS
	s_wait_loadcnt 0x0
	s_wait_storecnt 0x0
	global_inv scope:SCOPE_SYS
.LBB2_771:                              ;   in Loop: Header=BB2_704 Depth=3
	s_or_b32 exec_lo, exec_lo, s13
.LBB2_772:                              ;   in Loop: Header=BB2_704 Depth=3
	s_delay_alu instid0(SALU_CYCLE_1) | instskip(NEXT) | instid1(VALU_DEP_1)
	s_or_b32 exec_lo, exec_lo, s27
	v_cmp_ne_u32_e32 vcc_lo, 0, v2
	s_xor_b32 s13, s4, -1
	s_delay_alu instid0(SALU_CYCLE_1) | instskip(NEXT) | instid1(SALU_CYCLE_1)
	s_and_b32 s27, vcc_lo, s13
	s_and_saveexec_b32 s13, s27
	s_cbranch_execz .LBB2_774
; %bb.773:                              ;   in Loop: Header=BB2_704 Depth=3
	global_wb scope:SCOPE_SYS
	s_wait_storecnt 0x0
	s_wait_loadcnt_dscnt 0x0
	flat_store_b32 v[26:27], v59 scope:SCOPE_SYS
.LBB2_774:                              ;   in Loop: Header=BB2_704 Depth=3
	s_wait_xcnt 0x0
	s_or_b32 exec_lo, exec_lo, s13
	v_and_b32_e32 v2, 48, v30
	s_mov_b32 s13, exec_lo
	s_delay_alu instid0(VALU_DEP_1)
	v_cmpx_ne_u32_e32 0, v2
	s_cbranch_execz .LBB2_703
; %bb.775:                              ;   in Loop: Header=BB2_704 Depth=3
	v_add_nc_u64_e32 v[86:87], 2, v[86:87]
	global_wb scope:SCOPE_SYS
	s_wait_storecnt 0x0
	s_wait_loadcnt_dscnt 0x0
	flat_store_b64 v[20:21], v[86:87] scope:SCOPE_SYS
	s_branch .LBB2_703
.LBB2_776:                              ;   in Loop: Header=BB2_47 Depth=1
	v_mul_u64_e32 v[8:9], s[16:17], v[84:85]
	v_mov_b32_e32 v102, 0
	s_delay_alu instid0(VALU_DEP_2) | instskip(NEXT) | instid1(VALU_DEP_1)
	v_sub_nc_u64_e32 v[10:11], v[96:97], v[8:9]
	v_min_i64 v[10:11], v[84:85], v[10:11]
	s_delay_alu instid0(VALU_DEP_1) | instskip(SKIP_1) | instid1(VALU_DEP_2)
	v_max_i32_e32 v62, 0, v10
	v_cmp_lt_i32_e32 vcc_lo, 0, v10
	v_add_nc_u32_e32 v2, 31, v62
	s_and_b32 s13, s57, vcc_lo
	s_delay_alu instid0(VALU_DEP_1) | instskip(NEXT) | instid1(VALU_DEP_1)
	v_lshrrev_b32_e32 v2, 1, v2
	v_and_b32_e32 v11, 0x3ffffff0, v2
	s_delay_alu instid0(VALU_DEP_1)
	v_dual_mov_b32 v2, 0 :: v_dual_max_i32 v100, s45, v11
	s_and_saveexec_b32 s18, s13
	s_cbranch_execz .LBB2_1291
; %bb.777:                              ;   in Loop: Header=BB2_47 Depth=1
	v_add_nc_u64_e32 v[8:9], v[8:9], v[98:99]
	v_mov_b32_e32 v102, 0
	s_mov_b32 s61, 1
	s_mov_b32 s60, -1
	s_mov_b32 s27, 0
	s_delay_alu instid0(VALU_DEP_2)
	v_lshlrev_b64_e32 v[112:113], 1, v[8:9]
	s_branch .LBB2_779
.LBB2_778:                              ;   in Loop: Header=BB2_779 Depth=2
	s_wait_xcnt 0x0
	s_or_b32 exec_lo, exec_lo, s13
	v_dual_add_nc_u32 v102, v100, v102 :: v_dual_mov_b32 v2, s61
	s_xor_b32 s13, s60, -1
	s_mov_b32 s60, 0
	s_mov_b32 s61, 2
	s_delay_alu instid0(VALU_DEP_1) | instskip(SKIP_1) | instid1(SALU_CYCLE_1)
	v_cmp_ge_i32_e32 vcc_lo, v102, v62
	s_or_b32 s13, s13, vcc_lo
	s_and_b32 s13, exec_lo, s13
	s_delay_alu instid0(SALU_CYCLE_1) | instskip(NEXT) | instid1(SALU_CYCLE_1)
	s_or_b32 s27, s13, s27
	s_and_not1_b32 exec_lo, exec_lo, s27
	s_cbranch_execz .LBB2_1290
.LBB2_779:                              ;   Parent Loop BB2_47 Depth=1
                                        ; =>  This Loop Header: Depth=2
                                        ;       Child Loop BB2_787 Depth 3
                                        ;       Child Loop BB2_815 Depth 3
	;; [unrolled: 1-line block ×4, first 2 shown]
                                        ;         Child Loop BB2_922 Depth 4
                                        ;       Child Loop BB2_928 Depth 3
                                        ;         Child Loop BB2_993 Depth 4
                                        ;       Child Loop BB2_1001 Depth 3
                                        ;       Child Loop BB2_1037 Depth 3
                                        ;         Child Loop BB2_1046 Depth 4
                                        ;       Child Loop BB2_1059 Depth 3
                                        ;       Child Loop BB2_1128 Depth 3
	;; [unrolled: 1-line block ×6, first 2 shown]
	s_and_saveexec_b32 s13, s0
	s_cbranch_execz .LBB2_781
; %bb.780:                              ;   in Loop: Header=BB2_779 Depth=2
	s_trap 2
	ds_load_b64 v[114:115], v0
	ds_load_2addr_b64 v[8:11], v0 offset1:1
	s_wait_dscnt 0x1
	v_cmp_ne_u64_e32 vcc_lo, 0, v[114:115]
	v_ashrrev_i32_e32 v103, 31, v102
	v_add_nc_u64_e32 v[118:119], v[114:115], v[112:113]
	s_wait_dscnt 0x0
	v_add_nc_u64_e32 v[8:9], v[8:9], v[112:113]
	v_add_nc_u64_e32 v[10:11], v[10:11], v[112:113]
	v_lshlrev_b64_e32 v[116:117], 1, v[102:103]
	s_delay_alu instid0(VALU_DEP_1) | instskip(NEXT) | instid1(VALU_DEP_4)
	v_add_nc_u64_e32 v[118:119], v[118:119], v[116:117]
	v_add_nc_u64_e32 v[8:9], v[8:9], v[116:117]
	s_delay_alu instid0(VALU_DEP_4) | instskip(NEXT) | instid1(VALU_DEP_3)
	v_add_nc_u64_e32 v[10:11], v[10:11], v[116:117]
	v_dual_cndmask_b32 v115, 0, v119 :: v_dual_cndmask_b32 v114, 0, v118
	ds_store_b64 v0, v[8:9]
	ds_store_b64 v0, v[10:11]
	;; [unrolled: 1-line block ×3, first 2 shown]
.LBB2_781:                              ;   in Loop: Header=BB2_779 Depth=2
	s_or_b32 exec_lo, exec_lo, s13
	v_sub_nc_u32_e32 v2, v62, v102
	v_and_b32_e32 v8, 12, v30
	s_mov_b32 s14, exec_lo
	s_delay_alu instid0(VALU_DEP_2) | instskip(NEXT) | instid1(VALU_DEP_2)
	v_min_i32_e32 v100, v100, v2
	v_cmpx_ne_u32_e32 0, v8
	s_cbranch_execz .LBB2_807
; %bb.782:                              ;   in Loop: Header=BB2_779 Depth=2
	v_and_b32_e32 v2, 8, v30
	v_add_nc_u64_e32 v[8:9], 2, v[86:87]
	s_mov_b32 s15, exec_lo
	s_wait_loadcnt_dscnt 0x1
	s_delay_alu instid0(VALU_DEP_2) | instskip(NEXT) | instid1(VALU_DEP_1)
	v_add_nc_u64_e32 v[10:11], v[28:29], v[2:3]
	v_cmpx_lt_u64_e64 v[10:11], v[8:9]
	s_cbranch_execz .LBB2_794
; %bb.783:                              ;   in Loop: Header=BB2_779 Depth=2
	v_and_b32_e32 v10, 64, v30
	s_mov_b32 s40, 0
	s_mov_b32 s72, 0
                                        ; implicit-def: $sgpr41
                                        ; implicit-def: $sgpr62
                                        ; implicit-def: $sgpr63
	s_delay_alu instid0(VALU_DEP_1)
	v_cmp_eq_u32_e32 vcc_lo, 0, v10
	s_branch .LBB2_787
.LBB2_784:                              ;   in Loop: Header=BB2_787 Depth=3
	s_wait_loadcnt_dscnt 0x0
	v_add_nc_u64_e32 v[114:115], v[28:29], v[2:3]
	s_or_b32 s75, s75, exec_lo
	s_delay_alu instid0(VALU_DEP_1)
	v_cmp_ge_u64_e64 s13, v[114:115], v[8:9]
	s_or_not1_b32 s74, s13, exec_lo
.LBB2_785:                              ;   in Loop: Header=BB2_787 Depth=3
	s_or_b32 exec_lo, exec_lo, s77
	s_delay_alu instid0(SALU_CYCLE_1)
	s_and_not1_b32 s13, s63, exec_lo
	s_and_b32 s63, s75, exec_lo
	s_and_not1_b32 s62, s62, exec_lo
	s_and_b32 s74, s74, exec_lo
	s_or_b32 s63, s13, s63
	s_or_b32 s62, s62, s74
.LBB2_786:                              ;   in Loop: Header=BB2_787 Depth=3
	s_or_b32 exec_lo, exec_lo, s73
	s_delay_alu instid0(SALU_CYCLE_1) | instskip(NEXT) | instid1(SALU_CYCLE_1)
	s_and_b32 s13, exec_lo, s62
	s_or_b32 s40, s13, s40
	s_and_not1_b32 s13, s41, exec_lo
	s_and_b32 s41, s63, exec_lo
	s_delay_alu instid0(SALU_CYCLE_1)
	s_or_b32 s41, s13, s41
	s_and_not1_b32 exec_lo, exec_lo, s40
	s_cbranch_execz .LBB2_791
.LBB2_787:                              ;   Parent Loop BB2_47 Depth=1
                                        ;     Parent Loop BB2_779 Depth=2
                                        ; =>    This Inner Loop Header: Depth=3
	s_sleep 1
	s_wait_loadcnt_dscnt 0x0
	flat_load_b64 v[28:29], v[20:21] scope:SCOPE_SYS
	s_or_b32 s63, s63, exec_lo
	s_or_b32 s62, s62, exec_lo
                                        ; implicit-def: $vgpr10
	s_wait_xcnt 0x0
	s_and_saveexec_b32 s73, vcc_lo
	s_cbranch_execz .LBB2_786
; %bb.788:                              ;   in Loop: Header=BB2_787 Depth=3
	s_cmp_lt_i32 s72, 0x270f
	s_mov_b32 s74, -1
	s_cselect_b32 s76, -1, 0
	s_cmp_gt_i32 s72, 0x270e
	s_cbranch_scc0 .LBB2_790
; %bb.789:                              ;   in Loop: Header=BB2_787 Depth=3
	s_trap 2
	ds_load_b64 v[10:11], v0
	s_and_not1_b32 s72, s76, exec_lo
	s_mov_b32 s75, 0
	s_wait_storecnt 0x0
	s_wait_loadcnt_dscnt 0x0
	flat_load_b32 v10, v[10:11] scope:SCOPE_SYS
	s_wait_loadcnt_dscnt 0x0
	global_inv scope:SCOPE_SYS
	v_cmp_eq_u32_e64 s13, 0, v10
	s_and_b32 s13, s13, exec_lo
	s_delay_alu instid0(SALU_CYCLE_1)
	s_or_b32 s76, s72, s13
	s_mov_b32 s72, 0
	s_and_saveexec_b32 s77, s76
	s_cbranch_execz .LBB2_785
	s_branch .LBB2_784
.LBB2_790:                              ;   in Loop: Header=BB2_787 Depth=3
	s_add_co_i32 s72, s72, 1
	s_mov_b32 s75, -1
                                        ; implicit-def: $vgpr10
	s_and_saveexec_b32 s77, s76
	s_cbranch_execz .LBB2_785
	s_branch .LBB2_784
.LBB2_791:                              ;   in Loop: Header=BB2_779 Depth=2
	s_or_b32 exec_lo, exec_lo, s40
	s_xor_b32 s13, s41, -1
	s_delay_alu instid0(SALU_CYCLE_1) | instskip(NEXT) | instid1(SALU_CYCLE_1)
	s_and_saveexec_b32 s40, s13
	s_xor_b32 s13, exec_lo, s40
	s_cbranch_execz .LBB2_793
; %bb.792:                              ;   in Loop: Header=BB2_779 Depth=2
	v_or_b32_e32 v30, 64, v30
	s_wait_storecnt 0x0
	s_wait_loadcnt_dscnt 0x0
	ds_store_b32 v0, v10
	s_trap 2
.LBB2_793:                              ;   in Loop: Header=BB2_779 Depth=2
	s_or_b32 exec_lo, exec_lo, s13
.LBB2_794:                              ;   in Loop: Header=BB2_779 Depth=2
	s_delay_alu instid0(SALU_CYCLE_1) | instskip(SKIP_2) | instid1(VALU_DEP_1)
	s_or_b32 exec_lo, exec_lo, s15
	v_and_b32_e32 v10, 0x108, v30
	;;#ASMSTART
	s_wakeup
	;;#ASMEND
	v_cmp_ne_u32_e32 vcc_lo, 0x108, v10
                                        ; implicit-def: $vgpr10_vgpr11
	s_and_saveexec_b32 s13, vcc_lo
	s_delay_alu instid0(SALU_CYCLE_1)
	s_xor_b32 s13, exec_lo, s13
; %bb.795:                              ;   in Loop: Header=BB2_779 Depth=2
	v_dual_mov_b32 v11, v3 :: v_dual_bitop2_b32 v10, 7, v86 bitop3:0x40
                                        ; implicit-def: $vgpr86_vgpr87
; %bb.796:                              ;   in Loop: Header=BB2_779 Depth=2
	s_and_not1_saveexec_b32 s13, s13
	s_cbranch_execz .LBB2_798
; %bb.797:                              ;   in Loop: Header=BB2_779 Depth=2
	v_dual_ashrrev_i32 v101, 31, v100 :: v_dual_bitop2_b32 v10, 7, v86 bitop3:0x40
	v_mov_b32_e32 v11, v3
	s_delay_alu instid0(VALU_DEP_2) | instskip(NEXT) | instid1(VALU_DEP_3)
	v_mad_nc_u64_u32 v[86:87], v10, 24, v[6:7]
	v_lshlrev_b64_e32 v[114:115], 1, v[100:101]
	flat_store_b64 v[86:87], v[114:115] offset:8
.LBB2_798:                              ;   in Loop: Header=BB2_779 Depth=2
	s_wait_xcnt 0x0
	s_or_b32 exec_lo, exec_lo, s13
	v_and_b32_e32 v86, 0x100, v30
	s_mov_b32 s13, -1
	s_delay_alu instid0(VALU_DEP_1)
	v_cmp_ne_u32_e32 vcc_lo, 0, v86
                                        ; implicit-def: $vgpr86_vgpr87
	s_and_saveexec_b32 s15, vcc_lo
	s_cbranch_execz .LBB2_802
; %bb.799:                              ;   in Loop: Header=BB2_779 Depth=2
	v_mad_nc_u64_u32 v[114:115], v10, 24, v[6:7]
	s_delay_alu instid0(VALU_DEP_1)
	v_mad_u32 v115, v11, 24, v115
	flat_load_b32 v86, v[114:115]
	s_wait_loadcnt_dscnt 0x0
	v_cmp_eq_u32_e64 s13, 1, v86
	v_cmp_ne_u32_e32 vcc_lo, 1, v86
                                        ; implicit-def: $vgpr86_vgpr87
	s_wait_xcnt 0x0
	s_and_saveexec_b32 s40, s13
	s_cbranch_execz .LBB2_801
; %bb.800:                              ;   in Loop: Header=BB2_779 Depth=2
	flat_load_b32 v86, v[114:115] offset:4 scope:SCOPE_SYS
	s_wait_loadcnt_dscnt 0x0
	v_ashrrev_i32_e32 v87, 31, v86
	s_delay_alu instid0(VALU_DEP_1)
	v_lshrrev_b64 v[86:87], 1, v[86:87]
.LBB2_801:                              ;   in Loop: Header=BB2_779 Depth=2
	s_wait_xcnt 0x0
	s_or_b32 exec_lo, exec_lo, s40
	s_delay_alu instid0(SALU_CYCLE_1)
	s_or_not1_b32 s13, vcc_lo, exec_lo
.LBB2_802:                              ;   in Loop: Header=BB2_779 Depth=2
	s_or_b32 exec_lo, exec_lo, s15
	s_and_saveexec_b32 s15, s13
; %bb.803:                              ;   in Loop: Header=BB2_779 Depth=2
	v_mul_u64_e32 v[86:87], v[10:11], v[22:23]
; %bb.804:                              ;   in Loop: Header=BB2_779 Depth=2
	s_or_b32 exec_lo, exec_lo, s15
	v_cmp_eq_u32_e32 vcc_lo, 0, v2
	v_and_b32_e32 v101, 0x2000, v30
	s_delay_alu instid0(VALU_DEP_3) | instskip(SKIP_2) | instid1(VALU_DEP_1)
	v_lshl_add_u64 v[10:11], v[86:87], 1, v[24:25]
	s_mov_b32 s13, exec_lo
	v_cndmask_b32_e32 v2, 0xd0, v60, vcc_lo
	v_add_nc_u32_e32 v2, v0, v2
	ds_store_b64 v2, v[10:11] offset:584
	v_cmpx_ne_u32_e32 0, v101
	s_cbranch_execz .LBB2_806
; %bb.805:                              ;   in Loop: Header=BB2_779 Depth=2
	ds_load_b64 v[10:11], v0 offset:872
	s_wait_dscnt 0x0
	v_add_nc_u64_e32 v[10:11], 1, v[10:11]
	ds_store_b64 v0, v[10:11] offset:872
.LBB2_806:                              ;   in Loop: Header=BB2_779 Depth=2
	s_or_b32 exec_lo, exec_lo, s13
	v_mov_b64_e32 v[86:87], v[8:9]
.LBB2_807:                              ;   in Loop: Header=BB2_779 Depth=2
	s_or_b32 exec_lo, exec_lo, s14
	s_and_saveexec_b32 s13, s2
	s_cbranch_execz .LBB2_826
; %bb.808:                              ;   in Loop: Header=BB2_779 Depth=2
	s_and_saveexec_b32 s14, s3
	s_delay_alu instid0(SALU_CYCLE_1)
	s_xor_b32 s14, exec_lo, s14
	s_cbranch_execz .LBB2_823
; %bb.809:                              ;   in Loop: Header=BB2_779 Depth=2
	s_and_saveexec_b32 s15, s6
	s_cbranch_execz .LBB2_822
; %bb.810:                              ;   in Loop: Header=BB2_779 Depth=2
	s_mov_b32 s41, exec_lo
	s_mov_b32 s40, exec_lo
	v_mbcnt_lo_u32_b32 v2, s41, 0
	global_wb scope:SCOPE_DEV
	s_wait_storecnt 0x0
	s_wait_loadcnt_dscnt 0x0
	global_inv scope:SCOPE_DEV
	v_cmpx_eq_u32_e32 0, v2
	s_cbranch_execz .LBB2_812
; %bb.811:                              ;   in Loop: Header=BB2_779 Depth=2
	s_bcnt1_i32_b32 s41, s41
	s_delay_alu instid0(SALU_CYCLE_1)
	v_mov_b32_e32 v2, s41
	s_wait_loadcnt 0x0
	ds_add_u64 v0, v[2:3]
	s_trap 2
.LBB2_812:                              ;   in Loop: Header=BB2_779 Depth=2
	s_or_b32 exec_lo, exec_lo, s40
	s_trap 2
	ds_load_b64 v[8:9], v0
	s_wait_dscnt 0x0
	v_add_nc_u64_e32 v[12:13], v[12:13], v[32:33]
	s_mov_b32 s40, exec_lo
	s_delay_alu instid0(VALU_DEP_1)
	v_cmpx_lt_u64_e64 v[8:9], v[12:13]
	s_cbranch_execz .LBB2_821
; %bb.813:                              ;   in Loop: Header=BB2_779 Depth=2
	s_mov_b32 s41, 0
	s_mov_b32 s72, 0
                                        ; implicit-def: $sgpr62
                                        ; implicit-def: $sgpr63
	s_branch .LBB2_815
.LBB2_814:                              ;   in Loop: Header=BB2_815 Depth=3
	s_or_b32 exec_lo, exec_lo, s74
	s_delay_alu instid0(SALU_CYCLE_1) | instskip(NEXT) | instid1(SALU_CYCLE_1)
	s_and_b32 s73, exec_lo, s75
	s_or_b32 s41, s73, s41
	s_and_not1_b32 s62, s62, exec_lo
	s_and_b32 s73, s63, exec_lo
	s_delay_alu instid0(SALU_CYCLE_1)
	s_or_b32 s62, s62, s73
	s_and_not1_b32 exec_lo, exec_lo, s41
	s_cbranch_execz .LBB2_819
.LBB2_815:                              ;   Parent Loop BB2_47 Depth=1
                                        ;     Parent Loop BB2_779 Depth=2
                                        ; =>    This Inner Loop Header: Depth=3
	s_add_co_i32 s72, s72, 1
	s_delay_alu instid0(SALU_CYCLE_1) | instskip(SKIP_1) | instid1(SALU_CYCLE_1)
	s_cmp_lg_u32 s72, 0x2710
	s_cselect_b32 s73, -1, 0
	s_and_b32 vcc_lo, exec_lo, s73
	s_cbranch_vccz .LBB2_817
; %bb.816:                              ;   in Loop: Header=BB2_815 Depth=3
	s_mov_b32 s75, -1
	s_or_b32 s63, s63, exec_lo
	s_and_saveexec_b32 s74, s73
	s_cbranch_execz .LBB2_814
	s_branch .LBB2_818
.LBB2_817:                              ;   in Loop: Header=BB2_815 Depth=3
	s_trap 2
	ds_load_b64 v[8:9], v0
	s_and_not1_b32 s73, s73, exec_lo
	s_mov_b32 s72, 0
	s_wait_loadcnt_dscnt 0x0
	flat_load_b32 v2, v[8:9] scope:SCOPE_SYS
	s_wait_loadcnt_dscnt 0x0
	global_inv scope:SCOPE_SYS
	v_cmp_eq_u32_e32 vcc_lo, 0, v2
	s_and_b32 s74, vcc_lo, exec_lo
	s_delay_alu instid0(SALU_CYCLE_1)
	s_or_b32 s73, s73, s74
	s_mov_b32 s75, -1
	s_or_b32 s63, s63, exec_lo
	s_and_saveexec_b32 s74, s73
	s_cbranch_execz .LBB2_814
.LBB2_818:                              ;   in Loop: Header=BB2_815 Depth=3
	s_sleep 1
	s_trap 2
	ds_load_b64 v[8:9], v0
	s_wait_dscnt 0x0
	s_and_not1_b32 s63, s63, exec_lo
	v_cmp_ge_u64_e32 vcc_lo, v[8:9], v[12:13]
	s_or_not1_b32 s75, vcc_lo, exec_lo
	s_branch .LBB2_814
.LBB2_819:                              ;   in Loop: Header=BB2_779 Depth=2
	s_or_b32 exec_lo, exec_lo, s41
	s_and_saveexec_b32 s41, s62
	s_delay_alu instid0(SALU_CYCLE_1)
	s_xor_b32 s41, exec_lo, s41
	s_cbranch_execz .LBB2_821
; %bb.820:                              ;   in Loop: Header=BB2_779 Depth=2
	ds_store_b32 v0, v59
	s_trap 2
.LBB2_821:                              ;   in Loop: Header=BB2_779 Depth=2
	s_or_b32 exec_lo, exec_lo, s40
	;;#ASMSTART
	s_wakeup
	;;#ASMEND
.LBB2_822:                              ;   in Loop: Header=BB2_779 Depth=2
	s_or_b32 exec_lo, exec_lo, s15
.LBB2_823:                              ;   in Loop: Header=BB2_779 Depth=2
	s_and_not1_saveexec_b32 s14, s14
	s_cbranch_execz .LBB2_825
; %bb.824:                              ;   in Loop: Header=BB2_779 Depth=2
	global_wb scope:SCOPE_DEV
	s_wait_storecnt 0x0
	s_wait_loadcnt_dscnt 0x0
	global_inv scope:SCOPE_DEV
	s_barrier_signal -1
	s_barrier_wait -1
.LBB2_825:                              ;   in Loop: Header=BB2_779 Depth=2
	s_or_b32 exec_lo, exec_lo, s14
.LBB2_826:                              ;   in Loop: Header=BB2_779 Depth=2
	s_delay_alu instid0(SALU_CYCLE_1) | instskip(SKIP_4) | instid1(VALU_DEP_1)
	s_or_b32 exec_lo, exec_lo, s13
	s_trap 2
	ds_load_b32 v8, v0
	v_and_b32_e32 v2, 0x4000, v30
	s_xor_b32 s13, s1, -1
	v_cmp_ne_u32_e32 vcc_lo, 0, v2
	s_and_b32 s14, s13, vcc_lo
	s_delay_alu instid0(SALU_CYCLE_1)
	s_and_saveexec_b32 s13, s14
	s_cbranch_execz .LBB2_845
; %bb.827:                              ;   in Loop: Header=BB2_779 Depth=2
	s_and_saveexec_b32 s14, s3
	s_delay_alu instid0(SALU_CYCLE_1)
	s_xor_b32 s14, exec_lo, s14
	s_cbranch_execz .LBB2_842
; %bb.828:                              ;   in Loop: Header=BB2_779 Depth=2
	s_and_saveexec_b32 s15, s6
	s_cbranch_execz .LBB2_841
; %bb.829:                              ;   in Loop: Header=BB2_779 Depth=2
	s_mov_b32 s41, exec_lo
	s_mov_b32 s40, exec_lo
	v_mbcnt_lo_u32_b32 v2, s41, 0
	global_wb scope:SCOPE_DEV
	s_wait_storecnt 0x0
	s_wait_loadcnt_dscnt 0x0
	global_inv scope:SCOPE_DEV
	v_cmpx_eq_u32_e32 0, v2
	s_cbranch_execz .LBB2_831
; %bb.830:                              ;   in Loop: Header=BB2_779 Depth=2
	s_bcnt1_i32_b32 s41, s41
	s_delay_alu instid0(SALU_CYCLE_1)
	v_mov_b32_e32 v2, s41
	s_wait_loadcnt 0x0
	ds_add_u64 v0, v[2:3]
	s_trap 2
.LBB2_831:                              ;   in Loop: Header=BB2_779 Depth=2
	s_or_b32 exec_lo, exec_lo, s40
	s_trap 2
	ds_load_b64 v[10:11], v0
	s_wait_dscnt 0x0
	v_add_nc_u64_e32 v[12:13], v[12:13], v[32:33]
	s_mov_b32 s40, exec_lo
	s_delay_alu instid0(VALU_DEP_1)
	v_cmpx_lt_u64_e64 v[10:11], v[12:13]
	s_cbranch_execz .LBB2_840
; %bb.832:                              ;   in Loop: Header=BB2_779 Depth=2
	s_mov_b32 s41, 0
	s_mov_b32 s72, 0
                                        ; implicit-def: $sgpr62
                                        ; implicit-def: $sgpr63
	s_branch .LBB2_834
.LBB2_833:                              ;   in Loop: Header=BB2_834 Depth=3
	s_or_b32 exec_lo, exec_lo, s74
	s_delay_alu instid0(SALU_CYCLE_1) | instskip(NEXT) | instid1(SALU_CYCLE_1)
	s_and_b32 s73, exec_lo, s75
	s_or_b32 s41, s73, s41
	s_and_not1_b32 s62, s62, exec_lo
	s_and_b32 s73, s63, exec_lo
	s_delay_alu instid0(SALU_CYCLE_1)
	s_or_b32 s62, s62, s73
	s_and_not1_b32 exec_lo, exec_lo, s41
	s_cbranch_execz .LBB2_838
.LBB2_834:                              ;   Parent Loop BB2_47 Depth=1
                                        ;     Parent Loop BB2_779 Depth=2
                                        ; =>    This Inner Loop Header: Depth=3
	s_add_co_i32 s72, s72, 1
	s_delay_alu instid0(SALU_CYCLE_1) | instskip(SKIP_1) | instid1(SALU_CYCLE_1)
	s_cmp_lg_u32 s72, 0x2710
	s_cselect_b32 s73, -1, 0
	s_and_b32 vcc_lo, exec_lo, s73
	s_cbranch_vccz .LBB2_836
; %bb.835:                              ;   in Loop: Header=BB2_834 Depth=3
	s_mov_b32 s75, -1
	s_or_b32 s63, s63, exec_lo
	s_and_saveexec_b32 s74, s73
	s_cbranch_execz .LBB2_833
	s_branch .LBB2_837
.LBB2_836:                              ;   in Loop: Header=BB2_834 Depth=3
	s_trap 2
	ds_load_b64 v[10:11], v0
	s_and_not1_b32 s73, s73, exec_lo
	s_mov_b32 s72, 0
	s_wait_loadcnt_dscnt 0x0
	flat_load_b32 v2, v[10:11] scope:SCOPE_SYS
	s_wait_loadcnt_dscnt 0x0
	global_inv scope:SCOPE_SYS
	v_cmp_eq_u32_e32 vcc_lo, 0, v2
	s_and_b32 s74, vcc_lo, exec_lo
	s_delay_alu instid0(SALU_CYCLE_1)
	s_or_b32 s73, s73, s74
	s_mov_b32 s75, -1
	s_or_b32 s63, s63, exec_lo
	s_and_saveexec_b32 s74, s73
	s_cbranch_execz .LBB2_833
.LBB2_837:                              ;   in Loop: Header=BB2_834 Depth=3
	s_sleep 1
	s_trap 2
	ds_load_b64 v[10:11], v0
	s_wait_dscnt 0x0
	s_and_not1_b32 s63, s63, exec_lo
	v_cmp_ge_u64_e32 vcc_lo, v[10:11], v[12:13]
	s_or_not1_b32 s75, vcc_lo, exec_lo
	s_branch .LBB2_833
.LBB2_838:                              ;   in Loop: Header=BB2_779 Depth=2
	s_or_b32 exec_lo, exec_lo, s41
	s_and_saveexec_b32 s41, s62
	s_delay_alu instid0(SALU_CYCLE_1)
	s_xor_b32 s41, exec_lo, s41
	s_cbranch_execz .LBB2_840
; %bb.839:                              ;   in Loop: Header=BB2_779 Depth=2
	ds_store_b32 v0, v59
	s_trap 2
.LBB2_840:                              ;   in Loop: Header=BB2_779 Depth=2
	s_or_b32 exec_lo, exec_lo, s40
	;;#ASMSTART
	s_wakeup
	;;#ASMEND
.LBB2_841:                              ;   in Loop: Header=BB2_779 Depth=2
	s_or_b32 exec_lo, exec_lo, s15
.LBB2_842:                              ;   in Loop: Header=BB2_779 Depth=2
	s_and_not1_saveexec_b32 s14, s14
	s_cbranch_execz .LBB2_844
; %bb.843:                              ;   in Loop: Header=BB2_779 Depth=2
	global_wb scope:SCOPE_DEV
	s_wait_storecnt 0x0
	s_wait_loadcnt_dscnt 0x0
	global_inv scope:SCOPE_DEV
	s_barrier_signal -1
	s_barrier_wait -1
.LBB2_844:                              ;   in Loop: Header=BB2_779 Depth=2
	s_or_b32 exec_lo, exec_lo, s14
.LBB2_845:                              ;   in Loop: Header=BB2_779 Depth=2
	s_delay_alu instid0(SALU_CYCLE_1)
	s_or_b32 exec_lo, exec_lo, s13
	s_trap 2
	ds_load_b64 v[114:115], v0
	s_wait_dscnt 0x0
	v_cmp_eq_u64_e32 vcc_lo, 0, v[114:115]
	s_cbranch_vccnz .LBB2_854
; %bb.846:                              ;   in Loop: Header=BB2_779 Depth=2
	s_trap 2
	ds_load_b64 v[116:117], v0
	s_wait_dscnt 0x0
	v_cmp_eq_u64_e32 vcc_lo, 0, v[116:117]
	s_cbranch_vccnz .LBB2_854
; %bb.847:                              ;   in Loop: Header=BB2_779 Depth=2
	s_trap 2
	ds_load_b64 v[118:119], v0
	v_cmp_eq_u32_e32 vcc_lo, 0, v8
	s_mov_b32 s13, -1
	v_cndmask_b32_e32 v2, 0, v100, vcc_lo
	s_delay_alu instid0(VALU_DEP_1)
	v_lshlrev_b32_e32 v101, 1, v2
	s_wait_dscnt 0x0
	v_cmp_ne_u64_e32 vcc_lo, 0, v[118:119]
	s_cbranch_vccz .LBB2_1049
; %bb.848:                              ;   in Loop: Header=BB2_779 Depth=2
	s_and_saveexec_b32 s14, s11
	s_cbranch_execz .LBB2_850
; %bb.849:                              ;   in Loop: Header=BB2_779 Depth=2
	ds_load_b32 v8, v0 offset:720
	s_wait_dscnt 0x0
	v_and_b32_e32 v8, 15, v8
	s_delay_alu instid0(VALU_DEP_1)
	v_cmp_eq_u32_e32 vcc_lo, 0, v8
	s_or_not1_b32 s13, vcc_lo, exec_lo
.LBB2_850:                              ;   in Loop: Header=BB2_779 Depth=2
	s_or_b32 exec_lo, exec_lo, s14
	s_and_saveexec_b32 s14, s11
	s_cbranch_execz .LBB2_852
; %bb.851:                              ;   in Loop: Header=BB2_779 Depth=2
	ds_load_b32 v8, v0 offset:784
	s_wait_dscnt 0x0
	v_and_b32_e32 v8, 15, v8
	s_delay_alu instid0(VALU_DEP_1) | instskip(SKIP_3) | instid1(SALU_CYCLE_1)
	v_cmp_eq_u32_e32 vcc_lo, 0, v8
	s_and_b32 s15, s13, vcc_lo
	s_and_not1_b32 s13, s13, exec_lo
	s_and_b32 s15, s15, exec_lo
	s_or_b32 s13, s13, s15
.LBB2_852:                              ;   in Loop: Header=BB2_779 Depth=2
	s_or_b32 exec_lo, exec_lo, s14
	s_xor_b32 s13, s13, -1
	v_dual_mov_b32 v44, 0 :: v_dual_mov_b32 v45, v101
	v_cndmask_b32_e64 v8, 0, 1, s13
	v_mov_b32_e32 v46, v0
	s_mov_b32 s14, -1
	s_delay_alu instid0(VALU_DEP_2)
	v_cmp_ne_u32_e32 vcc_lo, 0, v8
	s_cbranch_vccz .LBB2_855
; %bb.853:                              ;   in Loop: Header=BB2_779 Depth=2
	s_and_saveexec_b32 s15, s14
	s_cbranch_execnz .LBB2_998
	s_branch .LBB2_1048
.LBB2_854:                              ;   in Loop: Header=BB2_779 Depth=2
	s_mov_b32 s13, 0
	s_and_saveexec_b32 s14, s2
	s_cbranch_execnz .LBB2_1245
	s_branch .LBB2_1263
.LBB2_855:                              ;   in Loop: Header=BB2_779 Depth=2
	v_ashrrev_i32_e32 v8, 31, v101
	s_mov_b32 s62, exec_lo
	v_sub_nc_u32_e32 v63, v101, v36
	s_delay_alu instid0(VALU_DEP_2) | instskip(NEXT) | instid1(VALU_DEP_1)
	v_lshrrev_b32_e32 v8, 23, v8
	v_add_nc_u32_e32 v8, v101, v8
	s_delay_alu instid0(VALU_DEP_1) | instskip(NEXT) | instid1(VALU_DEP_1)
	v_and_b32_e32 v103, 0xfffffe00, v8
	v_dual_ashrrev_i32 v8, 9, v8 :: v_dual_sub_nc_u32 v72, v101, v103
	s_delay_alu instid0(VALU_DEP_1) | instskip(NEXT) | instid1(VALU_DEP_2)
	v_sub_nc_u32_e32 v8, v8, v58
	v_cmp_lt_i32_e64 s13, 15, v72
	s_delay_alu instid0(VALU_DEP_1)
	v_add_co_ci_u32_e64 v73, null, 0, v8, s13
	v_cmpx_lt_i32_e32 15, v63
	s_cbranch_execz .LBB2_925
; %bb.856:                              ;   in Loop: Header=BB2_779 Depth=2
	s_trap 2
	ds_load_b64 v[8:9], v0
	ds_load_b32 v10, v0
	v_add_nc_u64_e32 v[40:41], v[116:117], v[36:37]
	v_add_nc_u64_e32 v[42:43], v[118:119], v[36:37]
	;; [unrolled: 1-line block ×3, first 2 shown]
	s_mov_b32 s63, 0
	s_wait_dscnt 0x1
	v_add_nc_u64_e32 v[46:47], v[8:9], v[36:37]
	s_wait_dscnt 0x0
	v_lshlrev_b32_e32 v74, 16, v10
.LBB2_857:                              ;   Parent Loop BB2_47 Depth=1
                                        ;     Parent Loop BB2_779 Depth=2
                                        ; =>    This Loop Header: Depth=3
                                        ;         Child Loop BB2_922 Depth 4
	global_load_b128 v[8:11], v[44:45], off th:TH_LOAD_NT
	s_wait_loadcnt 0x0
	v_lshlrev_b32_e32 v75, 16, v8
	s_delay_alu instid0(VALU_DEP_1) | instskip(NEXT) | instid1(VALU_DEP_1)
	v_mul_f32_e32 v75, v74, v75
	v_and_b32_e32 v76, 0x7f800000, v75
	s_delay_alu instid0(VALU_DEP_1) | instskip(SKIP_2) | instid1(SALU_CYCLE_1)
	v_cmp_ne_u32_e32 vcc_lo, 0x7f800000, v76
                                        ; implicit-def: $vgpr76
	s_wait_xcnt 0x0
	s_and_saveexec_b32 s14, vcc_lo
	s_xor_b32 s14, exec_lo, s14
; %bb.858:                              ;   in Loop: Header=BB2_857 Depth=3
	v_bfe_u32 v76, v75, 16, 1
	s_delay_alu instid0(VALU_DEP_1)
	v_add3_u32 v76, v75, v76, 0x7fff
                                        ; implicit-def: $vgpr75
; %bb.859:                              ;   in Loop: Header=BB2_857 Depth=3
	s_and_not1_saveexec_b32 s14, s14
; %bb.860:                              ;   in Loop: Header=BB2_857 Depth=3
	v_and_b32_e32 v76, 0xffff, v75
	v_or_b32_e32 v77, 0x10000, v75
	s_delay_alu instid0(VALU_DEP_2) | instskip(NEXT) | instid1(VALU_DEP_2)
	v_cmp_eq_u32_e32 vcc_lo, 0, v76
	v_cndmask_b32_e32 v76, v77, v75, vcc_lo
; %bb.861:                              ;   in Loop: Header=BB2_857 Depth=3
	s_or_b32 exec_lo, exec_lo, s14
	v_and_b32_e32 v8, 0xffff0000, v8
	s_mov_b32 s14, exec_lo
                                        ; implicit-def: $vgpr90
	s_delay_alu instid0(VALU_DEP_1) | instskip(NEXT) | instid1(VALU_DEP_1)
	v_mul_f32_e32 v8, v74, v8
	v_and_b32_e32 v75, 0x7f800000, v8
	s_delay_alu instid0(VALU_DEP_1)
	v_cmpx_ne_u32_e32 0x7f800000, v75
	s_xor_b32 s14, exec_lo, s14
; %bb.862:                              ;   in Loop: Header=BB2_857 Depth=3
	v_bfe_u32 v75, v8, 16, 1
	s_delay_alu instid0(VALU_DEP_1)
	v_add3_u32 v90, v8, v75, 0x7fff
                                        ; implicit-def: $vgpr8
; %bb.863:                              ;   in Loop: Header=BB2_857 Depth=3
	s_and_not1_saveexec_b32 s14, s14
; %bb.864:                              ;   in Loop: Header=BB2_857 Depth=3
	v_and_b32_e32 v75, 0xffff, v8
	v_or_b32_e32 v77, 0x10000, v8
	s_delay_alu instid0(VALU_DEP_2) | instskip(NEXT) | instid1(VALU_DEP_2)
	v_cmp_eq_u32_e32 vcc_lo, 0, v75
	v_cndmask_b32_e32 v90, v77, v8, vcc_lo
; %bb.865:                              ;   in Loop: Header=BB2_857 Depth=3
	s_or_b32 exec_lo, exec_lo, s14
	v_lshlrev_b32_e32 v8, 16, v9
	s_mov_b32 s14, exec_lo
                                        ; implicit-def: $vgpr89
	s_delay_alu instid0(VALU_DEP_1) | instskip(NEXT) | instid1(VALU_DEP_1)
	v_mul_f32_e32 v8, v74, v8
	v_and_b32_e32 v75, 0x7f800000, v8
	s_delay_alu instid0(VALU_DEP_1)
	v_cmpx_ne_u32_e32 0x7f800000, v75
	s_xor_b32 s14, exec_lo, s14
; %bb.866:                              ;   in Loop: Header=BB2_857 Depth=3
	v_bfe_u32 v75, v8, 16, 1
	s_delay_alu instid0(VALU_DEP_1)
	v_add3_u32 v89, v8, v75, 0x7fff
                                        ; implicit-def: $vgpr8
; %bb.867:                              ;   in Loop: Header=BB2_857 Depth=3
	s_and_not1_saveexec_b32 s14, s14
; %bb.868:                              ;   in Loop: Header=BB2_857 Depth=3
	v_and_b32_e32 v75, 0xffff, v8
	v_or_b32_e32 v77, 0x10000, v8
	s_delay_alu instid0(VALU_DEP_2) | instskip(NEXT) | instid1(VALU_DEP_2)
	v_cmp_eq_u32_e32 vcc_lo, 0, v75
	v_cndmask_b32_e32 v89, v77, v8, vcc_lo
; %bb.869:                              ;   in Loop: Header=BB2_857 Depth=3
	s_or_b32 exec_lo, exec_lo, s14
	v_and_b32_e32 v8, 0xffff0000, v9
	s_mov_b32 s14, exec_lo
                                        ; implicit-def: $vgpr88
	s_delay_alu instid0(VALU_DEP_1) | instskip(NEXT) | instid1(VALU_DEP_1)
	v_mul_f32_e32 v8, v74, v8
	v_and_b32_e32 v9, 0x7f800000, v8
	s_delay_alu instid0(VALU_DEP_1)
	v_cmpx_ne_u32_e32 0x7f800000, v9
	s_xor_b32 s14, exec_lo, s14
; %bb.870:                              ;   in Loop: Header=BB2_857 Depth=3
	v_bfe_u32 v9, v8, 16, 1
	s_delay_alu instid0(VALU_DEP_1)
	v_add3_u32 v88, v8, v9, 0x7fff
                                        ; implicit-def: $vgpr8
; %bb.871:                              ;   in Loop: Header=BB2_857 Depth=3
	s_and_not1_saveexec_b32 s14, s14
; %bb.872:                              ;   in Loop: Header=BB2_857 Depth=3
	v_and_b32_e32 v9, 0xffff, v8
	v_or_b32_e32 v75, 0x10000, v8
	s_delay_alu instid0(VALU_DEP_2) | instskip(NEXT) | instid1(VALU_DEP_2)
	v_cmp_eq_u32_e32 vcc_lo, 0, v9
	v_cndmask_b32_e32 v88, v75, v8, vcc_lo
; %bb.873:                              ;   in Loop: Header=BB2_857 Depth=3
	s_or_b32 exec_lo, exec_lo, s14
	v_lshlrev_b32_e32 v8, 16, v10
	s_mov_b32 s14, exec_lo
                                        ; implicit-def: $vgpr79
	s_delay_alu instid0(VALU_DEP_1) | instskip(NEXT) | instid1(VALU_DEP_1)
	v_mul_f32_e32 v8, v74, v8
	v_and_b32_e32 v9, 0x7f800000, v8
	s_delay_alu instid0(VALU_DEP_1)
	v_cmpx_ne_u32_e32 0x7f800000, v9
	s_xor_b32 s14, exec_lo, s14
; %bb.874:                              ;   in Loop: Header=BB2_857 Depth=3
	v_bfe_u32 v9, v8, 16, 1
	s_delay_alu instid0(VALU_DEP_1)
	v_add3_u32 v79, v8, v9, 0x7fff
                                        ; implicit-def: $vgpr8
; %bb.875:                              ;   in Loop: Header=BB2_857 Depth=3
	s_and_not1_saveexec_b32 s14, s14
; %bb.876:                              ;   in Loop: Header=BB2_857 Depth=3
	v_and_b32_e32 v9, 0xffff, v8
	v_or_b32_e32 v75, 0x10000, v8
	s_delay_alu instid0(VALU_DEP_2) | instskip(NEXT) | instid1(VALU_DEP_2)
	v_cmp_eq_u32_e32 vcc_lo, 0, v9
	v_cndmask_b32_e32 v79, v75, v8, vcc_lo
; %bb.877:                              ;   in Loop: Header=BB2_857 Depth=3
	s_or_b32 exec_lo, exec_lo, s14
	v_and_b32_e32 v8, 0xffff0000, v10
	s_mov_b32 s14, exec_lo
                                        ; implicit-def: $vgpr78
	s_delay_alu instid0(VALU_DEP_1) | instskip(NEXT) | instid1(VALU_DEP_1)
	v_mul_f32_e32 v8, v74, v8
	v_and_b32_e32 v9, 0x7f800000, v8
	s_delay_alu instid0(VALU_DEP_1)
	v_cmpx_ne_u32_e32 0x7f800000, v9
	s_xor_b32 s14, exec_lo, s14
; %bb.878:                              ;   in Loop: Header=BB2_857 Depth=3
	v_bfe_u32 v9, v8, 16, 1
	s_delay_alu instid0(VALU_DEP_1)
	v_add3_u32 v78, v8, v9, 0x7fff
                                        ; implicit-def: $vgpr8
; %bb.879:                              ;   in Loop: Header=BB2_857 Depth=3
	s_and_not1_saveexec_b32 s14, s14
; %bb.880:                              ;   in Loop: Header=BB2_857 Depth=3
	v_and_b32_e32 v9, 0xffff, v8
	v_or_b32_e32 v10, 0x10000, v8
	s_delay_alu instid0(VALU_DEP_2) | instskip(NEXT) | instid1(VALU_DEP_2)
	v_cmp_eq_u32_e32 vcc_lo, 0, v9
	v_cndmask_b32_e32 v78, v10, v8, vcc_lo
; %bb.881:                              ;   in Loop: Header=BB2_857 Depth=3
	s_or_b32 exec_lo, exec_lo, s14
	v_lshlrev_b32_e32 v8, 16, v11
	s_mov_b32 s14, exec_lo
                                        ; implicit-def: $vgpr77
	s_delay_alu instid0(VALU_DEP_1) | instskip(NEXT) | instid1(VALU_DEP_1)
	v_mul_f32_e32 v8, v74, v8
	v_and_b32_e32 v9, 0x7f800000, v8
	s_delay_alu instid0(VALU_DEP_1)
	v_cmpx_ne_u32_e32 0x7f800000, v9
	s_xor_b32 s14, exec_lo, s14
; %bb.882:                              ;   in Loop: Header=BB2_857 Depth=3
	v_bfe_u32 v9, v8, 16, 1
	s_delay_alu instid0(VALU_DEP_1)
	v_add3_u32 v77, v8, v9, 0x7fff
                                        ; implicit-def: $vgpr8
; %bb.883:                              ;   in Loop: Header=BB2_857 Depth=3
	s_and_not1_saveexec_b32 s14, s14
; %bb.884:                              ;   in Loop: Header=BB2_857 Depth=3
	v_and_b32_e32 v9, 0xffff, v8
	v_or_b32_e32 v10, 0x10000, v8
	s_delay_alu instid0(VALU_DEP_2) | instskip(NEXT) | instid1(VALU_DEP_2)
	v_cmp_eq_u32_e32 vcc_lo, 0, v9
	v_cndmask_b32_e32 v77, v10, v8, vcc_lo
; %bb.885:                              ;   in Loop: Header=BB2_857 Depth=3
	s_or_b32 exec_lo, exec_lo, s14
	v_and_b32_e32 v8, 0xffff0000, v11
	s_mov_b32 s14, exec_lo
                                        ; implicit-def: $vgpr75
	s_delay_alu instid0(VALU_DEP_1) | instskip(NEXT) | instid1(VALU_DEP_1)
	v_mul_f32_e32 v8, v74, v8
	v_and_b32_e32 v9, 0x7f800000, v8
	s_delay_alu instid0(VALU_DEP_1)
	v_cmpx_ne_u32_e32 0x7f800000, v9
	s_xor_b32 s14, exec_lo, s14
; %bb.886:                              ;   in Loop: Header=BB2_857 Depth=3
	v_bfe_u32 v9, v8, 16, 1
	s_delay_alu instid0(VALU_DEP_1)
	v_add3_u32 v75, v8, v9, 0x7fff
                                        ; implicit-def: $vgpr8
; %bb.887:                              ;   in Loop: Header=BB2_857 Depth=3
	s_and_not1_saveexec_b32 s14, s14
; %bb.888:                              ;   in Loop: Header=BB2_857 Depth=3
	v_and_b32_e32 v9, 0xffff, v8
	v_or_b32_e32 v10, 0x10000, v8
	s_delay_alu instid0(VALU_DEP_2) | instskip(NEXT) | instid1(VALU_DEP_2)
	v_cmp_eq_u32_e32 vcc_lo, 0, v9
	v_cndmask_b32_e32 v75, v10, v8, vcc_lo
; %bb.889:                              ;   in Loop: Header=BB2_857 Depth=3
	s_or_b32 exec_lo, exec_lo, s14
	global_load_b128 v[8:11], v[46:47], off th:TH_LOAD_NT
	v_and_b32_e32 v76, 0xffff0000, v76
	s_wait_loadcnt 0x0
	v_lshlrev_b32_e32 v91, 16, v8
	s_delay_alu instid0(VALU_DEP_1) | instskip(NEXT) | instid1(VALU_DEP_1)
	v_add_f32_e32 v91, v76, v91
	v_and_b32_e32 v76, 0x7f800000, v91
	s_delay_alu instid0(VALU_DEP_1) | instskip(SKIP_2) | instid1(SALU_CYCLE_1)
	v_cmp_ne_u32_e32 vcc_lo, 0x7f800000, v76
                                        ; implicit-def: $vgpr76
	s_wait_xcnt 0x0
	s_and_saveexec_b32 s14, vcc_lo
	s_xor_b32 s14, exec_lo, s14
; %bb.890:                              ;   in Loop: Header=BB2_857 Depth=3
	v_bfe_u32 v76, v91, 16, 1
	s_delay_alu instid0(VALU_DEP_1)
	v_add3_u32 v76, v91, v76, 0x7fff
                                        ; implicit-def: $vgpr91
; %bb.891:                              ;   in Loop: Header=BB2_857 Depth=3
	s_and_not1_saveexec_b32 s14, s14
; %bb.892:                              ;   in Loop: Header=BB2_857 Depth=3
	v_and_b32_e32 v76, 0xffff, v91
	v_or_b32_e32 v92, 0x10000, v91
	s_delay_alu instid0(VALU_DEP_2) | instskip(NEXT) | instid1(VALU_DEP_2)
	v_cmp_eq_u32_e32 vcc_lo, 0, v76
	v_cndmask_b32_e32 v76, v92, v91, vcc_lo
; %bb.893:                              ;   in Loop: Header=BB2_857 Depth=3
	s_or_b32 exec_lo, exec_lo, s14
	v_and_b32_e32 v90, 0xffff0000, v90
	v_and_b32_e32 v8, 0xffff0000, v8
	s_delay_alu instid0(VALU_DEP_1) | instskip(NEXT) | instid1(VALU_DEP_1)
	v_add_f32_e32 v90, v90, v8
	v_and_b32_e32 v8, 0x7f800000, v90
	s_delay_alu instid0(VALU_DEP_1) | instskip(SKIP_1) | instid1(SALU_CYCLE_1)
	v_cmp_ne_u32_e32 vcc_lo, 0x7f800000, v8
                                        ; implicit-def: $vgpr8
	s_and_saveexec_b32 s14, vcc_lo
	s_xor_b32 s14, exec_lo, s14
; %bb.894:                              ;   in Loop: Header=BB2_857 Depth=3
	v_bfe_u32 v8, v90, 16, 1
	s_delay_alu instid0(VALU_DEP_1)
	v_add3_u32 v8, v90, v8, 0x7fff
                                        ; implicit-def: $vgpr90
; %bb.895:                              ;   in Loop: Header=BB2_857 Depth=3
	s_and_not1_saveexec_b32 s14, s14
; %bb.896:                              ;   in Loop: Header=BB2_857 Depth=3
	v_and_b32_e32 v8, 0xffff, v90
	v_or_b32_e32 v91, 0x10000, v90
	s_delay_alu instid0(VALU_DEP_2) | instskip(NEXT) | instid1(VALU_DEP_2)
	v_cmp_eq_u32_e32 vcc_lo, 0, v8
	v_cndmask_b32_e32 v8, v91, v90, vcc_lo
; %bb.897:                              ;   in Loop: Header=BB2_857 Depth=3
	s_or_b32 exec_lo, exec_lo, s14
	v_and_b32_e32 v89, 0xffff0000, v89
	v_lshlrev_b32_e32 v90, 16, v9
	s_delay_alu instid0(VALU_DEP_1) | instskip(NEXT) | instid1(VALU_DEP_1)
	v_add_f32_e32 v90, v89, v90
	v_and_b32_e32 v89, 0x7f800000, v90
	s_delay_alu instid0(VALU_DEP_1) | instskip(SKIP_1) | instid1(SALU_CYCLE_1)
	v_cmp_ne_u32_e32 vcc_lo, 0x7f800000, v89
                                        ; implicit-def: $vgpr89
	s_and_saveexec_b32 s14, vcc_lo
	s_xor_b32 s14, exec_lo, s14
; %bb.898:                              ;   in Loop: Header=BB2_857 Depth=3
	v_bfe_u32 v89, v90, 16, 1
	s_delay_alu instid0(VALU_DEP_1)
	v_add3_u32 v89, v90, v89, 0x7fff
                                        ; implicit-def: $vgpr90
; %bb.899:                              ;   in Loop: Header=BB2_857 Depth=3
	s_and_not1_saveexec_b32 s14, s14
; %bb.900:                              ;   in Loop: Header=BB2_857 Depth=3
	v_and_b32_e32 v89, 0xffff, v90
	v_or_b32_e32 v91, 0x10000, v90
	s_delay_alu instid0(VALU_DEP_2) | instskip(NEXT) | instid1(VALU_DEP_2)
	v_cmp_eq_u32_e32 vcc_lo, 0, v89
	v_cndmask_b32_e32 v89, v91, v90, vcc_lo
; %bb.901:                              ;   in Loop: Header=BB2_857 Depth=3
	s_or_b32 exec_lo, exec_lo, s14
	v_and_b32_e32 v88, 0xffff0000, v88
	v_and_b32_e32 v9, 0xffff0000, v9
	s_delay_alu instid0(VALU_DEP_1) | instskip(NEXT) | instid1(VALU_DEP_1)
	v_add_f32_e32 v88, v88, v9
	v_and_b32_e32 v9, 0x7f800000, v88
	s_delay_alu instid0(VALU_DEP_1) | instskip(SKIP_1) | instid1(SALU_CYCLE_1)
	v_cmp_ne_u32_e32 vcc_lo, 0x7f800000, v9
                                        ; implicit-def: $vgpr9
	s_and_saveexec_b32 s14, vcc_lo
	s_xor_b32 s14, exec_lo, s14
; %bb.902:                              ;   in Loop: Header=BB2_857 Depth=3
	v_bfe_u32 v9, v88, 16, 1
	s_delay_alu instid0(VALU_DEP_1)
	v_add3_u32 v9, v88, v9, 0x7fff
                                        ; implicit-def: $vgpr88
; %bb.903:                              ;   in Loop: Header=BB2_857 Depth=3
	s_and_not1_saveexec_b32 s14, s14
; %bb.904:                              ;   in Loop: Header=BB2_857 Depth=3
	v_and_b32_e32 v9, 0xffff, v88
	v_or_b32_e32 v90, 0x10000, v88
	s_delay_alu instid0(VALU_DEP_2) | instskip(NEXT) | instid1(VALU_DEP_2)
	v_cmp_eq_u32_e32 vcc_lo, 0, v9
	v_cndmask_b32_e32 v9, v90, v88, vcc_lo
; %bb.905:                              ;   in Loop: Header=BB2_857 Depth=3
	s_or_b32 exec_lo, exec_lo, s14
	v_and_b32_e32 v79, 0xffff0000, v79
	v_lshlrev_b32_e32 v88, 16, v10
	s_delay_alu instid0(VALU_DEP_1) | instskip(NEXT) | instid1(VALU_DEP_1)
	v_add_f32_e32 v88, v79, v88
	v_and_b32_e32 v79, 0x7f800000, v88
	s_delay_alu instid0(VALU_DEP_1) | instskip(SKIP_1) | instid1(SALU_CYCLE_1)
	v_cmp_ne_u32_e32 vcc_lo, 0x7f800000, v79
                                        ; implicit-def: $vgpr79
	s_and_saveexec_b32 s14, vcc_lo
	s_xor_b32 s14, exec_lo, s14
; %bb.906:                              ;   in Loop: Header=BB2_857 Depth=3
	v_bfe_u32 v79, v88, 16, 1
	s_delay_alu instid0(VALU_DEP_1)
	v_add3_u32 v79, v88, v79, 0x7fff
                                        ; implicit-def: $vgpr88
; %bb.907:                              ;   in Loop: Header=BB2_857 Depth=3
	s_and_not1_saveexec_b32 s14, s14
; %bb.908:                              ;   in Loop: Header=BB2_857 Depth=3
	v_and_b32_e32 v79, 0xffff, v88
	v_or_b32_e32 v90, 0x10000, v88
	s_delay_alu instid0(VALU_DEP_2) | instskip(NEXT) | instid1(VALU_DEP_2)
	v_cmp_eq_u32_e32 vcc_lo, 0, v79
	v_cndmask_b32_e32 v79, v90, v88, vcc_lo
; %bb.909:                              ;   in Loop: Header=BB2_857 Depth=3
	s_or_b32 exec_lo, exec_lo, s14
	v_and_b32_e32 v78, 0xffff0000, v78
	v_and_b32_e32 v10, 0xffff0000, v10
	s_delay_alu instid0(VALU_DEP_1) | instskip(NEXT) | instid1(VALU_DEP_1)
	v_add_f32_e32 v78, v78, v10
	v_and_b32_e32 v10, 0x7f800000, v78
	s_delay_alu instid0(VALU_DEP_1) | instskip(SKIP_1) | instid1(SALU_CYCLE_1)
	v_cmp_ne_u32_e32 vcc_lo, 0x7f800000, v10
                                        ; implicit-def: $vgpr10
	s_and_saveexec_b32 s14, vcc_lo
	s_xor_b32 s14, exec_lo, s14
; %bb.910:                              ;   in Loop: Header=BB2_857 Depth=3
	v_bfe_u32 v10, v78, 16, 1
	s_delay_alu instid0(VALU_DEP_1)
	v_add3_u32 v10, v78, v10, 0x7fff
                                        ; implicit-def: $vgpr78
; %bb.911:                              ;   in Loop: Header=BB2_857 Depth=3
	s_and_not1_saveexec_b32 s14, s14
; %bb.912:                              ;   in Loop: Header=BB2_857 Depth=3
	v_and_b32_e32 v10, 0xffff, v78
	v_or_b32_e32 v88, 0x10000, v78
	s_delay_alu instid0(VALU_DEP_2) | instskip(NEXT) | instid1(VALU_DEP_2)
	v_cmp_eq_u32_e32 vcc_lo, 0, v10
	v_cndmask_b32_e32 v10, v88, v78, vcc_lo
; %bb.913:                              ;   in Loop: Header=BB2_857 Depth=3
	s_or_b32 exec_lo, exec_lo, s14
	v_and_b32_e32 v77, 0xffff0000, v77
	v_lshlrev_b32_e32 v78, 16, v11
	s_delay_alu instid0(VALU_DEP_1) | instskip(NEXT) | instid1(VALU_DEP_1)
	v_add_f32_e32 v78, v77, v78
	v_and_b32_e32 v77, 0x7f800000, v78
	s_delay_alu instid0(VALU_DEP_1) | instskip(SKIP_1) | instid1(SALU_CYCLE_1)
	v_cmp_ne_u32_e32 vcc_lo, 0x7f800000, v77
                                        ; implicit-def: $vgpr77
	s_and_saveexec_b32 s14, vcc_lo
	s_xor_b32 s14, exec_lo, s14
; %bb.914:                              ;   in Loop: Header=BB2_857 Depth=3
	v_bfe_u32 v77, v78, 16, 1
	s_delay_alu instid0(VALU_DEP_1)
	v_add3_u32 v77, v78, v77, 0x7fff
                                        ; implicit-def: $vgpr78
; %bb.915:                              ;   in Loop: Header=BB2_857 Depth=3
	s_and_not1_saveexec_b32 s14, s14
; %bb.916:                              ;   in Loop: Header=BB2_857 Depth=3
	v_and_b32_e32 v77, 0xffff, v78
	v_or_b32_e32 v88, 0x10000, v78
	s_delay_alu instid0(VALU_DEP_2) | instskip(NEXT) | instid1(VALU_DEP_2)
	v_cmp_eq_u32_e32 vcc_lo, 0, v77
	v_cndmask_b32_e32 v77, v88, v78, vcc_lo
; %bb.917:                              ;   in Loop: Header=BB2_857 Depth=3
	s_or_b32 exec_lo, exec_lo, s14
	v_and_b32_e32 v75, 0xffff0000, v75
	v_and_b32_e32 v11, 0xffff0000, v11
	s_delay_alu instid0(VALU_DEP_1) | instskip(NEXT) | instid1(VALU_DEP_1)
	v_add_f32_e32 v75, v75, v11
	v_and_b32_e32 v11, 0x7f800000, v75
	s_delay_alu instid0(VALU_DEP_1) | instskip(SKIP_1) | instid1(SALU_CYCLE_1)
	v_cmp_ne_u32_e32 vcc_lo, 0x7f800000, v11
                                        ; implicit-def: $vgpr11
	s_and_saveexec_b32 s14, vcc_lo
	s_xor_b32 s14, exec_lo, s14
; %bb.918:                              ;   in Loop: Header=BB2_857 Depth=3
	v_bfe_u32 v11, v75, 16, 1
	s_delay_alu instid0(VALU_DEP_1)
	v_add3_u32 v11, v75, v11, 0x7fff
                                        ; implicit-def: $vgpr75
; %bb.919:                              ;   in Loop: Header=BB2_857 Depth=3
	s_and_not1_saveexec_b32 s14, s14
; %bb.920:                              ;   in Loop: Header=BB2_857 Depth=3
	v_and_b32_e32 v11, 0xffff, v75
	v_or_b32_e32 v78, 0x10000, v75
	s_delay_alu instid0(VALU_DEP_2) | instskip(NEXT) | instid1(VALU_DEP_2)
	v_cmp_eq_u32_e32 vcc_lo, 0, v11
	v_cndmask_b32_e32 v11, v78, v75, vcc_lo
; %bb.921:                              ;   in Loop: Header=BB2_857 Depth=3
	s_or_b32 exec_lo, exec_lo, s14
	v_dual_lshrrev_b32 v75, 16, v89 :: v_dual_lshrrev_b32 v76, 16, v76
	v_dual_lshrrev_b32 v78, 16, v79 :: v_dual_lshrrev_b32 v77, 16, v77
	s_mov_b64 s[40:41], 0
	s_delay_alu instid0(VALU_DEP_2) | instskip(NEXT) | instid1(VALU_DEP_3)
	v_and_or_b32 v9, 0xffff0000, v9, v75
	v_and_or_b32 v8, 0xffff0000, v8, v76
	s_delay_alu instid0(VALU_DEP_3)
	v_and_or_b32 v10, 0xffff0000, v10, v78
	v_and_or_b32 v11, 0xffff0000, v11, v77
	s_mov_b32 s72, -1
.LBB2_922:                              ;   Parent Loop BB2_47 Depth=1
                                        ;     Parent Loop BB2_779 Depth=2
                                        ;       Parent Loop BB2_857 Depth=3
                                        ; =>      This Inner Loop Header: Depth=4
	s_cmp_eq_u32 s40, 1
	s_cselect_b32 vcc_lo, -1, 0
	s_cmp_eq_u32 s40, 0
	s_wait_xcnt 0x0
	v_dual_cndmask_b32 v77, v41, v43 :: v_dual_cndmask_b32 v76, v40, v42
	s_cselect_b32 s14, -1, 0
	s_and_b32 s15, exec_lo, s72
	s_mov_b64 s[40:41], 1
	s_mov_b32 s72, 0
	v_add_nc_u64_e32 v[78:79], 0x200, v[76:77]
	global_store_b128 v[76:77], v[8:11], off th:TH_STORE_NT
	v_dual_cndmask_b32 v43, v43, v79 :: v_dual_cndmask_b32 v42, v42, v78
	v_dual_cndmask_b32 v41, v41, v79, s14 :: v_dual_cndmask_b32 v40, v40, v78, s14
	s_mov_b32 vcc_lo, s15
	s_cbranch_vccnz .LBB2_922
; %bb.923:                              ;   in Loop: Header=BB2_857 Depth=3
	v_sub_nc_u32_e32 v63, v63, v52
	v_add_nc_u64_e32 v[44:45], v[44:45], v[80:81]
	v_add_nc_u64_e32 v[46:47], v[46:47], v[80:81]
	;; [unrolled: 1-line block ×4, first 2 shown]
	v_cmp_gt_i32_e32 vcc_lo, 16, v63
	v_sub_nc_u32_e32 v73, v73, v32
	s_or_b32 s63, vcc_lo, s63
	s_wait_xcnt 0x0
	s_and_not1_b32 exec_lo, exec_lo, s63
	s_cbranch_execnz .LBB2_857
; %bb.924:                              ;   in Loop: Header=BB2_779 Depth=2
	s_or_b32 exec_lo, exec_lo, s63
.LBB2_925:                              ;   in Loop: Header=BB2_779 Depth=2
	s_delay_alu instid0(SALU_CYCLE_1) | instskip(SKIP_3) | instid1(VALU_DEP_1)
	s_or_b32 exec_lo, exec_lo, s62
	v_dual_mov_b32 v44, 0 :: v_dual_bitop2_b32 v8, 14, v101 bitop3:0x40
	s_mov_b32 s14, 0
	s_mov_b32 s62, exec_lo
                                        ; implicit-def: $vgpr45
                                        ; implicit-def: $vgpr46
	v_cndmask_b32_e64 v63, v72, v8, s13
	s_delay_alu instid0(VALU_DEP_1)
	v_cmpx_ne_u32_e32 0, v63
	s_cbranch_execz .LBB2_997
; %bb.926:                              ;   in Loop: Header=BB2_779 Depth=2
	v_cmp_lt_i32_e32 vcc_lo, 0, v73
	s_mov_b32 s63, exec_lo
	v_dual_ashrrev_i32 v11, 31, v63 :: v_dual_cndmask_b32 v9, 0, v32, vcc_lo
	s_delay_alu instid0(VALU_DEP_1) | instskip(NEXT) | instid1(VALU_DEP_1)
	v_dual_lshrrev_b32 v11, 23, v11 :: v_dual_sub_nc_u32 v9, v9, v73
	v_add_nc_u32_e32 v11, v63, v11
	s_delay_alu instid0(VALU_DEP_2) | instskip(NEXT) | instid1(VALU_DEP_2)
	v_lshl_or_b32 v9, v9, 5, v57
	v_and_b32_e32 v74, 0xfffffe00, v11
	s_delay_alu instid0(VALU_DEP_2) | instskip(NEXT) | instid1(VALU_DEP_1)
	v_dual_ashrrev_i32 v11, 9, v11 :: v_dual_ashrrev_i32 v10, 31, v9
	v_lshrrev_b32_e32 v10, 27, v10
	s_delay_alu instid0(VALU_DEP_1) | instskip(NEXT) | instid1(VALU_DEP_1)
	v_add_nc_u32_e32 v10, v9, v10
	v_and_b32_e32 v40, 0xffffffe0, v10
	s_delay_alu instid0(VALU_DEP_1) | instskip(SKIP_1) | instid1(VALU_DEP_2)
	v_dual_sub_nc_u32 v73, v9, v40 :: v_dual_ashrrev_i32 v9, 5, v10
	v_dual_sub_nc_u32 v40, v72, v8 :: v_dual_sub_nc_u32 v72, v63, v74
	v_lshlrev_b32_e32 v10, 4, v73
	s_delay_alu instid0(VALU_DEP_1) | instskip(NEXT) | instid1(VALU_DEP_3)
	v_lshl_add_u32 v8, v9, 9, v10
	v_cndmask_b32_e64 v10, 0, v40, s13
	s_delay_alu instid0(VALU_DEP_4) | instskip(NEXT) | instid1(VALU_DEP_1)
	v_cmp_lt_i32_e64 s13, 15, v72
	v_add_co_ci_u32_e64 v11, null, 0, v11, s13
	s_delay_alu instid0(VALU_DEP_1) | instskip(NEXT) | instid1(VALU_DEP_4)
	v_sub_nc_u32_e32 v75, v11, v9
	v_dual_sub_nc_u32 v76, v63, v8 :: v_dual_add_nc_u32 v103, v10, v103
	s_delay_alu instid0(VALU_DEP_1)
	v_cmpx_lt_i32_e32 15, v76
	s_cbranch_execz .LBB2_996
; %bb.927:                              ;   in Loop: Header=BB2_779 Depth=2
	s_trap 2
	ds_load_b64 v[10:11], v0
	ds_load_b32 v77, v0
	v_add_nc_u32_e32 v8, v8, v103
	s_mov_b32 s72, 0
	s_wait_dscnt 0x0
	s_delay_alu instid0(VALU_DEP_1) | instskip(NEXT) | instid1(VALU_DEP_1)
	v_dual_lshlrev_b32 v77, 16, v77 :: v_dual_ashrrev_i32 v9, 31, v8
	v_add_nc_u64_e32 v[40:41], v[8:9], v[116:117]
	v_add_nc_u64_e32 v[42:43], v[8:9], v[118:119]
	;; [unrolled: 1-line block ×4, first 2 shown]
.LBB2_928:                              ;   Parent Loop BB2_47 Depth=1
                                        ;     Parent Loop BB2_779 Depth=2
                                        ; =>    This Loop Header: Depth=3
                                        ;         Child Loop BB2_993 Depth 4
	global_load_b128 v[8:11], v[44:45], off th:TH_LOAD_NT
	s_wait_loadcnt 0x0
	v_lshlrev_b32_e32 v78, 16, v8
	s_delay_alu instid0(VALU_DEP_1) | instskip(NEXT) | instid1(VALU_DEP_1)
	v_mul_f32_e32 v78, v77, v78
	v_and_b32_e32 v79, 0x7f800000, v78
	s_delay_alu instid0(VALU_DEP_1) | instskip(SKIP_2) | instid1(SALU_CYCLE_1)
	v_cmp_ne_u32_e32 vcc_lo, 0x7f800000, v79
                                        ; implicit-def: $vgpr79
	s_wait_xcnt 0x0
	s_and_saveexec_b32 s14, vcc_lo
	s_xor_b32 s14, exec_lo, s14
; %bb.929:                              ;   in Loop: Header=BB2_928 Depth=3
	v_bfe_u32 v79, v78, 16, 1
	s_delay_alu instid0(VALU_DEP_1)
	v_add3_u32 v79, v78, v79, 0x7fff
                                        ; implicit-def: $vgpr78
; %bb.930:                              ;   in Loop: Header=BB2_928 Depth=3
	s_and_not1_saveexec_b32 s14, s14
; %bb.931:                              ;   in Loop: Header=BB2_928 Depth=3
	v_and_b32_e32 v79, 0xffff, v78
	v_or_b32_e32 v88, 0x10000, v78
	s_delay_alu instid0(VALU_DEP_2) | instskip(NEXT) | instid1(VALU_DEP_2)
	v_cmp_eq_u32_e32 vcc_lo, 0, v79
	v_cndmask_b32_e32 v79, v88, v78, vcc_lo
; %bb.932:                              ;   in Loop: Header=BB2_928 Depth=3
	s_or_b32 exec_lo, exec_lo, s14
	v_and_b32_e32 v8, 0xffff0000, v8
	s_mov_b32 s14, exec_lo
                                        ; implicit-def: $vgpr93
	s_delay_alu instid0(VALU_DEP_1) | instskip(NEXT) | instid1(VALU_DEP_1)
	v_mul_f32_e32 v8, v77, v8
	v_and_b32_e32 v78, 0x7f800000, v8
	s_delay_alu instid0(VALU_DEP_1)
	v_cmpx_ne_u32_e32 0x7f800000, v78
	s_xor_b32 s14, exec_lo, s14
; %bb.933:                              ;   in Loop: Header=BB2_928 Depth=3
	v_bfe_u32 v78, v8, 16, 1
	s_delay_alu instid0(VALU_DEP_1)
	v_add3_u32 v93, v8, v78, 0x7fff
                                        ; implicit-def: $vgpr8
; %bb.934:                              ;   in Loop: Header=BB2_928 Depth=3
	s_and_not1_saveexec_b32 s14, s14
; %bb.935:                              ;   in Loop: Header=BB2_928 Depth=3
	v_and_b32_e32 v78, 0xffff, v8
	v_or_b32_e32 v88, 0x10000, v8
	s_delay_alu instid0(VALU_DEP_2) | instskip(NEXT) | instid1(VALU_DEP_2)
	v_cmp_eq_u32_e32 vcc_lo, 0, v78
	v_cndmask_b32_e32 v93, v88, v8, vcc_lo
; %bb.936:                              ;   in Loop: Header=BB2_928 Depth=3
	s_or_b32 exec_lo, exec_lo, s14
	v_lshlrev_b32_e32 v8, 16, v9
	s_mov_b32 s14, exec_lo
                                        ; implicit-def: $vgpr92
	s_delay_alu instid0(VALU_DEP_1) | instskip(NEXT) | instid1(VALU_DEP_1)
	v_mul_f32_e32 v8, v77, v8
	v_and_b32_e32 v78, 0x7f800000, v8
	s_delay_alu instid0(VALU_DEP_1)
	v_cmpx_ne_u32_e32 0x7f800000, v78
	s_xor_b32 s14, exec_lo, s14
; %bb.937:                              ;   in Loop: Header=BB2_928 Depth=3
	v_bfe_u32 v78, v8, 16, 1
	s_delay_alu instid0(VALU_DEP_1)
	v_add3_u32 v92, v8, v78, 0x7fff
                                        ; implicit-def: $vgpr8
; %bb.938:                              ;   in Loop: Header=BB2_928 Depth=3
	s_and_not1_saveexec_b32 s14, s14
; %bb.939:                              ;   in Loop: Header=BB2_928 Depth=3
	v_and_b32_e32 v78, 0xffff, v8
	v_or_b32_e32 v88, 0x10000, v8
	s_delay_alu instid0(VALU_DEP_2) | instskip(NEXT) | instid1(VALU_DEP_2)
	v_cmp_eq_u32_e32 vcc_lo, 0, v78
	v_cndmask_b32_e32 v92, v88, v8, vcc_lo
; %bb.940:                              ;   in Loop: Header=BB2_928 Depth=3
	s_or_b32 exec_lo, exec_lo, s14
	v_and_b32_e32 v8, 0xffff0000, v9
	s_mov_b32 s14, exec_lo
                                        ; implicit-def: $vgpr91
	s_delay_alu instid0(VALU_DEP_1) | instskip(NEXT) | instid1(VALU_DEP_1)
	v_mul_f32_e32 v8, v77, v8
	v_and_b32_e32 v9, 0x7f800000, v8
	s_delay_alu instid0(VALU_DEP_1)
	v_cmpx_ne_u32_e32 0x7f800000, v9
	s_xor_b32 s14, exec_lo, s14
; %bb.941:                              ;   in Loop: Header=BB2_928 Depth=3
	v_bfe_u32 v9, v8, 16, 1
	s_delay_alu instid0(VALU_DEP_1)
	v_add3_u32 v91, v8, v9, 0x7fff
                                        ; implicit-def: $vgpr8
; %bb.942:                              ;   in Loop: Header=BB2_928 Depth=3
	s_and_not1_saveexec_b32 s14, s14
; %bb.943:                              ;   in Loop: Header=BB2_928 Depth=3
	v_and_b32_e32 v9, 0xffff, v8
	v_or_b32_e32 v78, 0x10000, v8
	s_delay_alu instid0(VALU_DEP_2) | instskip(NEXT) | instid1(VALU_DEP_2)
	v_cmp_eq_u32_e32 vcc_lo, 0, v9
	v_cndmask_b32_e32 v91, v78, v8, vcc_lo
; %bb.944:                              ;   in Loop: Header=BB2_928 Depth=3
	s_or_b32 exec_lo, exec_lo, s14
	v_lshlrev_b32_e32 v8, 16, v10
	s_mov_b32 s14, exec_lo
                                        ; implicit-def: $vgpr90
	s_delay_alu instid0(VALU_DEP_1) | instskip(NEXT) | instid1(VALU_DEP_1)
	v_mul_f32_e32 v8, v77, v8
	v_and_b32_e32 v9, 0x7f800000, v8
	s_delay_alu instid0(VALU_DEP_1)
	v_cmpx_ne_u32_e32 0x7f800000, v9
	s_xor_b32 s14, exec_lo, s14
; %bb.945:                              ;   in Loop: Header=BB2_928 Depth=3
	v_bfe_u32 v9, v8, 16, 1
	s_delay_alu instid0(VALU_DEP_1)
	v_add3_u32 v90, v8, v9, 0x7fff
                                        ; implicit-def: $vgpr8
; %bb.946:                              ;   in Loop: Header=BB2_928 Depth=3
	s_and_not1_saveexec_b32 s14, s14
; %bb.947:                              ;   in Loop: Header=BB2_928 Depth=3
	v_and_b32_e32 v9, 0xffff, v8
	v_or_b32_e32 v78, 0x10000, v8
	s_delay_alu instid0(VALU_DEP_2) | instskip(NEXT) | instid1(VALU_DEP_2)
	v_cmp_eq_u32_e32 vcc_lo, 0, v9
	v_cndmask_b32_e32 v90, v78, v8, vcc_lo
; %bb.948:                              ;   in Loop: Header=BB2_928 Depth=3
	s_or_b32 exec_lo, exec_lo, s14
	v_and_b32_e32 v8, 0xffff0000, v10
	s_mov_b32 s14, exec_lo
                                        ; implicit-def: $vgpr89
	s_delay_alu instid0(VALU_DEP_1) | instskip(NEXT) | instid1(VALU_DEP_1)
	v_mul_f32_e32 v8, v77, v8
	v_and_b32_e32 v9, 0x7f800000, v8
	s_delay_alu instid0(VALU_DEP_1)
	v_cmpx_ne_u32_e32 0x7f800000, v9
	s_xor_b32 s14, exec_lo, s14
; %bb.949:                              ;   in Loop: Header=BB2_928 Depth=3
	v_bfe_u32 v9, v8, 16, 1
	s_delay_alu instid0(VALU_DEP_1)
	v_add3_u32 v89, v8, v9, 0x7fff
                                        ; implicit-def: $vgpr8
; %bb.950:                              ;   in Loop: Header=BB2_928 Depth=3
	s_and_not1_saveexec_b32 s14, s14
; %bb.951:                              ;   in Loop: Header=BB2_928 Depth=3
	v_and_b32_e32 v9, 0xffff, v8
	v_or_b32_e32 v10, 0x10000, v8
	s_delay_alu instid0(VALU_DEP_2) | instskip(NEXT) | instid1(VALU_DEP_2)
	v_cmp_eq_u32_e32 vcc_lo, 0, v9
	v_cndmask_b32_e32 v89, v10, v8, vcc_lo
; %bb.952:                              ;   in Loop: Header=BB2_928 Depth=3
	s_or_b32 exec_lo, exec_lo, s14
	v_lshlrev_b32_e32 v8, 16, v11
	s_mov_b32 s14, exec_lo
                                        ; implicit-def: $vgpr88
	s_delay_alu instid0(VALU_DEP_1) | instskip(NEXT) | instid1(VALU_DEP_1)
	v_mul_f32_e32 v8, v77, v8
	v_and_b32_e32 v9, 0x7f800000, v8
	s_delay_alu instid0(VALU_DEP_1)
	v_cmpx_ne_u32_e32 0x7f800000, v9
	s_xor_b32 s14, exec_lo, s14
; %bb.953:                              ;   in Loop: Header=BB2_928 Depth=3
	v_bfe_u32 v9, v8, 16, 1
	s_delay_alu instid0(VALU_DEP_1)
	v_add3_u32 v88, v8, v9, 0x7fff
                                        ; implicit-def: $vgpr8
; %bb.954:                              ;   in Loop: Header=BB2_928 Depth=3
	s_and_not1_saveexec_b32 s14, s14
; %bb.955:                              ;   in Loop: Header=BB2_928 Depth=3
	v_and_b32_e32 v9, 0xffff, v8
	v_or_b32_e32 v10, 0x10000, v8
	s_delay_alu instid0(VALU_DEP_2) | instskip(NEXT) | instid1(VALU_DEP_2)
	v_cmp_eq_u32_e32 vcc_lo, 0, v9
	v_cndmask_b32_e32 v88, v10, v8, vcc_lo
; %bb.956:                              ;   in Loop: Header=BB2_928 Depth=3
	s_or_b32 exec_lo, exec_lo, s14
	v_and_b32_e32 v8, 0xffff0000, v11
	s_mov_b32 s14, exec_lo
                                        ; implicit-def: $vgpr78
	s_delay_alu instid0(VALU_DEP_1) | instskip(NEXT) | instid1(VALU_DEP_1)
	v_mul_f32_e32 v8, v77, v8
	v_and_b32_e32 v9, 0x7f800000, v8
	s_delay_alu instid0(VALU_DEP_1)
	v_cmpx_ne_u32_e32 0x7f800000, v9
	s_xor_b32 s14, exec_lo, s14
; %bb.957:                              ;   in Loop: Header=BB2_928 Depth=3
	v_bfe_u32 v9, v8, 16, 1
	s_delay_alu instid0(VALU_DEP_1)
	v_add3_u32 v78, v8, v9, 0x7fff
                                        ; implicit-def: $vgpr8
; %bb.958:                              ;   in Loop: Header=BB2_928 Depth=3
	s_and_not1_saveexec_b32 s14, s14
; %bb.959:                              ;   in Loop: Header=BB2_928 Depth=3
	v_and_b32_e32 v9, 0xffff, v8
	v_or_b32_e32 v10, 0x10000, v8
	s_delay_alu instid0(VALU_DEP_2) | instskip(NEXT) | instid1(VALU_DEP_2)
	v_cmp_eq_u32_e32 vcc_lo, 0, v9
	v_cndmask_b32_e32 v78, v10, v8, vcc_lo
; %bb.960:                              ;   in Loop: Header=BB2_928 Depth=3
	s_or_b32 exec_lo, exec_lo, s14
	global_load_b128 v[8:11], v[46:47], off th:TH_LOAD_NT
	v_and_b32_e32 v79, 0xffff0000, v79
	s_wait_loadcnt 0x0
	v_lshlrev_b32_e32 v94, 16, v8
	s_delay_alu instid0(VALU_DEP_1) | instskip(NEXT) | instid1(VALU_DEP_1)
	v_add_f32_e32 v94, v79, v94
	v_and_b32_e32 v79, 0x7f800000, v94
	s_delay_alu instid0(VALU_DEP_1) | instskip(SKIP_2) | instid1(SALU_CYCLE_1)
	v_cmp_ne_u32_e32 vcc_lo, 0x7f800000, v79
                                        ; implicit-def: $vgpr79
	s_wait_xcnt 0x0
	s_and_saveexec_b32 s14, vcc_lo
	s_xor_b32 s14, exec_lo, s14
; %bb.961:                              ;   in Loop: Header=BB2_928 Depth=3
	v_bfe_u32 v79, v94, 16, 1
	s_delay_alu instid0(VALU_DEP_1)
	v_add3_u32 v79, v94, v79, 0x7fff
                                        ; implicit-def: $vgpr94
; %bb.962:                              ;   in Loop: Header=BB2_928 Depth=3
	s_and_not1_saveexec_b32 s14, s14
; %bb.963:                              ;   in Loop: Header=BB2_928 Depth=3
	v_and_b32_e32 v79, 0xffff, v94
	v_or_b32_e32 v95, 0x10000, v94
	s_delay_alu instid0(VALU_DEP_2) | instskip(NEXT) | instid1(VALU_DEP_2)
	v_cmp_eq_u32_e32 vcc_lo, 0, v79
	v_cndmask_b32_e32 v79, v95, v94, vcc_lo
; %bb.964:                              ;   in Loop: Header=BB2_928 Depth=3
	s_or_b32 exec_lo, exec_lo, s14
	v_and_b32_e32 v93, 0xffff0000, v93
	v_and_b32_e32 v8, 0xffff0000, v8
	s_delay_alu instid0(VALU_DEP_1) | instskip(NEXT) | instid1(VALU_DEP_1)
	v_add_f32_e32 v93, v93, v8
	v_and_b32_e32 v8, 0x7f800000, v93
	s_delay_alu instid0(VALU_DEP_1) | instskip(SKIP_1) | instid1(SALU_CYCLE_1)
	v_cmp_ne_u32_e32 vcc_lo, 0x7f800000, v8
                                        ; implicit-def: $vgpr8
	s_and_saveexec_b32 s14, vcc_lo
	s_xor_b32 s14, exec_lo, s14
; %bb.965:                              ;   in Loop: Header=BB2_928 Depth=3
	v_bfe_u32 v8, v93, 16, 1
	s_delay_alu instid0(VALU_DEP_1)
	v_add3_u32 v8, v93, v8, 0x7fff
                                        ; implicit-def: $vgpr93
; %bb.966:                              ;   in Loop: Header=BB2_928 Depth=3
	s_and_not1_saveexec_b32 s14, s14
; %bb.967:                              ;   in Loop: Header=BB2_928 Depth=3
	v_and_b32_e32 v8, 0xffff, v93
	v_or_b32_e32 v94, 0x10000, v93
	s_delay_alu instid0(VALU_DEP_2) | instskip(NEXT) | instid1(VALU_DEP_2)
	v_cmp_eq_u32_e32 vcc_lo, 0, v8
	v_cndmask_b32_e32 v8, v94, v93, vcc_lo
; %bb.968:                              ;   in Loop: Header=BB2_928 Depth=3
	s_or_b32 exec_lo, exec_lo, s14
	v_and_b32_e32 v92, 0xffff0000, v92
	v_lshlrev_b32_e32 v93, 16, v9
	s_delay_alu instid0(VALU_DEP_1) | instskip(NEXT) | instid1(VALU_DEP_1)
	v_add_f32_e32 v93, v92, v93
	v_and_b32_e32 v92, 0x7f800000, v93
	s_delay_alu instid0(VALU_DEP_1) | instskip(SKIP_1) | instid1(SALU_CYCLE_1)
	v_cmp_ne_u32_e32 vcc_lo, 0x7f800000, v92
                                        ; implicit-def: $vgpr92
	s_and_saveexec_b32 s14, vcc_lo
	s_xor_b32 s14, exec_lo, s14
; %bb.969:                              ;   in Loop: Header=BB2_928 Depth=3
	v_bfe_u32 v92, v93, 16, 1
	s_delay_alu instid0(VALU_DEP_1)
	v_add3_u32 v92, v93, v92, 0x7fff
                                        ; implicit-def: $vgpr93
; %bb.970:                              ;   in Loop: Header=BB2_928 Depth=3
	s_and_not1_saveexec_b32 s14, s14
; %bb.971:                              ;   in Loop: Header=BB2_928 Depth=3
	v_and_b32_e32 v92, 0xffff, v93
	v_or_b32_e32 v94, 0x10000, v93
	s_delay_alu instid0(VALU_DEP_2) | instskip(NEXT) | instid1(VALU_DEP_2)
	v_cmp_eq_u32_e32 vcc_lo, 0, v92
	v_cndmask_b32_e32 v92, v94, v93, vcc_lo
; %bb.972:                              ;   in Loop: Header=BB2_928 Depth=3
	s_or_b32 exec_lo, exec_lo, s14
	v_and_b32_e32 v91, 0xffff0000, v91
	v_and_b32_e32 v9, 0xffff0000, v9
	s_delay_alu instid0(VALU_DEP_1) | instskip(NEXT) | instid1(VALU_DEP_1)
	v_add_f32_e32 v91, v91, v9
	v_and_b32_e32 v9, 0x7f800000, v91
	s_delay_alu instid0(VALU_DEP_1) | instskip(SKIP_1) | instid1(SALU_CYCLE_1)
	v_cmp_ne_u32_e32 vcc_lo, 0x7f800000, v9
                                        ; implicit-def: $vgpr9
	s_and_saveexec_b32 s14, vcc_lo
	s_xor_b32 s14, exec_lo, s14
; %bb.973:                              ;   in Loop: Header=BB2_928 Depth=3
	v_bfe_u32 v9, v91, 16, 1
	s_delay_alu instid0(VALU_DEP_1)
	v_add3_u32 v9, v91, v9, 0x7fff
                                        ; implicit-def: $vgpr91
; %bb.974:                              ;   in Loop: Header=BB2_928 Depth=3
	s_and_not1_saveexec_b32 s14, s14
; %bb.975:                              ;   in Loop: Header=BB2_928 Depth=3
	v_and_b32_e32 v9, 0xffff, v91
	v_or_b32_e32 v93, 0x10000, v91
	s_delay_alu instid0(VALU_DEP_2) | instskip(NEXT) | instid1(VALU_DEP_2)
	v_cmp_eq_u32_e32 vcc_lo, 0, v9
	v_cndmask_b32_e32 v9, v93, v91, vcc_lo
; %bb.976:                              ;   in Loop: Header=BB2_928 Depth=3
	s_or_b32 exec_lo, exec_lo, s14
	v_and_b32_e32 v90, 0xffff0000, v90
	v_lshlrev_b32_e32 v91, 16, v10
	s_delay_alu instid0(VALU_DEP_1) | instskip(NEXT) | instid1(VALU_DEP_1)
	v_add_f32_e32 v91, v90, v91
	v_and_b32_e32 v90, 0x7f800000, v91
	s_delay_alu instid0(VALU_DEP_1) | instskip(SKIP_1) | instid1(SALU_CYCLE_1)
	v_cmp_ne_u32_e32 vcc_lo, 0x7f800000, v90
                                        ; implicit-def: $vgpr90
	s_and_saveexec_b32 s14, vcc_lo
	s_xor_b32 s14, exec_lo, s14
; %bb.977:                              ;   in Loop: Header=BB2_928 Depth=3
	v_bfe_u32 v90, v91, 16, 1
	s_delay_alu instid0(VALU_DEP_1)
	v_add3_u32 v90, v91, v90, 0x7fff
                                        ; implicit-def: $vgpr91
; %bb.978:                              ;   in Loop: Header=BB2_928 Depth=3
	s_and_not1_saveexec_b32 s14, s14
; %bb.979:                              ;   in Loop: Header=BB2_928 Depth=3
	v_and_b32_e32 v90, 0xffff, v91
	v_or_b32_e32 v93, 0x10000, v91
	s_delay_alu instid0(VALU_DEP_2) | instskip(NEXT) | instid1(VALU_DEP_2)
	v_cmp_eq_u32_e32 vcc_lo, 0, v90
	v_cndmask_b32_e32 v90, v93, v91, vcc_lo
; %bb.980:                              ;   in Loop: Header=BB2_928 Depth=3
	s_or_b32 exec_lo, exec_lo, s14
	v_and_b32_e32 v89, 0xffff0000, v89
	v_and_b32_e32 v10, 0xffff0000, v10
	s_delay_alu instid0(VALU_DEP_1) | instskip(NEXT) | instid1(VALU_DEP_1)
	v_add_f32_e32 v89, v89, v10
	v_and_b32_e32 v10, 0x7f800000, v89
	s_delay_alu instid0(VALU_DEP_1) | instskip(SKIP_1) | instid1(SALU_CYCLE_1)
	v_cmp_ne_u32_e32 vcc_lo, 0x7f800000, v10
                                        ; implicit-def: $vgpr10
	s_and_saveexec_b32 s14, vcc_lo
	s_xor_b32 s14, exec_lo, s14
; %bb.981:                              ;   in Loop: Header=BB2_928 Depth=3
	v_bfe_u32 v10, v89, 16, 1
	s_delay_alu instid0(VALU_DEP_1)
	v_add3_u32 v10, v89, v10, 0x7fff
                                        ; implicit-def: $vgpr89
; %bb.982:                              ;   in Loop: Header=BB2_928 Depth=3
	s_and_not1_saveexec_b32 s14, s14
; %bb.983:                              ;   in Loop: Header=BB2_928 Depth=3
	v_and_b32_e32 v10, 0xffff, v89
	v_or_b32_e32 v91, 0x10000, v89
	s_delay_alu instid0(VALU_DEP_2) | instskip(NEXT) | instid1(VALU_DEP_2)
	v_cmp_eq_u32_e32 vcc_lo, 0, v10
	v_cndmask_b32_e32 v10, v91, v89, vcc_lo
; %bb.984:                              ;   in Loop: Header=BB2_928 Depth=3
	s_or_b32 exec_lo, exec_lo, s14
	v_and_b32_e32 v88, 0xffff0000, v88
	v_lshlrev_b32_e32 v89, 16, v11
	s_delay_alu instid0(VALU_DEP_1) | instskip(NEXT) | instid1(VALU_DEP_1)
	v_add_f32_e32 v89, v88, v89
	v_and_b32_e32 v88, 0x7f800000, v89
	s_delay_alu instid0(VALU_DEP_1) | instskip(SKIP_1) | instid1(SALU_CYCLE_1)
	v_cmp_ne_u32_e32 vcc_lo, 0x7f800000, v88
                                        ; implicit-def: $vgpr88
	s_and_saveexec_b32 s14, vcc_lo
	s_xor_b32 s14, exec_lo, s14
; %bb.985:                              ;   in Loop: Header=BB2_928 Depth=3
	v_bfe_u32 v88, v89, 16, 1
	s_delay_alu instid0(VALU_DEP_1)
	v_add3_u32 v88, v89, v88, 0x7fff
                                        ; implicit-def: $vgpr89
; %bb.986:                              ;   in Loop: Header=BB2_928 Depth=3
	s_and_not1_saveexec_b32 s14, s14
; %bb.987:                              ;   in Loop: Header=BB2_928 Depth=3
	v_and_b32_e32 v88, 0xffff, v89
	v_or_b32_e32 v91, 0x10000, v89
	s_delay_alu instid0(VALU_DEP_2) | instskip(NEXT) | instid1(VALU_DEP_2)
	v_cmp_eq_u32_e32 vcc_lo, 0, v88
	v_cndmask_b32_e32 v88, v91, v89, vcc_lo
; %bb.988:                              ;   in Loop: Header=BB2_928 Depth=3
	s_or_b32 exec_lo, exec_lo, s14
	v_and_b32_e32 v78, 0xffff0000, v78
	v_and_b32_e32 v11, 0xffff0000, v11
	s_delay_alu instid0(VALU_DEP_1) | instskip(NEXT) | instid1(VALU_DEP_1)
	v_add_f32_e32 v78, v78, v11
	v_and_b32_e32 v11, 0x7f800000, v78
	s_delay_alu instid0(VALU_DEP_1) | instskip(SKIP_1) | instid1(SALU_CYCLE_1)
	v_cmp_ne_u32_e32 vcc_lo, 0x7f800000, v11
                                        ; implicit-def: $vgpr11
	s_and_saveexec_b32 s14, vcc_lo
	s_xor_b32 s14, exec_lo, s14
; %bb.989:                              ;   in Loop: Header=BB2_928 Depth=3
	v_bfe_u32 v11, v78, 16, 1
	s_delay_alu instid0(VALU_DEP_1)
	v_add3_u32 v11, v78, v11, 0x7fff
                                        ; implicit-def: $vgpr78
; %bb.990:                              ;   in Loop: Header=BB2_928 Depth=3
	s_and_not1_saveexec_b32 s14, s14
; %bb.991:                              ;   in Loop: Header=BB2_928 Depth=3
	v_and_b32_e32 v11, 0xffff, v78
	v_or_b32_e32 v89, 0x10000, v78
	s_delay_alu instid0(VALU_DEP_2) | instskip(NEXT) | instid1(VALU_DEP_2)
	v_cmp_eq_u32_e32 vcc_lo, 0, v11
	v_cndmask_b32_e32 v11, v89, v78, vcc_lo
; %bb.992:                              ;   in Loop: Header=BB2_928 Depth=3
	s_or_b32 exec_lo, exec_lo, s14
	v_dual_lshrrev_b32 v78, 16, v92 :: v_dual_lshrrev_b32 v79, 16, v79
	v_dual_lshrrev_b32 v89, 16, v90 :: v_dual_lshrrev_b32 v88, 16, v88
	s_mov_b64 s[40:41], 0
	s_delay_alu instid0(VALU_DEP_2) | instskip(NEXT) | instid1(VALU_DEP_3)
	v_and_or_b32 v9, 0xffff0000, v9, v78
	v_and_or_b32 v8, 0xffff0000, v8, v79
	s_delay_alu instid0(VALU_DEP_3)
	v_and_or_b32 v10, 0xffff0000, v10, v89
	v_and_or_b32 v11, 0xffff0000, v11, v88
	s_mov_b32 s73, -1
.LBB2_993:                              ;   Parent Loop BB2_47 Depth=1
                                        ;     Parent Loop BB2_779 Depth=2
                                        ;       Parent Loop BB2_928 Depth=3
                                        ; =>      This Inner Loop Header: Depth=4
	s_cmp_eq_u32 s40, 1
	s_cselect_b32 vcc_lo, -1, 0
	s_cmp_eq_u32 s40, 0
	s_wait_xcnt 0x0
	v_dual_cndmask_b32 v79, v41, v43 :: v_dual_cndmask_b32 v78, v40, v42
	s_cselect_b32 s14, -1, 0
	s_and_b32 s15, exec_lo, s73
	s_mov_b64 s[40:41], 1
	s_mov_b32 s73, 0
	v_add_nc_u64_e32 v[88:89], 0x200, v[78:79]
	global_store_b128 v[78:79], v[8:11], off th:TH_STORE_NT
	v_dual_cndmask_b32 v43, v43, v89 :: v_dual_cndmask_b32 v42, v42, v88
	v_dual_cndmask_b32 v41, v41, v89, s14 :: v_dual_cndmask_b32 v40, v40, v88, s14
	s_mov_b32 vcc_lo, s15
	s_cbranch_vccnz .LBB2_993
; %bb.994:                              ;   in Loop: Header=BB2_928 Depth=3
	v_sub_nc_u32_e32 v76, v76, v52
	v_add_nc_u64_e32 v[44:45], v[44:45], v[80:81]
	v_add_nc_u64_e32 v[46:47], v[46:47], v[80:81]
	;; [unrolled: 1-line block ×4, first 2 shown]
	v_cmp_gt_i32_e32 vcc_lo, 16, v76
	v_sub_nc_u32_e32 v75, v75, v32
	s_or_b32 s72, vcc_lo, s72
	s_wait_xcnt 0x0
	s_and_not1_b32 exec_lo, exec_lo, s72
	s_cbranch_execnz .LBB2_928
; %bb.995:                              ;   in Loop: Header=BB2_779 Depth=2
	s_or_b32 exec_lo, exec_lo, s72
.LBB2_996:                              ;   in Loop: Header=BB2_779 Depth=2
	s_delay_alu instid0(SALU_CYCLE_1) | instskip(SKIP_2) | instid1(VALU_DEP_1)
	s_or_b32 exec_lo, exec_lo, s63
	v_cmp_lt_i32_e32 vcc_lo, 0, v75
	v_dual_cndmask_b32 v10, 0, v32, vcc_lo :: v_dual_bitop2_b32 v8, 14, v63 bitop3:0x40
	v_dual_sub_nc_u32 v9, v72, v8 :: v_dual_cndmask_b32 v45, v72, v8, s13
	s_delay_alu instid0(VALU_DEP_1) | instskip(NEXT) | instid1(VALU_DEP_2)
	v_dual_cndmask_b32 v8, 0, v9, s13 :: v_dual_sub_nc_u32 v9, v10, v75
	v_cmp_ne_u32_e32 vcc_lo, 0, v45
	s_delay_alu instid0(VALU_DEP_2) | instskip(NEXT) | instid1(VALU_DEP_3)
	v_add3_u32 v44, v74, v103, v8
	v_lshl_add_u32 v46, v9, 5, v73
	s_and_b32 s14, vcc_lo, exec_lo
.LBB2_997:                              ;   in Loop: Header=BB2_779 Depth=2
	s_or_b32 exec_lo, exec_lo, s62
	s_and_saveexec_b32 s15, s14
	s_cbranch_execz .LBB2_1048
.LBB2_998:                              ;   in Loop: Header=BB2_779 Depth=2
	v_dual_ashrrev_i32 v8, 31, v46 :: v_dual_ashrrev_i32 v9, 31, v45
	s_mov_b32 s13, exec_lo
	s_delay_alu instid0(VALU_DEP_1) | instskip(NEXT) | instid1(VALU_DEP_1)
	v_dual_lshrrev_b32 v8, 27, v8 :: v_dual_lshrrev_b32 v9, 24, v9
	v_dual_add_nc_u32 v8, v46, v8 :: v_dual_add_nc_u32 v9, v45, v9
	s_delay_alu instid0(VALU_DEP_1) | instskip(NEXT) | instid1(VALU_DEP_1)
	v_dual_ashrrev_i32 v103, 5, v8 :: v_dual_ashrrev_i32 v63, 8, v9
	v_sub_nc_u32_e32 v47, v63, v103
	s_delay_alu instid0(VALU_DEP_1)
	v_cmpx_lt_i32_e32 0, v47
	s_cbranch_execz .LBB2_1034
; %bb.999:                              ;   in Loop: Header=BB2_779 Depth=2
	v_and_b32_e32 v8, 0x7fffffe0, v8
	s_trap 2
	ds_load_b64 v[42:43], v0
	ds_load_b32 v74, v0
	s_mov_b32 s14, 0
	v_dual_lshlrev_b32 v9, 8, v103 :: v_dual_sub_nc_u32 v8, v46, v8
	s_delay_alu instid0(VALU_DEP_1) | instskip(NEXT) | instid1(VALU_DEP_1)
	v_lshlrev_b32_e32 v8, 1, v8
	v_add3_u32 v72, v8, v44, v9
	s_delay_alu instid0(VALU_DEP_1) | instskip(NEXT) | instid1(VALU_DEP_1)
	v_ashrrev_i32_e32 v73, 31, v72
	v_add_nc_u64_e32 v[8:9], v[72:73], v[116:117]
	v_add_nc_u64_e32 v[10:11], v[72:73], v[118:119]
	;; [unrolled: 1-line block ×3, first 2 shown]
	s_wait_dscnt 0x1
	v_add_nc_u64_e32 v[42:43], v[42:43], v[72:73]
	s_wait_dscnt 0x0
	v_lshlrev_b32_e32 v72, 16, v74
	s_branch .LBB2_1001
.LBB2_1000:                             ;   in Loop: Header=BB2_1001 Depth=3
	s_or_b32 exec_lo, exec_lo, s40
	v_dual_lshrrev_b32 v73, 16, v73 :: v_dual_lshrrev_b32 v74, 16, v74
	v_dual_sub_nc_u32 v47, v47, v32 :: v_dual_lshrrev_b32 v75, 16, v75
	v_lshrrev_b32_e32 v76, 16, v76
	s_clause 0x3
	flat_store_b16 v[8:9], v73 th:TH_STORE_NT
	flat_store_b16 v[8:9], v74 offset:64 th:TH_STORE_NT
	flat_store_b16 v[8:9], v75 offset:128 th:TH_STORE_NT
	;; [unrolled: 1-line block ×3, first 2 shown]
	s_clause 0x3
	flat_store_b16 v[10:11], v73 th:TH_STORE_NT
	flat_store_b16 v[10:11], v74 offset:64 th:TH_STORE_NT
	flat_store_b16 v[10:11], v75 offset:128 th:TH_STORE_NT
	;; [unrolled: 1-line block ×3, first 2 shown]
	v_add_nc_u64_e32 v[40:41], v[40:41], v[54:55]
	v_add_nc_u64_e32 v[42:43], v[42:43], v[54:55]
	s_wait_xcnt 0x4
	v_add_nc_u64_e32 v[8:9], v[8:9], v[54:55]
	v_cmp_gt_i32_e32 vcc_lo, 1, v47
	s_wait_xcnt 0x0
	v_add_nc_u64_e32 v[10:11], v[10:11], v[54:55]
	s_or_b32 s14, vcc_lo, s14
	s_delay_alu instid0(SALU_CYCLE_1)
	s_and_not1_b32 exec_lo, exec_lo, s14
	s_cbranch_execz .LBB2_1033
.LBB2_1001:                             ;   Parent Loop BB2_47 Depth=1
                                        ;     Parent Loop BB2_779 Depth=2
                                        ; =>    This Inner Loop Header: Depth=3
	flat_load_u16 v73, v[40:41] th:TH_LOAD_NT
	s_wait_loadcnt_dscnt 0x0
	v_lshlrev_b32_e32 v73, 16, v73
	s_delay_alu instid0(VALU_DEP_1) | instskip(NEXT) | instid1(VALU_DEP_1)
	v_mul_f32_e32 v74, v72, v73
	v_and_b32_e32 v73, 0x7f800000, v74
	s_delay_alu instid0(VALU_DEP_1) | instskip(SKIP_2) | instid1(SALU_CYCLE_1)
	v_cmp_ne_u32_e32 vcc_lo, 0x7f800000, v73
                                        ; implicit-def: $vgpr73
	s_wait_xcnt 0x0
	s_and_saveexec_b32 s40, vcc_lo
	s_xor_b32 s40, exec_lo, s40
; %bb.1002:                             ;   in Loop: Header=BB2_1001 Depth=3
	v_bfe_u32 v73, v74, 16, 1
	s_delay_alu instid0(VALU_DEP_1)
	v_add3_u32 v73, v74, v73, 0x7fff
                                        ; implicit-def: $vgpr74
; %bb.1003:                             ;   in Loop: Header=BB2_1001 Depth=3
	s_and_not1_saveexec_b32 s40, s40
; %bb.1004:                             ;   in Loop: Header=BB2_1001 Depth=3
	v_and_b32_e32 v73, 0xffff, v74
	v_or_b32_e32 v75, 0x10000, v74
	s_delay_alu instid0(VALU_DEP_2) | instskip(NEXT) | instid1(VALU_DEP_2)
	v_cmp_eq_u32_e32 vcc_lo, 0, v73
	v_cndmask_b32_e32 v73, v75, v74, vcc_lo
; %bb.1005:                             ;   in Loop: Header=BB2_1001 Depth=3
	s_or_b32 exec_lo, exec_lo, s40
	flat_load_u16 v74, v[40:41] offset:64 th:TH_LOAD_NT
	s_wait_loadcnt_dscnt 0x0
	v_lshlrev_b32_e32 v74, 16, v74
	s_delay_alu instid0(VALU_DEP_1) | instskip(NEXT) | instid1(VALU_DEP_1)
	v_mul_f32_e32 v75, v72, v74
	v_and_b32_e32 v74, 0x7f800000, v75
	s_delay_alu instid0(VALU_DEP_1) | instskip(SKIP_2) | instid1(SALU_CYCLE_1)
	v_cmp_ne_u32_e32 vcc_lo, 0x7f800000, v74
                                        ; implicit-def: $vgpr74
	s_wait_xcnt 0x0
	s_and_saveexec_b32 s40, vcc_lo
	s_xor_b32 s40, exec_lo, s40
; %bb.1006:                             ;   in Loop: Header=BB2_1001 Depth=3
	v_bfe_u32 v74, v75, 16, 1
	s_delay_alu instid0(VALU_DEP_1)
	v_add3_u32 v74, v75, v74, 0x7fff
                                        ; implicit-def: $vgpr75
; %bb.1007:                             ;   in Loop: Header=BB2_1001 Depth=3
	s_and_not1_saveexec_b32 s40, s40
; %bb.1008:                             ;   in Loop: Header=BB2_1001 Depth=3
	v_and_b32_e32 v74, 0xffff, v75
	v_or_b32_e32 v76, 0x10000, v75
	s_delay_alu instid0(VALU_DEP_2) | instskip(NEXT) | instid1(VALU_DEP_2)
	v_cmp_eq_u32_e32 vcc_lo, 0, v74
	v_cndmask_b32_e32 v74, v76, v75, vcc_lo
; %bb.1009:                             ;   in Loop: Header=BB2_1001 Depth=3
	s_or_b32 exec_lo, exec_lo, s40
	flat_load_u16 v75, v[40:41] offset:128 th:TH_LOAD_NT
	s_wait_loadcnt_dscnt 0x0
	v_lshlrev_b32_e32 v75, 16, v75
	s_delay_alu instid0(VALU_DEP_1) | instskip(NEXT) | instid1(VALU_DEP_1)
	v_mul_f32_e32 v76, v72, v75
	v_and_b32_e32 v75, 0x7f800000, v76
	s_delay_alu instid0(VALU_DEP_1) | instskip(SKIP_2) | instid1(SALU_CYCLE_1)
	v_cmp_ne_u32_e32 vcc_lo, 0x7f800000, v75
                                        ; implicit-def: $vgpr75
	s_wait_xcnt 0x0
	s_and_saveexec_b32 s40, vcc_lo
	s_xor_b32 s40, exec_lo, s40
; %bb.1010:                             ;   in Loop: Header=BB2_1001 Depth=3
	v_bfe_u32 v75, v76, 16, 1
	s_delay_alu instid0(VALU_DEP_1)
	v_add3_u32 v75, v76, v75, 0x7fff
                                        ; implicit-def: $vgpr76
; %bb.1011:                             ;   in Loop: Header=BB2_1001 Depth=3
	s_and_not1_saveexec_b32 s40, s40
; %bb.1012:                             ;   in Loop: Header=BB2_1001 Depth=3
	v_and_b32_e32 v75, 0xffff, v76
	v_or_b32_e32 v77, 0x10000, v76
	s_delay_alu instid0(VALU_DEP_2) | instskip(NEXT) | instid1(VALU_DEP_2)
	v_cmp_eq_u32_e32 vcc_lo, 0, v75
	v_cndmask_b32_e32 v75, v77, v76, vcc_lo
; %bb.1013:                             ;   in Loop: Header=BB2_1001 Depth=3
	s_or_b32 exec_lo, exec_lo, s40
	flat_load_u16 v76, v[40:41] offset:192 th:TH_LOAD_NT
	s_wait_loadcnt_dscnt 0x0
	v_lshlrev_b32_e32 v76, 16, v76
	s_delay_alu instid0(VALU_DEP_1) | instskip(NEXT) | instid1(VALU_DEP_1)
	v_mul_f32_e32 v77, v72, v76
	v_and_b32_e32 v76, 0x7f800000, v77
	s_delay_alu instid0(VALU_DEP_1) | instskip(SKIP_2) | instid1(SALU_CYCLE_1)
	v_cmp_ne_u32_e32 vcc_lo, 0x7f800000, v76
                                        ; implicit-def: $vgpr76
	s_wait_xcnt 0x0
	s_and_saveexec_b32 s40, vcc_lo
	s_xor_b32 s40, exec_lo, s40
; %bb.1014:                             ;   in Loop: Header=BB2_1001 Depth=3
	v_bfe_u32 v76, v77, 16, 1
	s_delay_alu instid0(VALU_DEP_1)
	v_add3_u32 v76, v77, v76, 0x7fff
                                        ; implicit-def: $vgpr77
; %bb.1015:                             ;   in Loop: Header=BB2_1001 Depth=3
	s_and_not1_saveexec_b32 s40, s40
; %bb.1016:                             ;   in Loop: Header=BB2_1001 Depth=3
	v_and_b32_e32 v76, 0xffff, v77
	v_or_b32_e32 v78, 0x10000, v77
	s_delay_alu instid0(VALU_DEP_2) | instskip(NEXT) | instid1(VALU_DEP_2)
	v_cmp_eq_u32_e32 vcc_lo, 0, v76
	v_cndmask_b32_e32 v76, v78, v77, vcc_lo
; %bb.1017:                             ;   in Loop: Header=BB2_1001 Depth=3
	s_or_b32 exec_lo, exec_lo, s40
	s_clause 0x3
	flat_load_u16 v78, v[42:43] offset:128 th:TH_LOAD_NT
	flat_load_u16 v77, v[42:43] offset:192 th:TH_LOAD_NT
	flat_load_u16 v88, v[42:43] th:TH_LOAD_NT
	flat_load_u16 v79, v[42:43] offset:64 th:TH_LOAD_NT
	v_and_b32_e32 v73, 0xffff0000, v73
	s_wait_loadcnt_dscnt 0x101
	v_lshlrev_b32_e32 v88, 16, v88
	s_delay_alu instid0(VALU_DEP_1) | instskip(NEXT) | instid1(VALU_DEP_1)
	v_add_f32_e32 v88, v73, v88
	v_and_b32_e32 v73, 0x7f800000, v88
	s_delay_alu instid0(VALU_DEP_1) | instskip(SKIP_2) | instid1(SALU_CYCLE_1)
	v_cmp_ne_u32_e32 vcc_lo, 0x7f800000, v73
                                        ; implicit-def: $vgpr73
	s_wait_xcnt 0x0
	s_and_saveexec_b32 s40, vcc_lo
	s_xor_b32 s40, exec_lo, s40
; %bb.1018:                             ;   in Loop: Header=BB2_1001 Depth=3
	v_bfe_u32 v73, v88, 16, 1
	s_delay_alu instid0(VALU_DEP_1)
	v_add3_u32 v73, v88, v73, 0x7fff
                                        ; implicit-def: $vgpr88
; %bb.1019:                             ;   in Loop: Header=BB2_1001 Depth=3
	s_and_not1_saveexec_b32 s40, s40
; %bb.1020:                             ;   in Loop: Header=BB2_1001 Depth=3
	v_and_b32_e32 v73, 0xffff, v88
	v_or_b32_e32 v89, 0x10000, v88
	s_delay_alu instid0(VALU_DEP_2) | instskip(NEXT) | instid1(VALU_DEP_2)
	v_cmp_eq_u32_e32 vcc_lo, 0, v73
	v_cndmask_b32_e32 v73, v89, v88, vcc_lo
; %bb.1021:                             ;   in Loop: Header=BB2_1001 Depth=3
	s_or_b32 exec_lo, exec_lo, s40
	v_and_b32_e32 v74, 0xffff0000, v74
	s_wait_loadcnt_dscnt 0x0
	v_lshlrev_b32_e32 v79, 16, v79
	s_delay_alu instid0(VALU_DEP_1) | instskip(NEXT) | instid1(VALU_DEP_1)
	v_add_f32_e32 v79, v74, v79
	v_and_b32_e32 v74, 0x7f800000, v79
	s_delay_alu instid0(VALU_DEP_1) | instskip(SKIP_1) | instid1(SALU_CYCLE_1)
	v_cmp_ne_u32_e32 vcc_lo, 0x7f800000, v74
                                        ; implicit-def: $vgpr74
	s_and_saveexec_b32 s40, vcc_lo
	s_xor_b32 s40, exec_lo, s40
; %bb.1022:                             ;   in Loop: Header=BB2_1001 Depth=3
	v_bfe_u32 v74, v79, 16, 1
	s_delay_alu instid0(VALU_DEP_1)
	v_add3_u32 v74, v79, v74, 0x7fff
                                        ; implicit-def: $vgpr79
; %bb.1023:                             ;   in Loop: Header=BB2_1001 Depth=3
	s_and_not1_saveexec_b32 s40, s40
; %bb.1024:                             ;   in Loop: Header=BB2_1001 Depth=3
	v_and_b32_e32 v74, 0xffff, v79
	v_or_b32_e32 v88, 0x10000, v79
	s_delay_alu instid0(VALU_DEP_2) | instskip(NEXT) | instid1(VALU_DEP_2)
	v_cmp_eq_u32_e32 vcc_lo, 0, v74
	v_cndmask_b32_e32 v74, v88, v79, vcc_lo
; %bb.1025:                             ;   in Loop: Header=BB2_1001 Depth=3
	s_or_b32 exec_lo, exec_lo, s40
	v_and_b32_e32 v75, 0xffff0000, v75
	v_lshlrev_b32_e32 v78, 16, v78
	s_delay_alu instid0(VALU_DEP_1) | instskip(NEXT) | instid1(VALU_DEP_1)
	v_add_f32_e32 v78, v75, v78
	v_and_b32_e32 v75, 0x7f800000, v78
	s_delay_alu instid0(VALU_DEP_1) | instskip(SKIP_1) | instid1(SALU_CYCLE_1)
	v_cmp_ne_u32_e32 vcc_lo, 0x7f800000, v75
                                        ; implicit-def: $vgpr75
	s_and_saveexec_b32 s40, vcc_lo
	s_xor_b32 s40, exec_lo, s40
; %bb.1026:                             ;   in Loop: Header=BB2_1001 Depth=3
	v_bfe_u32 v75, v78, 16, 1
	s_delay_alu instid0(VALU_DEP_1)
	v_add3_u32 v75, v78, v75, 0x7fff
                                        ; implicit-def: $vgpr78
; %bb.1027:                             ;   in Loop: Header=BB2_1001 Depth=3
	s_and_not1_saveexec_b32 s40, s40
; %bb.1028:                             ;   in Loop: Header=BB2_1001 Depth=3
	v_and_b32_e32 v75, 0xffff, v78
	v_or_b32_e32 v79, 0x10000, v78
	s_delay_alu instid0(VALU_DEP_2) | instskip(NEXT) | instid1(VALU_DEP_2)
	v_cmp_eq_u32_e32 vcc_lo, 0, v75
	v_cndmask_b32_e32 v75, v79, v78, vcc_lo
; %bb.1029:                             ;   in Loop: Header=BB2_1001 Depth=3
	s_or_b32 exec_lo, exec_lo, s40
	v_and_b32_e32 v76, 0xffff0000, v76
	v_lshlrev_b32_e32 v77, 16, v77
	s_delay_alu instid0(VALU_DEP_1) | instskip(NEXT) | instid1(VALU_DEP_1)
	v_add_f32_e32 v77, v76, v77
	v_and_b32_e32 v76, 0x7f800000, v77
	s_delay_alu instid0(VALU_DEP_1) | instskip(SKIP_1) | instid1(SALU_CYCLE_1)
	v_cmp_ne_u32_e32 vcc_lo, 0x7f800000, v76
                                        ; implicit-def: $vgpr76
	s_and_saveexec_b32 s40, vcc_lo
	s_xor_b32 s40, exec_lo, s40
; %bb.1030:                             ;   in Loop: Header=BB2_1001 Depth=3
	v_bfe_u32 v76, v77, 16, 1
	s_delay_alu instid0(VALU_DEP_1)
	v_add3_u32 v76, v77, v76, 0x7fff
                                        ; implicit-def: $vgpr77
; %bb.1031:                             ;   in Loop: Header=BB2_1001 Depth=3
	s_and_not1_saveexec_b32 s40, s40
	s_cbranch_execz .LBB2_1000
; %bb.1032:                             ;   in Loop: Header=BB2_1001 Depth=3
	v_and_b32_e32 v76, 0xffff, v77
	v_or_b32_e32 v78, 0x10000, v77
	s_delay_alu instid0(VALU_DEP_2) | instskip(NEXT) | instid1(VALU_DEP_2)
	v_cmp_eq_u32_e32 vcc_lo, 0, v76
	v_cndmask_b32_e32 v76, v78, v77, vcc_lo
	s_branch .LBB2_1000
.LBB2_1033:                             ;   in Loop: Header=BB2_779 Depth=2
	s_or_b32 exec_lo, exec_lo, s14
.LBB2_1034:                             ;   in Loop: Header=BB2_779 Depth=2
	s_delay_alu instid0(SALU_CYCLE_1) | instskip(SKIP_1) | instid1(VALU_DEP_1)
	s_or_b32 exec_lo, exec_lo, s13
	v_lshlrev_b32_e32 v8, 8, v63
	v_cmp_ne_u32_e32 vcc_lo, v45, v8
	s_and_b32 exec_lo, exec_lo, vcc_lo
	s_cbranch_execz .LBB2_1048
; %bb.1035:                             ;   in Loop: Header=BB2_779 Depth=2
	v_lshlrev_b32_e32 v9, 5, v103
	s_delay_alu instid0(VALU_DEP_1) | instskip(NEXT) | instid1(VALU_DEP_1)
	v_dual_lshlrev_b32 v10, 5, v47 :: v_dual_sub_nc_u32 v9, v46, v9
	v_sub_nc_u32_e32 v9, v9, v10
	s_delay_alu instid0(VALU_DEP_1) | instskip(NEXT) | instid1(VALU_DEP_1)
	v_ashrrev_i32_e32 v10, 31, v9
	v_lshrrev_b32_e32 v10, 27, v10
	s_delay_alu instid0(VALU_DEP_1) | instskip(NEXT) | instid1(VALU_DEP_1)
	v_add_nc_u32_e32 v10, v9, v10
	v_and_b32_e32 v11, 0x7fffffe0, v10
	s_delay_alu instid0(VALU_DEP_1) | instskip(NEXT) | instid1(VALU_DEP_1)
	v_dual_lshlrev_b32 v10, 1, v10 :: v_dual_sub_nc_u32 v9, v9, v11
	v_and_b32_e32 v10, 0xffffffc0, v10
	s_delay_alu instid0(VALU_DEP_2) | instskip(NEXT) | instid1(VALU_DEP_1)
	v_lshlrev_b32_e32 v9, 1, v9
	v_add3_u32 v8, v10, v9, v8
	s_delay_alu instid0(VALU_DEP_1) | instskip(NEXT) | instid1(VALU_DEP_1)
	v_sub_nc_u32_e32 v103, v45, v8
	v_cmp_lt_i32_e32 vcc_lo, 1, v103
	s_and_b32 exec_lo, exec_lo, vcc_lo
	s_cbranch_execz .LBB2_1048
; %bb.1036:                             ;   in Loop: Header=BB2_779 Depth=2
	s_trap 2
	ds_load_b64 v[40:41], v0
	ds_load_b32 v45, v0
	v_add_nc_u32_e32 v42, v8, v44
	s_mov_b32 s62, 0
	s_delay_alu instid0(VALU_DEP_1) | instskip(NEXT) | instid1(VALU_DEP_1)
	v_ashrrev_i32_e32 v43, 31, v42
	v_add_nc_u64_e32 v[8:9], v[42:43], v[116:117]
	v_add_nc_u64_e32 v[10:11], v[42:43], v[118:119]
	;; [unrolled: 1-line block ×3, first 2 shown]
	s_wait_dscnt 0x1
	v_add_nc_u64_e32 v[40:41], v[40:41], v[42:43]
	s_wait_dscnt 0x0
	v_lshlrev_b32_e32 v42, 16, v45
.LBB2_1037:                             ;   Parent Loop BB2_47 Depth=1
                                        ;     Parent Loop BB2_779 Depth=2
                                        ; =>    This Loop Header: Depth=3
                                        ;         Child Loop BB2_1046 Depth 4
	flat_load_u16 v43, v[118:119] th:TH_LOAD_NT
	s_wait_loadcnt_dscnt 0x0
	v_lshlrev_b32_e32 v43, 16, v43
	s_delay_alu instid0(VALU_DEP_1) | instskip(NEXT) | instid1(VALU_DEP_1)
	v_mul_f32_e32 v43, v42, v43
	v_and_b32_e32 v44, 0x7f800000, v43
	s_delay_alu instid0(VALU_DEP_1) | instskip(SKIP_2) | instid1(SALU_CYCLE_1)
	v_cmp_ne_u32_e32 vcc_lo, 0x7f800000, v44
                                        ; implicit-def: $vgpr44
	s_wait_xcnt 0x0
	s_and_saveexec_b32 s13, vcc_lo
	s_xor_b32 s13, exec_lo, s13
; %bb.1038:                             ;   in Loop: Header=BB2_1037 Depth=3
	v_bfe_u32 v44, v43, 16, 1
	s_delay_alu instid0(VALU_DEP_1)
	v_add3_u32 v44, v43, v44, 0x7fff
                                        ; implicit-def: $vgpr43
; %bb.1039:                             ;   in Loop: Header=BB2_1037 Depth=3
	s_and_not1_saveexec_b32 s13, s13
; %bb.1040:                             ;   in Loop: Header=BB2_1037 Depth=3
	v_and_b32_e32 v44, 0xffff, v43
	v_or_b32_e32 v45, 0x10000, v43
	s_delay_alu instid0(VALU_DEP_2) | instskip(NEXT) | instid1(VALU_DEP_2)
	v_cmp_eq_u32_e32 vcc_lo, 0, v44
	v_cndmask_b32_e32 v44, v45, v43, vcc_lo
; %bb.1041:                             ;   in Loop: Header=BB2_1037 Depth=3
	s_or_b32 exec_lo, exec_lo, s13
	flat_load_u16 v43, v[40:41] th:TH_LOAD_NT
	v_and_b32_e32 v44, 0xffff0000, v44
	s_wait_loadcnt_dscnt 0x0
	v_lshlrev_b32_e32 v43, 16, v43
	s_delay_alu instid0(VALU_DEP_1) | instskip(NEXT) | instid1(VALU_DEP_1)
	v_add_f32_e32 v43, v44, v43
	v_and_b32_e32 v44, 0x7f800000, v43
	s_delay_alu instid0(VALU_DEP_1) | instskip(SKIP_2) | instid1(SALU_CYCLE_1)
	v_cmp_ne_u32_e32 vcc_lo, 0x7f800000, v44
                                        ; implicit-def: $vgpr44
	s_wait_xcnt 0x0
	s_and_saveexec_b32 s13, vcc_lo
	s_xor_b32 s13, exec_lo, s13
; %bb.1042:                             ;   in Loop: Header=BB2_1037 Depth=3
	v_bfe_u32 v44, v43, 16, 1
	s_delay_alu instid0(VALU_DEP_1)
	v_add3_u32 v44, v43, v44, 0x7fff
                                        ; implicit-def: $vgpr43
; %bb.1043:                             ;   in Loop: Header=BB2_1037 Depth=3
	s_and_not1_saveexec_b32 s13, s13
; %bb.1044:                             ;   in Loop: Header=BB2_1037 Depth=3
	v_and_b32_e32 v44, 0xffff, v43
	v_or_b32_e32 v45, 0x10000, v43
	s_delay_alu instid0(VALU_DEP_2) | instskip(NEXT) | instid1(VALU_DEP_2)
	v_cmp_eq_u32_e32 vcc_lo, 0, v44
	v_cndmask_b32_e32 v44, v45, v43, vcc_lo
; %bb.1045:                             ;   in Loop: Header=BB2_1037 Depth=3
	s_or_b32 exec_lo, exec_lo, s13
	s_delay_alu instid0(VALU_DEP_1)
	v_lshrrev_b32_e32 v43, 16, v44
	s_mov_b64 s[40:41], 0
	s_mov_b32 s63, -1
.LBB2_1046:                             ;   Parent Loop BB2_47 Depth=1
                                        ;     Parent Loop BB2_779 Depth=2
                                        ;       Parent Loop BB2_1037 Depth=3
                                        ; =>      This Inner Loop Header: Depth=4
	s_cmp_eq_u32 s40, 1
	s_cselect_b32 vcc_lo, -1, 0
	s_cmp_eq_u32 s40, 0
	s_wait_xcnt 0x0
	v_dual_cndmask_b32 v45, v9, v11 :: v_dual_cndmask_b32 v44, v8, v10
	s_cselect_b32 s13, -1, 0
	s_and_b32 s14, exec_lo, s63
	s_mov_b64 s[40:41], 1
	s_mov_b32 s63, 0
	v_add_nc_u64_e32 v[46:47], 64, v[44:45]
	flat_store_b16 v[44:45], v43 th:TH_STORE_NT
	v_dual_cndmask_b32 v11, v11, v47 :: v_dual_cndmask_b32 v10, v10, v46
	v_dual_cndmask_b32 v9, v9, v47, s13 :: v_dual_cndmask_b32 v8, v8, v46, s13
	s_mov_b32 vcc_lo, s14
	s_cbranch_vccnz .LBB2_1046
; %bb.1047:                             ;   in Loop: Header=BB2_1037 Depth=3
	v_sub_nc_u32_e32 v103, v103, v64
	v_add_nc_u64_e32 v[118:119], v[118:119], v[82:83]
	v_add_nc_u64_e32 v[40:41], v[40:41], v[82:83]
	;; [unrolled: 1-line block ×4, first 2 shown]
	v_cmp_gt_i32_e32 vcc_lo, 2, v103
	s_or_b32 s62, vcc_lo, s62
	s_wait_xcnt 0x0
	s_and_not1_b32 exec_lo, exec_lo, s62
	s_cbranch_execnz .LBB2_1037
.LBB2_1048:                             ;   in Loop: Header=BB2_779 Depth=2
	s_or_b32 exec_lo, exec_lo, s15
	s_mov_b32 s13, 0
.LBB2_1049:                             ;   in Loop: Header=BB2_779 Depth=2
	s_delay_alu instid0(SALU_CYCLE_1)
	s_and_b32 vcc_lo, exec_lo, s13
	s_cbranch_vccz .LBB2_1244
; %bb.1050:                             ;   in Loop: Header=BB2_779 Depth=2
	s_mov_b32 s13, -1
	s_and_saveexec_b32 s14, s11
	s_cbranch_execz .LBB2_1052
; %bb.1051:                             ;   in Loop: Header=BB2_779 Depth=2
	ds_load_b32 v8, v0 offset:720
	s_wait_dscnt 0x0
	v_and_b32_e32 v8, 15, v8
	s_delay_alu instid0(VALU_DEP_1)
	v_cmp_eq_u32_e32 vcc_lo, 0, v8
	s_or_not1_b32 s13, vcc_lo, exec_lo
.LBB2_1052:                             ;   in Loop: Header=BB2_779 Depth=2
	s_or_b32 exec_lo, exec_lo, s14
	s_and_saveexec_b32 s14, s7
	s_cbranch_execz .LBB2_1054
; %bb.1053:                             ;   in Loop: Header=BB2_779 Depth=2
	ds_load_b32 v8, v0 offset:784
	s_wait_dscnt 0x0
	v_and_b32_e32 v8, 15, v8
	s_delay_alu instid0(VALU_DEP_1) | instskip(SKIP_3) | instid1(SALU_CYCLE_1)
	v_cmp_eq_u32_e32 vcc_lo, 0, v8
	s_and_b32 s15, s13, vcc_lo
	s_and_not1_b32 s13, s13, exec_lo
	s_and_b32 s15, s15, exec_lo
	s_or_b32 s13, s13, s15
.LBB2_1054:                             ;   in Loop: Header=BB2_779 Depth=2
	s_or_b32 exec_lo, exec_lo, s14
	s_xor_b32 s13, s13, -1
	v_mov_b32_e32 v40, 0
	v_cndmask_b32_e64 v8, 0, 1, s13
	s_mov_b32 s15, -1
	s_delay_alu instid0(VALU_DEP_1)
	v_cmp_ne_u32_e32 vcc_lo, 0, v8
	s_cbranch_vccz .LBB2_1056
; %bb.1055:                             ;   in Loop: Header=BB2_779 Depth=2
	v_mov_b32_e32 v41, v0
	s_and_saveexec_b32 s13, s15
	s_cbranch_execnz .LBB2_1195
	s_branch .LBB2_1243
.LBB2_1056:                             ;   in Loop: Header=BB2_779 Depth=2
	v_ashrrev_i32_e32 v8, 31, v101
	s_mov_b32 s14, exec_lo
	v_sub_nc_u32_e32 v44, v101, v36
	s_delay_alu instid0(VALU_DEP_2) | instskip(NEXT) | instid1(VALU_DEP_1)
	v_lshrrev_b32_e32 v8, 23, v8
	v_add_nc_u32_e32 v8, v101, v8
	s_delay_alu instid0(VALU_DEP_1) | instskip(NEXT) | instid1(VALU_DEP_1)
	v_and_b32_e32 v103, 0xfffffe00, v8
	v_dual_ashrrev_i32 v8, 9, v8 :: v_dual_sub_nc_u32 v45, v101, v103
	s_delay_alu instid0(VALU_DEP_1) | instskip(NEXT) | instid1(VALU_DEP_2)
	v_sub_nc_u32_e32 v8, v8, v58
	v_cmp_lt_i32_e32 vcc_lo, 15, v45
	s_delay_alu instid0(VALU_DEP_2)
	v_add_co_ci_u32_e64 v46, null, 0, v8, vcc_lo
	v_cmpx_lt_i32_e32 15, v44
	s_cbranch_execz .LBB2_1124
; %bb.1057:                             ;   in Loop: Header=BB2_779 Depth=2
	s_trap 2
	ds_load_b64 v[8:9], v0
	ds_load_b32 v10, v0
	v_add_nc_u64_e32 v[118:119], v[114:115], v[36:37]
	v_add_nc_u64_e32 v[42:43], v[116:117], v[36:37]
	s_mov_b32 s15, 0
	s_wait_dscnt 0x1
	v_add_nc_u64_e32 v[40:41], v[8:9], v[36:37]
	s_wait_dscnt 0x0
	v_lshlrev_b32_e32 v47, 16, v10
	s_branch .LBB2_1059
.LBB2_1058:                             ;   in Loop: Header=BB2_1059 Depth=3
	s_or_b32 exec_lo, exec_lo, s40
	v_dual_lshrrev_b32 v63, 16, v77 :: v_dual_lshrrev_b32 v72, 16, v72
	v_dual_lshrrev_b32 v74, 16, v75 :: v_dual_lshrrev_b32 v73, 16, v73
	v_sub_nc_u32_e32 v44, v44, v52
	s_delay_alu instid0(VALU_DEP_3) | instskip(NEXT) | instid1(VALU_DEP_4)
	v_and_or_b32 v9, 0xffff0000, v9, v63
	v_and_or_b32 v8, 0xffff0000, v8, v72
	s_delay_alu instid0(VALU_DEP_4)
	v_and_or_b32 v10, 0xffff0000, v10, v74
	v_and_or_b32 v11, 0xffff0000, v11, v73
	v_add_nc_u64_e32 v[118:119], v[118:119], v[52:53]
	v_add_nc_u64_e32 v[40:41], v[40:41], v[52:53]
	v_cmp_gt_i32_e64 s13, 16, v44
	v_sub_nc_u32_e32 v46, v46, v32
	global_store_b128 v[42:43], v[8:11], off th:TH_STORE_NT
	s_wait_xcnt 0x0
	v_add_nc_u64_e32 v[42:43], v[42:43], v[52:53]
	s_or_b32 s15, s13, s15
	s_delay_alu instid0(SALU_CYCLE_1)
	s_and_not1_b32 exec_lo, exec_lo, s15
	s_cbranch_execz .LBB2_1123
.LBB2_1059:                             ;   Parent Loop BB2_47 Depth=1
                                        ;     Parent Loop BB2_779 Depth=2
                                        ; =>    This Inner Loop Header: Depth=3
	global_load_b128 v[8:11], v[118:119], off th:TH_LOAD_NT
	s_wait_loadcnt 0x0
	v_lshlrev_b32_e32 v63, 16, v8
	s_delay_alu instid0(VALU_DEP_1) | instskip(NEXT) | instid1(VALU_DEP_1)
	v_mul_f32_e32 v63, v47, v63
	v_and_b32_e32 v72, 0x7f800000, v63
	s_delay_alu instid0(VALU_DEP_1) | instskip(SKIP_2) | instid1(SALU_CYCLE_1)
	v_cmp_ne_u32_e64 s13, 0x7f800000, v72
                                        ; implicit-def: $vgpr72
	s_wait_xcnt 0x0
	s_and_saveexec_b32 s40, s13
	s_xor_b32 s13, exec_lo, s40
; %bb.1060:                             ;   in Loop: Header=BB2_1059 Depth=3
	v_bfe_u32 v72, v63, 16, 1
	s_delay_alu instid0(VALU_DEP_1)
	v_add3_u32 v72, v63, v72, 0x7fff
                                        ; implicit-def: $vgpr63
; %bb.1061:                             ;   in Loop: Header=BB2_1059 Depth=3
	s_and_not1_saveexec_b32 s40, s13
; %bb.1062:                             ;   in Loop: Header=BB2_1059 Depth=3
	v_and_b32_e32 v72, 0xffff, v63
	v_or_b32_e32 v73, 0x10000, v63
	s_delay_alu instid0(VALU_DEP_2) | instskip(NEXT) | instid1(VALU_DEP_1)
	v_cmp_eq_u32_e64 s13, 0, v72
	v_cndmask_b32_e64 v72, v73, v63, s13
; %bb.1063:                             ;   in Loop: Header=BB2_1059 Depth=3
	s_or_b32 exec_lo, exec_lo, s40
	v_and_b32_e32 v8, 0xffff0000, v8
                                        ; implicit-def: $vgpr78
	s_delay_alu instid0(VALU_DEP_1) | instskip(NEXT) | instid1(VALU_DEP_1)
	v_mul_f32_e32 v8, v47, v8
	v_and_b32_e32 v63, 0x7f800000, v8
	s_delay_alu instid0(VALU_DEP_1) | instskip(SKIP_1) | instid1(SALU_CYCLE_1)
	v_cmp_ne_u32_e64 s13, 0x7f800000, v63
	s_and_saveexec_b32 s40, s13
	s_xor_b32 s13, exec_lo, s40
; %bb.1064:                             ;   in Loop: Header=BB2_1059 Depth=3
	v_bfe_u32 v63, v8, 16, 1
	s_delay_alu instid0(VALU_DEP_1)
	v_add3_u32 v78, v8, v63, 0x7fff
                                        ; implicit-def: $vgpr8
; %bb.1065:                             ;   in Loop: Header=BB2_1059 Depth=3
	s_and_not1_saveexec_b32 s40, s13
; %bb.1066:                             ;   in Loop: Header=BB2_1059 Depth=3
	v_and_b32_e32 v63, 0xffff, v8
	v_or_b32_e32 v73, 0x10000, v8
	s_delay_alu instid0(VALU_DEP_2) | instskip(NEXT) | instid1(VALU_DEP_1)
	v_cmp_eq_u32_e64 s13, 0, v63
	v_cndmask_b32_e64 v78, v73, v8, s13
; %bb.1067:                             ;   in Loop: Header=BB2_1059 Depth=3
	s_or_b32 exec_lo, exec_lo, s40
	v_lshlrev_b32_e32 v8, 16, v9
                                        ; implicit-def: $vgpr77
	s_delay_alu instid0(VALU_DEP_1) | instskip(NEXT) | instid1(VALU_DEP_1)
	v_mul_f32_e32 v8, v47, v8
	v_and_b32_e32 v63, 0x7f800000, v8
	s_delay_alu instid0(VALU_DEP_1) | instskip(SKIP_1) | instid1(SALU_CYCLE_1)
	v_cmp_ne_u32_e64 s13, 0x7f800000, v63
	s_and_saveexec_b32 s40, s13
	s_xor_b32 s13, exec_lo, s40
; %bb.1068:                             ;   in Loop: Header=BB2_1059 Depth=3
	v_bfe_u32 v63, v8, 16, 1
	s_delay_alu instid0(VALU_DEP_1)
	v_add3_u32 v77, v8, v63, 0x7fff
                                        ; implicit-def: $vgpr8
; %bb.1069:                             ;   in Loop: Header=BB2_1059 Depth=3
	s_and_not1_saveexec_b32 s40, s13
; %bb.1070:                             ;   in Loop: Header=BB2_1059 Depth=3
	v_and_b32_e32 v63, 0xffff, v8
	v_or_b32_e32 v73, 0x10000, v8
	s_delay_alu instid0(VALU_DEP_2) | instskip(NEXT) | instid1(VALU_DEP_1)
	v_cmp_eq_u32_e64 s13, 0, v63
	v_cndmask_b32_e64 v77, v73, v8, s13
; %bb.1071:                             ;   in Loop: Header=BB2_1059 Depth=3
	s_or_b32 exec_lo, exec_lo, s40
	v_and_b32_e32 v8, 0xffff0000, v9
                                        ; implicit-def: $vgpr76
	s_delay_alu instid0(VALU_DEP_1) | instskip(NEXT) | instid1(VALU_DEP_1)
	v_mul_f32_e32 v8, v47, v8
	v_and_b32_e32 v9, 0x7f800000, v8
	s_delay_alu instid0(VALU_DEP_1) | instskip(SKIP_1) | instid1(SALU_CYCLE_1)
	v_cmp_ne_u32_e64 s13, 0x7f800000, v9
	s_and_saveexec_b32 s40, s13
	s_xor_b32 s13, exec_lo, s40
; %bb.1072:                             ;   in Loop: Header=BB2_1059 Depth=3
	v_bfe_u32 v9, v8, 16, 1
	s_delay_alu instid0(VALU_DEP_1)
	v_add3_u32 v76, v8, v9, 0x7fff
                                        ; implicit-def: $vgpr8
; %bb.1073:                             ;   in Loop: Header=BB2_1059 Depth=3
	s_and_not1_saveexec_b32 s40, s13
; %bb.1074:                             ;   in Loop: Header=BB2_1059 Depth=3
	v_and_b32_e32 v9, 0xffff, v8
	v_or_b32_e32 v63, 0x10000, v8
	s_delay_alu instid0(VALU_DEP_2) | instskip(NEXT) | instid1(VALU_DEP_1)
	v_cmp_eq_u32_e64 s13, 0, v9
	v_cndmask_b32_e64 v76, v63, v8, s13
; %bb.1075:                             ;   in Loop: Header=BB2_1059 Depth=3
	s_or_b32 exec_lo, exec_lo, s40
	v_lshlrev_b32_e32 v8, 16, v10
                                        ; implicit-def: $vgpr75
	s_delay_alu instid0(VALU_DEP_1) | instskip(NEXT) | instid1(VALU_DEP_1)
	v_mul_f32_e32 v8, v47, v8
	v_and_b32_e32 v9, 0x7f800000, v8
	s_delay_alu instid0(VALU_DEP_1) | instskip(SKIP_1) | instid1(SALU_CYCLE_1)
	v_cmp_ne_u32_e64 s13, 0x7f800000, v9
	s_and_saveexec_b32 s40, s13
	s_xor_b32 s13, exec_lo, s40
; %bb.1076:                             ;   in Loop: Header=BB2_1059 Depth=3
	v_bfe_u32 v9, v8, 16, 1
	s_delay_alu instid0(VALU_DEP_1)
	v_add3_u32 v75, v8, v9, 0x7fff
                                        ; implicit-def: $vgpr8
; %bb.1077:                             ;   in Loop: Header=BB2_1059 Depth=3
	s_and_not1_saveexec_b32 s40, s13
; %bb.1078:                             ;   in Loop: Header=BB2_1059 Depth=3
	v_and_b32_e32 v9, 0xffff, v8
	v_or_b32_e32 v63, 0x10000, v8
	s_delay_alu instid0(VALU_DEP_2) | instskip(NEXT) | instid1(VALU_DEP_1)
	v_cmp_eq_u32_e64 s13, 0, v9
	v_cndmask_b32_e64 v75, v63, v8, s13
; %bb.1079:                             ;   in Loop: Header=BB2_1059 Depth=3
	s_or_b32 exec_lo, exec_lo, s40
	v_and_b32_e32 v8, 0xffff0000, v10
                                        ; implicit-def: $vgpr74
	s_delay_alu instid0(VALU_DEP_1) | instskip(NEXT) | instid1(VALU_DEP_1)
	v_mul_f32_e32 v8, v47, v8
	v_and_b32_e32 v9, 0x7f800000, v8
	s_delay_alu instid0(VALU_DEP_1) | instskip(SKIP_1) | instid1(SALU_CYCLE_1)
	v_cmp_ne_u32_e64 s13, 0x7f800000, v9
	s_and_saveexec_b32 s40, s13
	s_xor_b32 s13, exec_lo, s40
; %bb.1080:                             ;   in Loop: Header=BB2_1059 Depth=3
	v_bfe_u32 v9, v8, 16, 1
	s_delay_alu instid0(VALU_DEP_1)
	v_add3_u32 v74, v8, v9, 0x7fff
                                        ; implicit-def: $vgpr8
; %bb.1081:                             ;   in Loop: Header=BB2_1059 Depth=3
	s_and_not1_saveexec_b32 s40, s13
; %bb.1082:                             ;   in Loop: Header=BB2_1059 Depth=3
	v_and_b32_e32 v9, 0xffff, v8
	v_or_b32_e32 v10, 0x10000, v8
	s_delay_alu instid0(VALU_DEP_2) | instskip(NEXT) | instid1(VALU_DEP_1)
	v_cmp_eq_u32_e64 s13, 0, v9
	v_cndmask_b32_e64 v74, v10, v8, s13
; %bb.1083:                             ;   in Loop: Header=BB2_1059 Depth=3
	s_or_b32 exec_lo, exec_lo, s40
	v_lshlrev_b32_e32 v8, 16, v11
                                        ; implicit-def: $vgpr73
	s_delay_alu instid0(VALU_DEP_1) | instskip(NEXT) | instid1(VALU_DEP_1)
	v_mul_f32_e32 v8, v47, v8
	v_and_b32_e32 v9, 0x7f800000, v8
	s_delay_alu instid0(VALU_DEP_1) | instskip(SKIP_1) | instid1(SALU_CYCLE_1)
	v_cmp_ne_u32_e64 s13, 0x7f800000, v9
	s_and_saveexec_b32 s40, s13
	s_xor_b32 s13, exec_lo, s40
; %bb.1084:                             ;   in Loop: Header=BB2_1059 Depth=3
	v_bfe_u32 v9, v8, 16, 1
	s_delay_alu instid0(VALU_DEP_1)
	v_add3_u32 v73, v8, v9, 0x7fff
                                        ; implicit-def: $vgpr8
; %bb.1085:                             ;   in Loop: Header=BB2_1059 Depth=3
	s_and_not1_saveexec_b32 s40, s13
; %bb.1086:                             ;   in Loop: Header=BB2_1059 Depth=3
	v_and_b32_e32 v9, 0xffff, v8
	v_or_b32_e32 v10, 0x10000, v8
	s_delay_alu instid0(VALU_DEP_2) | instskip(NEXT) | instid1(VALU_DEP_1)
	v_cmp_eq_u32_e64 s13, 0, v9
	v_cndmask_b32_e64 v73, v10, v8, s13
; %bb.1087:                             ;   in Loop: Header=BB2_1059 Depth=3
	s_or_b32 exec_lo, exec_lo, s40
	v_and_b32_e32 v8, 0xffff0000, v11
                                        ; implicit-def: $vgpr63
	s_delay_alu instid0(VALU_DEP_1) | instskip(NEXT) | instid1(VALU_DEP_1)
	v_mul_f32_e32 v8, v47, v8
	v_and_b32_e32 v9, 0x7f800000, v8
	s_delay_alu instid0(VALU_DEP_1) | instskip(SKIP_1) | instid1(SALU_CYCLE_1)
	v_cmp_ne_u32_e64 s13, 0x7f800000, v9
	s_and_saveexec_b32 s40, s13
	s_xor_b32 s13, exec_lo, s40
; %bb.1088:                             ;   in Loop: Header=BB2_1059 Depth=3
	v_bfe_u32 v9, v8, 16, 1
	s_delay_alu instid0(VALU_DEP_1)
	v_add3_u32 v63, v8, v9, 0x7fff
                                        ; implicit-def: $vgpr8
; %bb.1089:                             ;   in Loop: Header=BB2_1059 Depth=3
	s_and_not1_saveexec_b32 s40, s13
; %bb.1090:                             ;   in Loop: Header=BB2_1059 Depth=3
	v_and_b32_e32 v9, 0xffff, v8
	v_or_b32_e32 v10, 0x10000, v8
	s_delay_alu instid0(VALU_DEP_2) | instskip(NEXT) | instid1(VALU_DEP_1)
	v_cmp_eq_u32_e64 s13, 0, v9
	v_cndmask_b32_e64 v63, v10, v8, s13
; %bb.1091:                             ;   in Loop: Header=BB2_1059 Depth=3
	s_or_b32 exec_lo, exec_lo, s40
	global_load_b128 v[8:11], v[40:41], off th:TH_LOAD_NT
	v_and_b32_e32 v72, 0xffff0000, v72
	s_wait_loadcnt 0x0
	v_lshlrev_b32_e32 v79, 16, v8
	s_delay_alu instid0(VALU_DEP_1) | instskip(NEXT) | instid1(VALU_DEP_1)
	v_add_f32_e32 v79, v72, v79
	v_and_b32_e32 v72, 0x7f800000, v79
	s_delay_alu instid0(VALU_DEP_1) | instskip(SKIP_2) | instid1(SALU_CYCLE_1)
	v_cmp_ne_u32_e64 s13, 0x7f800000, v72
                                        ; implicit-def: $vgpr72
	s_wait_xcnt 0x0
	s_and_saveexec_b32 s40, s13
	s_xor_b32 s13, exec_lo, s40
; %bb.1092:                             ;   in Loop: Header=BB2_1059 Depth=3
	v_bfe_u32 v72, v79, 16, 1
	s_delay_alu instid0(VALU_DEP_1)
	v_add3_u32 v72, v79, v72, 0x7fff
                                        ; implicit-def: $vgpr79
; %bb.1093:                             ;   in Loop: Header=BB2_1059 Depth=3
	s_and_not1_saveexec_b32 s40, s13
; %bb.1094:                             ;   in Loop: Header=BB2_1059 Depth=3
	v_and_b32_e32 v72, 0xffff, v79
	v_or_b32_e32 v88, 0x10000, v79
	s_delay_alu instid0(VALU_DEP_2) | instskip(NEXT) | instid1(VALU_DEP_1)
	v_cmp_eq_u32_e64 s13, 0, v72
	v_cndmask_b32_e64 v72, v88, v79, s13
; %bb.1095:                             ;   in Loop: Header=BB2_1059 Depth=3
	s_or_b32 exec_lo, exec_lo, s40
	v_and_b32_e32 v78, 0xffff0000, v78
	v_and_b32_e32 v8, 0xffff0000, v8
	s_delay_alu instid0(VALU_DEP_1) | instskip(NEXT) | instid1(VALU_DEP_1)
	v_add_f32_e32 v78, v78, v8
	v_and_b32_e32 v8, 0x7f800000, v78
	s_delay_alu instid0(VALU_DEP_1) | instskip(SKIP_1) | instid1(SALU_CYCLE_1)
	v_cmp_ne_u32_e64 s13, 0x7f800000, v8
                                        ; implicit-def: $vgpr8
	s_and_saveexec_b32 s40, s13
	s_xor_b32 s13, exec_lo, s40
; %bb.1096:                             ;   in Loop: Header=BB2_1059 Depth=3
	v_bfe_u32 v8, v78, 16, 1
	s_delay_alu instid0(VALU_DEP_1)
	v_add3_u32 v8, v78, v8, 0x7fff
                                        ; implicit-def: $vgpr78
; %bb.1097:                             ;   in Loop: Header=BB2_1059 Depth=3
	s_and_not1_saveexec_b32 s40, s13
; %bb.1098:                             ;   in Loop: Header=BB2_1059 Depth=3
	v_and_b32_e32 v8, 0xffff, v78
	v_or_b32_e32 v79, 0x10000, v78
	s_delay_alu instid0(VALU_DEP_2) | instskip(NEXT) | instid1(VALU_DEP_1)
	v_cmp_eq_u32_e64 s13, 0, v8
	v_cndmask_b32_e64 v8, v79, v78, s13
; %bb.1099:                             ;   in Loop: Header=BB2_1059 Depth=3
	s_or_b32 exec_lo, exec_lo, s40
	v_and_b32_e32 v77, 0xffff0000, v77
	v_lshlrev_b32_e32 v78, 16, v9
	s_delay_alu instid0(VALU_DEP_1) | instskip(NEXT) | instid1(VALU_DEP_1)
	v_add_f32_e32 v78, v77, v78
	v_and_b32_e32 v77, 0x7f800000, v78
	s_delay_alu instid0(VALU_DEP_1) | instskip(SKIP_1) | instid1(SALU_CYCLE_1)
	v_cmp_ne_u32_e64 s13, 0x7f800000, v77
                                        ; implicit-def: $vgpr77
	s_and_saveexec_b32 s40, s13
	s_xor_b32 s13, exec_lo, s40
; %bb.1100:                             ;   in Loop: Header=BB2_1059 Depth=3
	v_bfe_u32 v77, v78, 16, 1
	s_delay_alu instid0(VALU_DEP_1)
	v_add3_u32 v77, v78, v77, 0x7fff
                                        ; implicit-def: $vgpr78
; %bb.1101:                             ;   in Loop: Header=BB2_1059 Depth=3
	s_and_not1_saveexec_b32 s40, s13
; %bb.1102:                             ;   in Loop: Header=BB2_1059 Depth=3
	v_and_b32_e32 v77, 0xffff, v78
	v_or_b32_e32 v79, 0x10000, v78
	s_delay_alu instid0(VALU_DEP_2) | instskip(NEXT) | instid1(VALU_DEP_1)
	v_cmp_eq_u32_e64 s13, 0, v77
	v_cndmask_b32_e64 v77, v79, v78, s13
; %bb.1103:                             ;   in Loop: Header=BB2_1059 Depth=3
	s_or_b32 exec_lo, exec_lo, s40
	v_and_b32_e32 v76, 0xffff0000, v76
	v_and_b32_e32 v9, 0xffff0000, v9
	s_delay_alu instid0(VALU_DEP_1) | instskip(NEXT) | instid1(VALU_DEP_1)
	v_add_f32_e32 v76, v76, v9
	v_and_b32_e32 v9, 0x7f800000, v76
	s_delay_alu instid0(VALU_DEP_1) | instskip(SKIP_1) | instid1(SALU_CYCLE_1)
	v_cmp_ne_u32_e64 s13, 0x7f800000, v9
                                        ; implicit-def: $vgpr9
	s_and_saveexec_b32 s40, s13
	s_xor_b32 s13, exec_lo, s40
; %bb.1104:                             ;   in Loop: Header=BB2_1059 Depth=3
	v_bfe_u32 v9, v76, 16, 1
	s_delay_alu instid0(VALU_DEP_1)
	v_add3_u32 v9, v76, v9, 0x7fff
                                        ; implicit-def: $vgpr76
; %bb.1105:                             ;   in Loop: Header=BB2_1059 Depth=3
	s_and_not1_saveexec_b32 s40, s13
; %bb.1106:                             ;   in Loop: Header=BB2_1059 Depth=3
	v_and_b32_e32 v9, 0xffff, v76
	v_or_b32_e32 v78, 0x10000, v76
	s_delay_alu instid0(VALU_DEP_2) | instskip(NEXT) | instid1(VALU_DEP_1)
	v_cmp_eq_u32_e64 s13, 0, v9
	v_cndmask_b32_e64 v9, v78, v76, s13
; %bb.1107:                             ;   in Loop: Header=BB2_1059 Depth=3
	s_or_b32 exec_lo, exec_lo, s40
	v_and_b32_e32 v75, 0xffff0000, v75
	v_lshlrev_b32_e32 v76, 16, v10
	s_delay_alu instid0(VALU_DEP_1) | instskip(NEXT) | instid1(VALU_DEP_1)
	v_add_f32_e32 v76, v75, v76
	v_and_b32_e32 v75, 0x7f800000, v76
	s_delay_alu instid0(VALU_DEP_1) | instskip(SKIP_1) | instid1(SALU_CYCLE_1)
	v_cmp_ne_u32_e64 s13, 0x7f800000, v75
                                        ; implicit-def: $vgpr75
	s_and_saveexec_b32 s40, s13
	s_xor_b32 s13, exec_lo, s40
; %bb.1108:                             ;   in Loop: Header=BB2_1059 Depth=3
	v_bfe_u32 v75, v76, 16, 1
	s_delay_alu instid0(VALU_DEP_1)
	v_add3_u32 v75, v76, v75, 0x7fff
                                        ; implicit-def: $vgpr76
; %bb.1109:                             ;   in Loop: Header=BB2_1059 Depth=3
	s_and_not1_saveexec_b32 s40, s13
; %bb.1110:                             ;   in Loop: Header=BB2_1059 Depth=3
	v_and_b32_e32 v75, 0xffff, v76
	v_or_b32_e32 v78, 0x10000, v76
	s_delay_alu instid0(VALU_DEP_2) | instskip(NEXT) | instid1(VALU_DEP_1)
	v_cmp_eq_u32_e64 s13, 0, v75
	v_cndmask_b32_e64 v75, v78, v76, s13
; %bb.1111:                             ;   in Loop: Header=BB2_1059 Depth=3
	s_or_b32 exec_lo, exec_lo, s40
	v_and_b32_e32 v74, 0xffff0000, v74
	v_and_b32_e32 v10, 0xffff0000, v10
	s_delay_alu instid0(VALU_DEP_1) | instskip(NEXT) | instid1(VALU_DEP_1)
	v_add_f32_e32 v74, v74, v10
	v_and_b32_e32 v10, 0x7f800000, v74
	s_delay_alu instid0(VALU_DEP_1) | instskip(SKIP_1) | instid1(SALU_CYCLE_1)
	v_cmp_ne_u32_e64 s13, 0x7f800000, v10
                                        ; implicit-def: $vgpr10
	s_and_saveexec_b32 s40, s13
	s_xor_b32 s13, exec_lo, s40
; %bb.1112:                             ;   in Loop: Header=BB2_1059 Depth=3
	v_bfe_u32 v10, v74, 16, 1
	s_delay_alu instid0(VALU_DEP_1)
	v_add3_u32 v10, v74, v10, 0x7fff
                                        ; implicit-def: $vgpr74
; %bb.1113:                             ;   in Loop: Header=BB2_1059 Depth=3
	s_and_not1_saveexec_b32 s40, s13
; %bb.1114:                             ;   in Loop: Header=BB2_1059 Depth=3
	v_and_b32_e32 v10, 0xffff, v74
	v_or_b32_e32 v76, 0x10000, v74
	s_delay_alu instid0(VALU_DEP_2) | instskip(NEXT) | instid1(VALU_DEP_1)
	v_cmp_eq_u32_e64 s13, 0, v10
	v_cndmask_b32_e64 v10, v76, v74, s13
; %bb.1115:                             ;   in Loop: Header=BB2_1059 Depth=3
	s_or_b32 exec_lo, exec_lo, s40
	v_and_b32_e32 v73, 0xffff0000, v73
	v_lshlrev_b32_e32 v74, 16, v11
	s_delay_alu instid0(VALU_DEP_1) | instskip(NEXT) | instid1(VALU_DEP_1)
	v_add_f32_e32 v74, v73, v74
	v_and_b32_e32 v73, 0x7f800000, v74
	s_delay_alu instid0(VALU_DEP_1) | instskip(SKIP_1) | instid1(SALU_CYCLE_1)
	v_cmp_ne_u32_e64 s13, 0x7f800000, v73
                                        ; implicit-def: $vgpr73
	s_and_saveexec_b32 s40, s13
	s_xor_b32 s13, exec_lo, s40
; %bb.1116:                             ;   in Loop: Header=BB2_1059 Depth=3
	v_bfe_u32 v73, v74, 16, 1
	s_delay_alu instid0(VALU_DEP_1)
	v_add3_u32 v73, v74, v73, 0x7fff
                                        ; implicit-def: $vgpr74
; %bb.1117:                             ;   in Loop: Header=BB2_1059 Depth=3
	s_and_not1_saveexec_b32 s40, s13
; %bb.1118:                             ;   in Loop: Header=BB2_1059 Depth=3
	v_and_b32_e32 v73, 0xffff, v74
	v_or_b32_e32 v76, 0x10000, v74
	s_delay_alu instid0(VALU_DEP_2) | instskip(NEXT) | instid1(VALU_DEP_1)
	v_cmp_eq_u32_e64 s13, 0, v73
	v_cndmask_b32_e64 v73, v76, v74, s13
; %bb.1119:                             ;   in Loop: Header=BB2_1059 Depth=3
	s_or_b32 exec_lo, exec_lo, s40
	v_and_b32_e32 v63, 0xffff0000, v63
	v_and_b32_e32 v11, 0xffff0000, v11
	s_delay_alu instid0(VALU_DEP_1) | instskip(NEXT) | instid1(VALU_DEP_1)
	v_add_f32_e32 v63, v63, v11
	v_and_b32_e32 v11, 0x7f800000, v63
	s_delay_alu instid0(VALU_DEP_1) | instskip(SKIP_1) | instid1(SALU_CYCLE_1)
	v_cmp_ne_u32_e64 s13, 0x7f800000, v11
                                        ; implicit-def: $vgpr11
	s_and_saveexec_b32 s40, s13
	s_xor_b32 s13, exec_lo, s40
; %bb.1120:                             ;   in Loop: Header=BB2_1059 Depth=3
	v_bfe_u32 v11, v63, 16, 1
	s_delay_alu instid0(VALU_DEP_1)
	v_add3_u32 v11, v63, v11, 0x7fff
                                        ; implicit-def: $vgpr63
; %bb.1121:                             ;   in Loop: Header=BB2_1059 Depth=3
	s_and_not1_saveexec_b32 s40, s13
	s_cbranch_execz .LBB2_1058
; %bb.1122:                             ;   in Loop: Header=BB2_1059 Depth=3
	v_and_b32_e32 v11, 0xffff, v63
	v_or_b32_e32 v74, 0x10000, v63
	s_delay_alu instid0(VALU_DEP_2) | instskip(NEXT) | instid1(VALU_DEP_1)
	v_cmp_eq_u32_e64 s13, 0, v11
	v_cndmask_b32_e64 v11, v74, v63, s13
	s_branch .LBB2_1058
.LBB2_1123:                             ;   in Loop: Header=BB2_779 Depth=2
	s_or_b32 exec_lo, exec_lo, s15
.LBB2_1124:                             ;   in Loop: Header=BB2_779 Depth=2
	s_delay_alu instid0(SALU_CYCLE_1) | instskip(SKIP_3) | instid1(VALU_DEP_1)
	s_or_b32 exec_lo, exec_lo, s14
	v_dual_mov_b32 v40, 0 :: v_dual_bitop2_b32 v8, 14, v101 bitop3:0x40
	s_mov_b32 s15, 0
	s_mov_b32 s14, exec_lo
                                        ; implicit-def: $vgpr101
                                        ; implicit-def: $vgpr41
	v_cndmask_b32_e32 v44, v45, v8, vcc_lo
	s_delay_alu instid0(VALU_DEP_1)
	v_cmpx_ne_u32_e32 0, v44
	s_cbranch_execz .LBB2_1194
; %bb.1125:                             ;   in Loop: Header=BB2_779 Depth=2
	v_cmp_lt_i32_e64 s13, 0, v46
	s_mov_b32 s15, exec_lo
	v_ashrrev_i32_e32 v11, 31, v44
	v_sub_nc_u32_e32 v118, v45, v8
	s_delay_alu instid0(VALU_DEP_2) | instskip(NEXT) | instid1(VALU_DEP_1)
	v_dual_cndmask_b32 v9, 0, v32, s13 :: v_dual_lshrrev_b32 v11, 23, v11
	v_dual_sub_nc_u32 v9, v9, v46 :: v_dual_add_nc_u32 v11, v44, v11
	s_delay_alu instid0(VALU_DEP_1) | instskip(NEXT) | instid1(VALU_DEP_2)
	v_lshl_or_b32 v9, v9, 5, v57
	v_and_b32_e32 v47, 0xfffffe00, v11
	s_delay_alu instid0(VALU_DEP_2) | instskip(NEXT) | instid1(VALU_DEP_1)
	v_ashrrev_i32_e32 v10, 31, v9
	v_lshrrev_b32_e32 v10, 27, v10
	s_delay_alu instid0(VALU_DEP_1) | instskip(NEXT) | instid1(VALU_DEP_1)
	v_add_nc_u32_e32 v10, v9, v10
	v_and_b32_e32 v101, 0xffffffe0, v10
	s_delay_alu instid0(VALU_DEP_1) | instskip(NEXT) | instid1(VALU_DEP_1)
	v_dual_sub_nc_u32 v46, v9, v101 :: v_dual_ashrrev_i32 v9, 5, v10
	v_dual_sub_nc_u32 v101, v44, v47 :: v_dual_lshlrev_b32 v10, 4, v46
	s_delay_alu instid0(VALU_DEP_1) | instskip(SKIP_1) | instid1(VALU_DEP_3)
	v_lshl_add_u32 v8, v9, 9, v10
	v_dual_cndmask_b32 v10, 0, v118 :: v_dual_ashrrev_i32 v11, 9, v11
	v_cmp_lt_i32_e32 vcc_lo, 15, v101
	s_delay_alu instid0(VALU_DEP_3) | instskip(NEXT) | instid1(VALU_DEP_3)
	v_sub_nc_u32_e32 v63, v44, v8
	v_add_co_ci_u32_e64 v11, null, 0, v11, vcc_lo
	s_delay_alu instid0(VALU_DEP_1) | instskip(NEXT) | instid1(VALU_DEP_3)
	v_dual_add_nc_u32 v103, v10, v103 :: v_dual_sub_nc_u32 v45, v11, v9
	v_cmpx_lt_i32_e32 15, v63
	s_cbranch_execz .LBB2_1193
; %bb.1126:                             ;   in Loop: Header=BB2_779 Depth=2
	s_trap 2
	ds_load_b64 v[10:11], v0
	ds_load_b32 v72, v0
	v_add_nc_u32_e32 v8, v8, v103
	s_mov_b32 s40, 0
	s_wait_dscnt 0x0
	v_lshlrev_b32_e32 v72, 16, v72
	s_delay_alu instid0(VALU_DEP_2) | instskip(NEXT) | instid1(VALU_DEP_1)
	v_ashrrev_i32_e32 v9, 31, v8
	v_add_nc_u64_e32 v[118:119], v[8:9], v[114:115]
	v_add_nc_u64_e32 v[40:41], v[10:11], v[8:9]
	;; [unrolled: 1-line block ×3, first 2 shown]
	s_branch .LBB2_1128
.LBB2_1127:                             ;   in Loop: Header=BB2_1128 Depth=3
	s_or_b32 exec_lo, exec_lo, s41
	v_dual_lshrrev_b32 v73, 16, v79 :: v_dual_lshrrev_b32 v74, 16, v74
	v_dual_lshrrev_b32 v76, 16, v77 :: v_dual_lshrrev_b32 v75, 16, v75
	v_sub_nc_u32_e32 v63, v63, v52
	s_delay_alu instid0(VALU_DEP_3) | instskip(NEXT) | instid1(VALU_DEP_4)
	v_and_or_b32 v9, 0xffff0000, v9, v73
	v_and_or_b32 v8, 0xffff0000, v8, v74
	s_delay_alu instid0(VALU_DEP_4)
	v_and_or_b32 v10, 0xffff0000, v10, v76
	v_and_or_b32 v11, 0xffff0000, v11, v75
	v_add_nc_u64_e32 v[118:119], v[118:119], v[52:53]
	v_add_nc_u64_e32 v[40:41], v[40:41], v[52:53]
	v_cmp_gt_i32_e64 s13, 16, v63
	v_sub_nc_u32_e32 v45, v45, v32
	global_store_b128 v[42:43], v[8:11], off th:TH_STORE_NT
	s_wait_xcnt 0x0
	v_add_nc_u64_e32 v[42:43], v[42:43], v[52:53]
	s_or_b32 s40, s13, s40
	s_delay_alu instid0(SALU_CYCLE_1)
	s_and_not1_b32 exec_lo, exec_lo, s40
	s_cbranch_execz .LBB2_1192
.LBB2_1128:                             ;   Parent Loop BB2_47 Depth=1
                                        ;     Parent Loop BB2_779 Depth=2
                                        ; =>    This Inner Loop Header: Depth=3
	global_load_b128 v[8:11], v[118:119], off th:TH_LOAD_NT
	s_wait_loadcnt 0x0
	v_lshlrev_b32_e32 v73, 16, v8
	s_delay_alu instid0(VALU_DEP_1) | instskip(NEXT) | instid1(VALU_DEP_1)
	v_mul_f32_e32 v73, v72, v73
	v_and_b32_e32 v74, 0x7f800000, v73
	s_delay_alu instid0(VALU_DEP_1) | instskip(SKIP_2) | instid1(SALU_CYCLE_1)
	v_cmp_ne_u32_e64 s13, 0x7f800000, v74
                                        ; implicit-def: $vgpr74
	s_wait_xcnt 0x0
	s_and_saveexec_b32 s41, s13
	s_xor_b32 s13, exec_lo, s41
; %bb.1129:                             ;   in Loop: Header=BB2_1128 Depth=3
	v_bfe_u32 v74, v73, 16, 1
	s_delay_alu instid0(VALU_DEP_1)
	v_add3_u32 v74, v73, v74, 0x7fff
                                        ; implicit-def: $vgpr73
; %bb.1130:                             ;   in Loop: Header=BB2_1128 Depth=3
	s_and_not1_saveexec_b32 s41, s13
; %bb.1131:                             ;   in Loop: Header=BB2_1128 Depth=3
	v_and_b32_e32 v74, 0xffff, v73
	v_or_b32_e32 v75, 0x10000, v73
	s_delay_alu instid0(VALU_DEP_2) | instskip(NEXT) | instid1(VALU_DEP_1)
	v_cmp_eq_u32_e64 s13, 0, v74
	v_cndmask_b32_e64 v74, v75, v73, s13
; %bb.1132:                             ;   in Loop: Header=BB2_1128 Depth=3
	s_or_b32 exec_lo, exec_lo, s41
	v_and_b32_e32 v8, 0xffff0000, v8
                                        ; implicit-def: $vgpr88
	s_delay_alu instid0(VALU_DEP_1) | instskip(NEXT) | instid1(VALU_DEP_1)
	v_mul_f32_e32 v8, v72, v8
	v_and_b32_e32 v73, 0x7f800000, v8
	s_delay_alu instid0(VALU_DEP_1) | instskip(SKIP_1) | instid1(SALU_CYCLE_1)
	v_cmp_ne_u32_e64 s13, 0x7f800000, v73
	s_and_saveexec_b32 s41, s13
	s_xor_b32 s13, exec_lo, s41
; %bb.1133:                             ;   in Loop: Header=BB2_1128 Depth=3
	v_bfe_u32 v73, v8, 16, 1
	s_delay_alu instid0(VALU_DEP_1)
	v_add3_u32 v88, v8, v73, 0x7fff
                                        ; implicit-def: $vgpr8
; %bb.1134:                             ;   in Loop: Header=BB2_1128 Depth=3
	s_and_not1_saveexec_b32 s41, s13
; %bb.1135:                             ;   in Loop: Header=BB2_1128 Depth=3
	v_and_b32_e32 v73, 0xffff, v8
	v_or_b32_e32 v75, 0x10000, v8
	s_delay_alu instid0(VALU_DEP_2) | instskip(NEXT) | instid1(VALU_DEP_1)
	v_cmp_eq_u32_e64 s13, 0, v73
	v_cndmask_b32_e64 v88, v75, v8, s13
; %bb.1136:                             ;   in Loop: Header=BB2_1128 Depth=3
	s_or_b32 exec_lo, exec_lo, s41
	v_lshlrev_b32_e32 v8, 16, v9
                                        ; implicit-def: $vgpr79
	s_delay_alu instid0(VALU_DEP_1) | instskip(NEXT) | instid1(VALU_DEP_1)
	v_mul_f32_e32 v8, v72, v8
	v_and_b32_e32 v73, 0x7f800000, v8
	s_delay_alu instid0(VALU_DEP_1) | instskip(SKIP_1) | instid1(SALU_CYCLE_1)
	v_cmp_ne_u32_e64 s13, 0x7f800000, v73
	s_and_saveexec_b32 s41, s13
	s_xor_b32 s13, exec_lo, s41
; %bb.1137:                             ;   in Loop: Header=BB2_1128 Depth=3
	v_bfe_u32 v73, v8, 16, 1
	s_delay_alu instid0(VALU_DEP_1)
	v_add3_u32 v79, v8, v73, 0x7fff
                                        ; implicit-def: $vgpr8
; %bb.1138:                             ;   in Loop: Header=BB2_1128 Depth=3
	s_and_not1_saveexec_b32 s41, s13
; %bb.1139:                             ;   in Loop: Header=BB2_1128 Depth=3
	v_and_b32_e32 v73, 0xffff, v8
	v_or_b32_e32 v75, 0x10000, v8
	s_delay_alu instid0(VALU_DEP_2) | instskip(NEXT) | instid1(VALU_DEP_1)
	v_cmp_eq_u32_e64 s13, 0, v73
	v_cndmask_b32_e64 v79, v75, v8, s13
; %bb.1140:                             ;   in Loop: Header=BB2_1128 Depth=3
	s_or_b32 exec_lo, exec_lo, s41
	v_and_b32_e32 v8, 0xffff0000, v9
                                        ; implicit-def: $vgpr78
	s_delay_alu instid0(VALU_DEP_1) | instskip(NEXT) | instid1(VALU_DEP_1)
	v_mul_f32_e32 v8, v72, v8
	v_and_b32_e32 v9, 0x7f800000, v8
	s_delay_alu instid0(VALU_DEP_1) | instskip(SKIP_1) | instid1(SALU_CYCLE_1)
	v_cmp_ne_u32_e64 s13, 0x7f800000, v9
	s_and_saveexec_b32 s41, s13
	s_xor_b32 s13, exec_lo, s41
; %bb.1141:                             ;   in Loop: Header=BB2_1128 Depth=3
	v_bfe_u32 v9, v8, 16, 1
	s_delay_alu instid0(VALU_DEP_1)
	v_add3_u32 v78, v8, v9, 0x7fff
                                        ; implicit-def: $vgpr8
; %bb.1142:                             ;   in Loop: Header=BB2_1128 Depth=3
	s_and_not1_saveexec_b32 s41, s13
; %bb.1143:                             ;   in Loop: Header=BB2_1128 Depth=3
	v_and_b32_e32 v9, 0xffff, v8
	v_or_b32_e32 v73, 0x10000, v8
	s_delay_alu instid0(VALU_DEP_2) | instskip(NEXT) | instid1(VALU_DEP_1)
	v_cmp_eq_u32_e64 s13, 0, v9
	v_cndmask_b32_e64 v78, v73, v8, s13
; %bb.1144:                             ;   in Loop: Header=BB2_1128 Depth=3
	s_or_b32 exec_lo, exec_lo, s41
	v_lshlrev_b32_e32 v8, 16, v10
                                        ; implicit-def: $vgpr77
	s_delay_alu instid0(VALU_DEP_1) | instskip(NEXT) | instid1(VALU_DEP_1)
	v_mul_f32_e32 v8, v72, v8
	v_and_b32_e32 v9, 0x7f800000, v8
	s_delay_alu instid0(VALU_DEP_1) | instskip(SKIP_1) | instid1(SALU_CYCLE_1)
	v_cmp_ne_u32_e64 s13, 0x7f800000, v9
	s_and_saveexec_b32 s41, s13
	s_xor_b32 s13, exec_lo, s41
; %bb.1145:                             ;   in Loop: Header=BB2_1128 Depth=3
	v_bfe_u32 v9, v8, 16, 1
	s_delay_alu instid0(VALU_DEP_1)
	v_add3_u32 v77, v8, v9, 0x7fff
                                        ; implicit-def: $vgpr8
; %bb.1146:                             ;   in Loop: Header=BB2_1128 Depth=3
	s_and_not1_saveexec_b32 s41, s13
; %bb.1147:                             ;   in Loop: Header=BB2_1128 Depth=3
	v_and_b32_e32 v9, 0xffff, v8
	v_or_b32_e32 v73, 0x10000, v8
	s_delay_alu instid0(VALU_DEP_2) | instskip(NEXT) | instid1(VALU_DEP_1)
	v_cmp_eq_u32_e64 s13, 0, v9
	v_cndmask_b32_e64 v77, v73, v8, s13
; %bb.1148:                             ;   in Loop: Header=BB2_1128 Depth=3
	s_or_b32 exec_lo, exec_lo, s41
	v_and_b32_e32 v8, 0xffff0000, v10
                                        ; implicit-def: $vgpr76
	s_delay_alu instid0(VALU_DEP_1) | instskip(NEXT) | instid1(VALU_DEP_1)
	v_mul_f32_e32 v8, v72, v8
	v_and_b32_e32 v9, 0x7f800000, v8
	s_delay_alu instid0(VALU_DEP_1) | instskip(SKIP_1) | instid1(SALU_CYCLE_1)
	v_cmp_ne_u32_e64 s13, 0x7f800000, v9
	s_and_saveexec_b32 s41, s13
	s_xor_b32 s13, exec_lo, s41
; %bb.1149:                             ;   in Loop: Header=BB2_1128 Depth=3
	v_bfe_u32 v9, v8, 16, 1
	s_delay_alu instid0(VALU_DEP_1)
	v_add3_u32 v76, v8, v9, 0x7fff
                                        ; implicit-def: $vgpr8
; %bb.1150:                             ;   in Loop: Header=BB2_1128 Depth=3
	s_and_not1_saveexec_b32 s41, s13
; %bb.1151:                             ;   in Loop: Header=BB2_1128 Depth=3
	v_and_b32_e32 v9, 0xffff, v8
	v_or_b32_e32 v10, 0x10000, v8
	s_delay_alu instid0(VALU_DEP_2) | instskip(NEXT) | instid1(VALU_DEP_1)
	v_cmp_eq_u32_e64 s13, 0, v9
	v_cndmask_b32_e64 v76, v10, v8, s13
; %bb.1152:                             ;   in Loop: Header=BB2_1128 Depth=3
	s_or_b32 exec_lo, exec_lo, s41
	v_lshlrev_b32_e32 v8, 16, v11
                                        ; implicit-def: $vgpr75
	s_delay_alu instid0(VALU_DEP_1) | instskip(NEXT) | instid1(VALU_DEP_1)
	v_mul_f32_e32 v8, v72, v8
	v_and_b32_e32 v9, 0x7f800000, v8
	s_delay_alu instid0(VALU_DEP_1) | instskip(SKIP_1) | instid1(SALU_CYCLE_1)
	v_cmp_ne_u32_e64 s13, 0x7f800000, v9
	s_and_saveexec_b32 s41, s13
	s_xor_b32 s13, exec_lo, s41
; %bb.1153:                             ;   in Loop: Header=BB2_1128 Depth=3
	v_bfe_u32 v9, v8, 16, 1
	s_delay_alu instid0(VALU_DEP_1)
	v_add3_u32 v75, v8, v9, 0x7fff
                                        ; implicit-def: $vgpr8
; %bb.1154:                             ;   in Loop: Header=BB2_1128 Depth=3
	s_and_not1_saveexec_b32 s41, s13
; %bb.1155:                             ;   in Loop: Header=BB2_1128 Depth=3
	v_and_b32_e32 v9, 0xffff, v8
	v_or_b32_e32 v10, 0x10000, v8
	s_delay_alu instid0(VALU_DEP_2) | instskip(NEXT) | instid1(VALU_DEP_1)
	v_cmp_eq_u32_e64 s13, 0, v9
	v_cndmask_b32_e64 v75, v10, v8, s13
; %bb.1156:                             ;   in Loop: Header=BB2_1128 Depth=3
	s_or_b32 exec_lo, exec_lo, s41
	v_and_b32_e32 v8, 0xffff0000, v11
                                        ; implicit-def: $vgpr73
	s_delay_alu instid0(VALU_DEP_1) | instskip(NEXT) | instid1(VALU_DEP_1)
	v_mul_f32_e32 v8, v72, v8
	v_and_b32_e32 v9, 0x7f800000, v8
	s_delay_alu instid0(VALU_DEP_1) | instskip(SKIP_1) | instid1(SALU_CYCLE_1)
	v_cmp_ne_u32_e64 s13, 0x7f800000, v9
	s_and_saveexec_b32 s41, s13
	s_xor_b32 s13, exec_lo, s41
; %bb.1157:                             ;   in Loop: Header=BB2_1128 Depth=3
	v_bfe_u32 v9, v8, 16, 1
	s_delay_alu instid0(VALU_DEP_1)
	v_add3_u32 v73, v8, v9, 0x7fff
                                        ; implicit-def: $vgpr8
; %bb.1158:                             ;   in Loop: Header=BB2_1128 Depth=3
	s_and_not1_saveexec_b32 s41, s13
; %bb.1159:                             ;   in Loop: Header=BB2_1128 Depth=3
	v_and_b32_e32 v9, 0xffff, v8
	v_or_b32_e32 v10, 0x10000, v8
	s_delay_alu instid0(VALU_DEP_2) | instskip(NEXT) | instid1(VALU_DEP_1)
	v_cmp_eq_u32_e64 s13, 0, v9
	v_cndmask_b32_e64 v73, v10, v8, s13
; %bb.1160:                             ;   in Loop: Header=BB2_1128 Depth=3
	s_or_b32 exec_lo, exec_lo, s41
	global_load_b128 v[8:11], v[40:41], off th:TH_LOAD_NT
	v_and_b32_e32 v74, 0xffff0000, v74
	s_wait_loadcnt 0x0
	v_lshlrev_b32_e32 v89, 16, v8
	s_delay_alu instid0(VALU_DEP_1) | instskip(NEXT) | instid1(VALU_DEP_1)
	v_add_f32_e32 v89, v74, v89
	v_and_b32_e32 v74, 0x7f800000, v89
	s_delay_alu instid0(VALU_DEP_1) | instskip(SKIP_2) | instid1(SALU_CYCLE_1)
	v_cmp_ne_u32_e64 s13, 0x7f800000, v74
                                        ; implicit-def: $vgpr74
	s_wait_xcnt 0x0
	s_and_saveexec_b32 s41, s13
	s_xor_b32 s13, exec_lo, s41
; %bb.1161:                             ;   in Loop: Header=BB2_1128 Depth=3
	v_bfe_u32 v74, v89, 16, 1
	s_delay_alu instid0(VALU_DEP_1)
	v_add3_u32 v74, v89, v74, 0x7fff
                                        ; implicit-def: $vgpr89
; %bb.1162:                             ;   in Loop: Header=BB2_1128 Depth=3
	s_and_not1_saveexec_b32 s41, s13
; %bb.1163:                             ;   in Loop: Header=BB2_1128 Depth=3
	v_and_b32_e32 v74, 0xffff, v89
	v_or_b32_e32 v90, 0x10000, v89
	s_delay_alu instid0(VALU_DEP_2) | instskip(NEXT) | instid1(VALU_DEP_1)
	v_cmp_eq_u32_e64 s13, 0, v74
	v_cndmask_b32_e64 v74, v90, v89, s13
; %bb.1164:                             ;   in Loop: Header=BB2_1128 Depth=3
	s_or_b32 exec_lo, exec_lo, s41
	v_and_b32_e32 v88, 0xffff0000, v88
	v_and_b32_e32 v8, 0xffff0000, v8
	s_delay_alu instid0(VALU_DEP_1) | instskip(NEXT) | instid1(VALU_DEP_1)
	v_add_f32_e32 v88, v88, v8
	v_and_b32_e32 v8, 0x7f800000, v88
	s_delay_alu instid0(VALU_DEP_1) | instskip(SKIP_1) | instid1(SALU_CYCLE_1)
	v_cmp_ne_u32_e64 s13, 0x7f800000, v8
                                        ; implicit-def: $vgpr8
	s_and_saveexec_b32 s41, s13
	s_xor_b32 s13, exec_lo, s41
; %bb.1165:                             ;   in Loop: Header=BB2_1128 Depth=3
	v_bfe_u32 v8, v88, 16, 1
	s_delay_alu instid0(VALU_DEP_1)
	v_add3_u32 v8, v88, v8, 0x7fff
                                        ; implicit-def: $vgpr88
; %bb.1166:                             ;   in Loop: Header=BB2_1128 Depth=3
	s_and_not1_saveexec_b32 s41, s13
; %bb.1167:                             ;   in Loop: Header=BB2_1128 Depth=3
	v_and_b32_e32 v8, 0xffff, v88
	v_or_b32_e32 v89, 0x10000, v88
	s_delay_alu instid0(VALU_DEP_2) | instskip(NEXT) | instid1(VALU_DEP_1)
	v_cmp_eq_u32_e64 s13, 0, v8
	v_cndmask_b32_e64 v8, v89, v88, s13
; %bb.1168:                             ;   in Loop: Header=BB2_1128 Depth=3
	s_or_b32 exec_lo, exec_lo, s41
	v_and_b32_e32 v79, 0xffff0000, v79
	v_lshlrev_b32_e32 v88, 16, v9
	s_delay_alu instid0(VALU_DEP_1) | instskip(NEXT) | instid1(VALU_DEP_1)
	v_add_f32_e32 v88, v79, v88
	v_and_b32_e32 v79, 0x7f800000, v88
	s_delay_alu instid0(VALU_DEP_1) | instskip(SKIP_1) | instid1(SALU_CYCLE_1)
	v_cmp_ne_u32_e64 s13, 0x7f800000, v79
                                        ; implicit-def: $vgpr79
	s_and_saveexec_b32 s41, s13
	s_xor_b32 s13, exec_lo, s41
; %bb.1169:                             ;   in Loop: Header=BB2_1128 Depth=3
	v_bfe_u32 v79, v88, 16, 1
	s_delay_alu instid0(VALU_DEP_1)
	v_add3_u32 v79, v88, v79, 0x7fff
                                        ; implicit-def: $vgpr88
; %bb.1170:                             ;   in Loop: Header=BB2_1128 Depth=3
	s_and_not1_saveexec_b32 s41, s13
; %bb.1171:                             ;   in Loop: Header=BB2_1128 Depth=3
	v_and_b32_e32 v79, 0xffff, v88
	v_or_b32_e32 v89, 0x10000, v88
	s_delay_alu instid0(VALU_DEP_2) | instskip(NEXT) | instid1(VALU_DEP_1)
	v_cmp_eq_u32_e64 s13, 0, v79
	v_cndmask_b32_e64 v79, v89, v88, s13
; %bb.1172:                             ;   in Loop: Header=BB2_1128 Depth=3
	s_or_b32 exec_lo, exec_lo, s41
	v_and_b32_e32 v78, 0xffff0000, v78
	v_and_b32_e32 v9, 0xffff0000, v9
	s_delay_alu instid0(VALU_DEP_1) | instskip(NEXT) | instid1(VALU_DEP_1)
	v_add_f32_e32 v78, v78, v9
	v_and_b32_e32 v9, 0x7f800000, v78
	s_delay_alu instid0(VALU_DEP_1) | instskip(SKIP_1) | instid1(SALU_CYCLE_1)
	v_cmp_ne_u32_e64 s13, 0x7f800000, v9
                                        ; implicit-def: $vgpr9
	s_and_saveexec_b32 s41, s13
	s_xor_b32 s13, exec_lo, s41
; %bb.1173:                             ;   in Loop: Header=BB2_1128 Depth=3
	v_bfe_u32 v9, v78, 16, 1
	s_delay_alu instid0(VALU_DEP_1)
	v_add3_u32 v9, v78, v9, 0x7fff
                                        ; implicit-def: $vgpr78
; %bb.1174:                             ;   in Loop: Header=BB2_1128 Depth=3
	s_and_not1_saveexec_b32 s41, s13
; %bb.1175:                             ;   in Loop: Header=BB2_1128 Depth=3
	v_and_b32_e32 v9, 0xffff, v78
	v_or_b32_e32 v88, 0x10000, v78
	s_delay_alu instid0(VALU_DEP_2) | instskip(NEXT) | instid1(VALU_DEP_1)
	v_cmp_eq_u32_e64 s13, 0, v9
	v_cndmask_b32_e64 v9, v88, v78, s13
; %bb.1176:                             ;   in Loop: Header=BB2_1128 Depth=3
	s_or_b32 exec_lo, exec_lo, s41
	v_and_b32_e32 v77, 0xffff0000, v77
	v_lshlrev_b32_e32 v78, 16, v10
	s_delay_alu instid0(VALU_DEP_1) | instskip(NEXT) | instid1(VALU_DEP_1)
	v_add_f32_e32 v78, v77, v78
	v_and_b32_e32 v77, 0x7f800000, v78
	s_delay_alu instid0(VALU_DEP_1) | instskip(SKIP_1) | instid1(SALU_CYCLE_1)
	v_cmp_ne_u32_e64 s13, 0x7f800000, v77
                                        ; implicit-def: $vgpr77
	s_and_saveexec_b32 s41, s13
	s_xor_b32 s13, exec_lo, s41
; %bb.1177:                             ;   in Loop: Header=BB2_1128 Depth=3
	v_bfe_u32 v77, v78, 16, 1
	s_delay_alu instid0(VALU_DEP_1)
	v_add3_u32 v77, v78, v77, 0x7fff
                                        ; implicit-def: $vgpr78
; %bb.1178:                             ;   in Loop: Header=BB2_1128 Depth=3
	s_and_not1_saveexec_b32 s41, s13
; %bb.1179:                             ;   in Loop: Header=BB2_1128 Depth=3
	v_and_b32_e32 v77, 0xffff, v78
	v_or_b32_e32 v88, 0x10000, v78
	s_delay_alu instid0(VALU_DEP_2) | instskip(NEXT) | instid1(VALU_DEP_1)
	v_cmp_eq_u32_e64 s13, 0, v77
	v_cndmask_b32_e64 v77, v88, v78, s13
; %bb.1180:                             ;   in Loop: Header=BB2_1128 Depth=3
	s_or_b32 exec_lo, exec_lo, s41
	v_and_b32_e32 v76, 0xffff0000, v76
	v_and_b32_e32 v10, 0xffff0000, v10
	s_delay_alu instid0(VALU_DEP_1) | instskip(NEXT) | instid1(VALU_DEP_1)
	v_add_f32_e32 v76, v76, v10
	v_and_b32_e32 v10, 0x7f800000, v76
	s_delay_alu instid0(VALU_DEP_1) | instskip(SKIP_1) | instid1(SALU_CYCLE_1)
	v_cmp_ne_u32_e64 s13, 0x7f800000, v10
                                        ; implicit-def: $vgpr10
	s_and_saveexec_b32 s41, s13
	s_xor_b32 s13, exec_lo, s41
; %bb.1181:                             ;   in Loop: Header=BB2_1128 Depth=3
	v_bfe_u32 v10, v76, 16, 1
	s_delay_alu instid0(VALU_DEP_1)
	v_add3_u32 v10, v76, v10, 0x7fff
                                        ; implicit-def: $vgpr76
; %bb.1182:                             ;   in Loop: Header=BB2_1128 Depth=3
	s_and_not1_saveexec_b32 s41, s13
; %bb.1183:                             ;   in Loop: Header=BB2_1128 Depth=3
	v_and_b32_e32 v10, 0xffff, v76
	v_or_b32_e32 v78, 0x10000, v76
	s_delay_alu instid0(VALU_DEP_2) | instskip(NEXT) | instid1(VALU_DEP_1)
	v_cmp_eq_u32_e64 s13, 0, v10
	v_cndmask_b32_e64 v10, v78, v76, s13
; %bb.1184:                             ;   in Loop: Header=BB2_1128 Depth=3
	s_or_b32 exec_lo, exec_lo, s41
	v_and_b32_e32 v75, 0xffff0000, v75
	v_lshlrev_b32_e32 v76, 16, v11
	s_delay_alu instid0(VALU_DEP_1) | instskip(NEXT) | instid1(VALU_DEP_1)
	v_add_f32_e32 v76, v75, v76
	v_and_b32_e32 v75, 0x7f800000, v76
	s_delay_alu instid0(VALU_DEP_1) | instskip(SKIP_1) | instid1(SALU_CYCLE_1)
	v_cmp_ne_u32_e64 s13, 0x7f800000, v75
                                        ; implicit-def: $vgpr75
	s_and_saveexec_b32 s41, s13
	s_xor_b32 s13, exec_lo, s41
; %bb.1185:                             ;   in Loop: Header=BB2_1128 Depth=3
	v_bfe_u32 v75, v76, 16, 1
	s_delay_alu instid0(VALU_DEP_1)
	v_add3_u32 v75, v76, v75, 0x7fff
                                        ; implicit-def: $vgpr76
; %bb.1186:                             ;   in Loop: Header=BB2_1128 Depth=3
	s_and_not1_saveexec_b32 s41, s13
; %bb.1187:                             ;   in Loop: Header=BB2_1128 Depth=3
	v_and_b32_e32 v75, 0xffff, v76
	v_or_b32_e32 v78, 0x10000, v76
	s_delay_alu instid0(VALU_DEP_2) | instskip(NEXT) | instid1(VALU_DEP_1)
	v_cmp_eq_u32_e64 s13, 0, v75
	v_cndmask_b32_e64 v75, v78, v76, s13
; %bb.1188:                             ;   in Loop: Header=BB2_1128 Depth=3
	s_or_b32 exec_lo, exec_lo, s41
	v_and_b32_e32 v73, 0xffff0000, v73
	v_and_b32_e32 v11, 0xffff0000, v11
	s_delay_alu instid0(VALU_DEP_1) | instskip(NEXT) | instid1(VALU_DEP_1)
	v_add_f32_e32 v73, v73, v11
	v_and_b32_e32 v11, 0x7f800000, v73
	s_delay_alu instid0(VALU_DEP_1) | instskip(SKIP_1) | instid1(SALU_CYCLE_1)
	v_cmp_ne_u32_e64 s13, 0x7f800000, v11
                                        ; implicit-def: $vgpr11
	s_and_saveexec_b32 s41, s13
	s_xor_b32 s13, exec_lo, s41
; %bb.1189:                             ;   in Loop: Header=BB2_1128 Depth=3
	v_bfe_u32 v11, v73, 16, 1
	s_delay_alu instid0(VALU_DEP_1)
	v_add3_u32 v11, v73, v11, 0x7fff
                                        ; implicit-def: $vgpr73
; %bb.1190:                             ;   in Loop: Header=BB2_1128 Depth=3
	s_and_not1_saveexec_b32 s41, s13
	s_cbranch_execz .LBB2_1127
; %bb.1191:                             ;   in Loop: Header=BB2_1128 Depth=3
	v_and_b32_e32 v11, 0xffff, v73
	v_or_b32_e32 v76, 0x10000, v73
	s_delay_alu instid0(VALU_DEP_2) | instskip(NEXT) | instid1(VALU_DEP_1)
	v_cmp_eq_u32_e64 s13, 0, v11
	v_cndmask_b32_e64 v11, v76, v73, s13
	s_branch .LBB2_1127
.LBB2_1192:                             ;   in Loop: Header=BB2_779 Depth=2
	s_or_b32 exec_lo, exec_lo, s40
.LBB2_1193:                             ;   in Loop: Header=BB2_779 Depth=2
	s_delay_alu instid0(SALU_CYCLE_1) | instskip(NEXT) | instid1(VALU_DEP_2)
	s_or_b32 exec_lo, exec_lo, s15
	v_cmp_lt_i32_e64 s13, 0, v45
	s_delay_alu instid0(VALU_DEP_1) | instskip(SKIP_1) | instid1(VALU_DEP_1)
	v_cndmask_b32_e64 v10, 0, v32, s13
	v_and_b32_e32 v8, 14, v44
	v_dual_sub_nc_u32 v9, v101, v8 :: v_dual_cndmask_b32 v101, v101, v8, vcc_lo
	s_delay_alu instid0(VALU_DEP_1) | instskip(NEXT) | instid1(VALU_DEP_4)
	v_cndmask_b32_e32 v8, 0, v9, vcc_lo
	v_sub_nc_u32_e32 v9, v10, v45
	s_delay_alu instid0(VALU_DEP_3) | instskip(NEXT) | instid1(VALU_DEP_3)
	v_cmp_ne_u32_e32 vcc_lo, 0, v101
	v_add3_u32 v40, v47, v103, v8
	s_delay_alu instid0(VALU_DEP_3)
	v_lshl_add_u32 v41, v9, 5, v46
	s_and_b32 s15, vcc_lo, exec_lo
.LBB2_1194:                             ;   in Loop: Header=BB2_779 Depth=2
	s_or_b32 exec_lo, exec_lo, s14
	s_and_saveexec_b32 s13, s15
	s_cbranch_execz .LBB2_1243
.LBB2_1195:                             ;   in Loop: Header=BB2_779 Depth=2
	v_ashrrev_i32_e32 v9, 31, v101
	s_mov_b32 s14, exec_lo
	s_delay_alu instid0(VALU_DEP_1) | instskip(NEXT) | instid1(VALU_DEP_1)
	v_lshrrev_b32_e32 v9, 24, v9
	v_add_nc_u32_e32 v9, v101, v9
	s_delay_alu instid0(VALU_DEP_1) | instskip(SKIP_1) | instid1(VALU_DEP_1)
	v_ashrrev_i32_e32 v43, 8, v9
	v_ashrrev_i32_e32 v8, 31, v41
	v_lshrrev_b32_e32 v8, 27, v8
	s_delay_alu instid0(VALU_DEP_1) | instskip(NEXT) | instid1(VALU_DEP_1)
	v_add_nc_u32_e32 v8, v41, v8
	v_ashrrev_i32_e32 v103, 5, v8
	s_delay_alu instid0(VALU_DEP_1) | instskip(NEXT) | instid1(VALU_DEP_1)
	v_sub_nc_u32_e32 v42, v43, v103
	v_cmpx_lt_i32_e32 0, v42
	s_cbranch_execz .LBB2_1231
; %bb.1196:                             ;   in Loop: Header=BB2_779 Depth=2
	v_and_b32_e32 v8, 0x7fffffe0, v8
	s_trap 2
	ds_load_b64 v[10:11], v0
	ds_load_b32 v44, v0
	s_mov_b32 s15, 0
	v_dual_sub_nc_u32 v8, v41, v8 :: v_dual_lshlrev_b32 v9, 8, v103
	s_delay_alu instid0(VALU_DEP_1) | instskip(NEXT) | instid1(VALU_DEP_1)
	v_lshlrev_b32_e32 v8, 1, v8
	v_add3_u32 v118, v8, v40, v9
	s_wait_dscnt 0x0
	s_delay_alu instid0(VALU_DEP_1) | instskip(NEXT) | instid1(VALU_DEP_1)
	v_dual_ashrrev_i32 v119, 31, v118 :: v_dual_lshlrev_b32 v44, 16, v44
	v_add_nc_u64_e32 v[8:9], v[118:119], v[114:115]
	v_add_nc_u64_e32 v[10:11], v[10:11], v[118:119]
	;; [unrolled: 1-line block ×3, first 2 shown]
	s_branch .LBB2_1198
.LBB2_1197:                             ;   in Loop: Header=BB2_1198 Depth=3
	s_or_b32 exec_lo, exec_lo, s40
	v_sub_nc_u32_e32 v42, v42, v32
	s_clause 0x3
	flat_store_d16_hi_b16 v[118:119], v45 th:TH_STORE_NT
	flat_store_d16_hi_b16 v[118:119], v46 offset:64 th:TH_STORE_NT
	flat_store_d16_hi_b16 v[118:119], v47 offset:128 th:TH_STORE_NT
	flat_store_d16_hi_b16 v[118:119], v63 offset:192 th:TH_STORE_NT
	v_add_nc_u64_e32 v[8:9], v[8:9], v[54:55]
	v_add_nc_u64_e32 v[10:11], v[10:11], v[54:55]
	s_wait_xcnt 0x0
	v_add_nc_u64_e32 v[118:119], v[118:119], v[54:55]
	v_cmp_gt_i32_e32 vcc_lo, 1, v42
	s_or_b32 s15, vcc_lo, s15
	s_delay_alu instid0(SALU_CYCLE_1)
	s_and_not1_b32 exec_lo, exec_lo, s15
	s_cbranch_execz .LBB2_1230
.LBB2_1198:                             ;   Parent Loop BB2_47 Depth=1
                                        ;     Parent Loop BB2_779 Depth=2
                                        ; =>    This Inner Loop Header: Depth=3
	flat_load_u16 v45, v[8:9] th:TH_LOAD_NT
	s_wait_loadcnt_dscnt 0x0
	v_lshlrev_b32_e32 v45, 16, v45
	s_delay_alu instid0(VALU_DEP_1) | instskip(NEXT) | instid1(VALU_DEP_1)
	v_mul_f32_e32 v46, v44, v45
	v_and_b32_e32 v45, 0x7f800000, v46
	s_delay_alu instid0(VALU_DEP_1) | instskip(SKIP_2) | instid1(SALU_CYCLE_1)
	v_cmp_ne_u32_e32 vcc_lo, 0x7f800000, v45
                                        ; implicit-def: $vgpr45
	s_wait_xcnt 0x0
	s_and_saveexec_b32 s40, vcc_lo
	s_xor_b32 s40, exec_lo, s40
; %bb.1199:                             ;   in Loop: Header=BB2_1198 Depth=3
	v_bfe_u32 v45, v46, 16, 1
	s_delay_alu instid0(VALU_DEP_1)
	v_add3_u32 v45, v46, v45, 0x7fff
                                        ; implicit-def: $vgpr46
; %bb.1200:                             ;   in Loop: Header=BB2_1198 Depth=3
	s_and_not1_saveexec_b32 s40, s40
; %bb.1201:                             ;   in Loop: Header=BB2_1198 Depth=3
	v_and_b32_e32 v45, 0xffff, v46
	v_or_b32_e32 v47, 0x10000, v46
	s_delay_alu instid0(VALU_DEP_2) | instskip(NEXT) | instid1(VALU_DEP_2)
	v_cmp_eq_u32_e32 vcc_lo, 0, v45
	v_cndmask_b32_e32 v45, v47, v46, vcc_lo
; %bb.1202:                             ;   in Loop: Header=BB2_1198 Depth=3
	s_or_b32 exec_lo, exec_lo, s40
	flat_load_u16 v46, v[8:9] offset:64 th:TH_LOAD_NT
	s_wait_loadcnt_dscnt 0x0
	v_lshlrev_b32_e32 v46, 16, v46
	s_delay_alu instid0(VALU_DEP_1) | instskip(NEXT) | instid1(VALU_DEP_1)
	v_mul_f32_e32 v47, v44, v46
	v_and_b32_e32 v46, 0x7f800000, v47
	s_delay_alu instid0(VALU_DEP_1) | instskip(SKIP_2) | instid1(SALU_CYCLE_1)
	v_cmp_ne_u32_e32 vcc_lo, 0x7f800000, v46
                                        ; implicit-def: $vgpr46
	s_wait_xcnt 0x0
	s_and_saveexec_b32 s40, vcc_lo
	s_xor_b32 s40, exec_lo, s40
; %bb.1203:                             ;   in Loop: Header=BB2_1198 Depth=3
	v_bfe_u32 v46, v47, 16, 1
	s_delay_alu instid0(VALU_DEP_1)
	v_add3_u32 v46, v47, v46, 0x7fff
                                        ; implicit-def: $vgpr47
; %bb.1204:                             ;   in Loop: Header=BB2_1198 Depth=3
	s_and_not1_saveexec_b32 s40, s40
; %bb.1205:                             ;   in Loop: Header=BB2_1198 Depth=3
	v_and_b32_e32 v46, 0xffff, v47
	v_or_b32_e32 v63, 0x10000, v47
	s_delay_alu instid0(VALU_DEP_2) | instskip(NEXT) | instid1(VALU_DEP_2)
	v_cmp_eq_u32_e32 vcc_lo, 0, v46
	v_cndmask_b32_e32 v46, v63, v47, vcc_lo
; %bb.1206:                             ;   in Loop: Header=BB2_1198 Depth=3
	s_or_b32 exec_lo, exec_lo, s40
	flat_load_u16 v47, v[8:9] offset:128 th:TH_LOAD_NT
	s_wait_loadcnt_dscnt 0x0
	v_lshlrev_b32_e32 v47, 16, v47
	s_delay_alu instid0(VALU_DEP_1) | instskip(NEXT) | instid1(VALU_DEP_1)
	v_mul_f32_e32 v63, v44, v47
	v_and_b32_e32 v47, 0x7f800000, v63
	s_delay_alu instid0(VALU_DEP_1) | instskip(SKIP_2) | instid1(SALU_CYCLE_1)
	v_cmp_ne_u32_e32 vcc_lo, 0x7f800000, v47
                                        ; implicit-def: $vgpr47
	s_wait_xcnt 0x0
	s_and_saveexec_b32 s40, vcc_lo
	s_xor_b32 s40, exec_lo, s40
; %bb.1207:                             ;   in Loop: Header=BB2_1198 Depth=3
	v_bfe_u32 v47, v63, 16, 1
	s_delay_alu instid0(VALU_DEP_1)
	v_add3_u32 v47, v63, v47, 0x7fff
                                        ; implicit-def: $vgpr63
; %bb.1208:                             ;   in Loop: Header=BB2_1198 Depth=3
	s_and_not1_saveexec_b32 s40, s40
; %bb.1209:                             ;   in Loop: Header=BB2_1198 Depth=3
	v_and_b32_e32 v47, 0xffff, v63
	v_or_b32_e32 v72, 0x10000, v63
	s_delay_alu instid0(VALU_DEP_2) | instskip(NEXT) | instid1(VALU_DEP_2)
	v_cmp_eq_u32_e32 vcc_lo, 0, v47
	v_cndmask_b32_e32 v47, v72, v63, vcc_lo
; %bb.1210:                             ;   in Loop: Header=BB2_1198 Depth=3
	s_or_b32 exec_lo, exec_lo, s40
	flat_load_u16 v63, v[8:9] offset:192 th:TH_LOAD_NT
	s_wait_loadcnt_dscnt 0x0
	v_lshlrev_b32_e32 v63, 16, v63
	s_delay_alu instid0(VALU_DEP_1) | instskip(NEXT) | instid1(VALU_DEP_1)
	v_mul_f32_e32 v72, v44, v63
	v_and_b32_e32 v63, 0x7f800000, v72
	s_delay_alu instid0(VALU_DEP_1) | instskip(SKIP_2) | instid1(SALU_CYCLE_1)
	v_cmp_ne_u32_e32 vcc_lo, 0x7f800000, v63
                                        ; implicit-def: $vgpr63
	s_wait_xcnt 0x0
	s_and_saveexec_b32 s40, vcc_lo
	s_xor_b32 s40, exec_lo, s40
; %bb.1211:                             ;   in Loop: Header=BB2_1198 Depth=3
	v_bfe_u32 v63, v72, 16, 1
	s_delay_alu instid0(VALU_DEP_1)
	v_add3_u32 v63, v72, v63, 0x7fff
                                        ; implicit-def: $vgpr72
; %bb.1212:                             ;   in Loop: Header=BB2_1198 Depth=3
	s_and_not1_saveexec_b32 s40, s40
; %bb.1213:                             ;   in Loop: Header=BB2_1198 Depth=3
	v_and_b32_e32 v63, 0xffff, v72
	v_or_b32_e32 v73, 0x10000, v72
	s_delay_alu instid0(VALU_DEP_2) | instskip(NEXT) | instid1(VALU_DEP_2)
	v_cmp_eq_u32_e32 vcc_lo, 0, v63
	v_cndmask_b32_e32 v63, v73, v72, vcc_lo
; %bb.1214:                             ;   in Loop: Header=BB2_1198 Depth=3
	s_or_b32 exec_lo, exec_lo, s40
	s_clause 0x3
	flat_load_u16 v73, v[10:11] offset:128 th:TH_LOAD_NT
	flat_load_u16 v72, v[10:11] offset:192 th:TH_LOAD_NT
	flat_load_u16 v75, v[10:11] th:TH_LOAD_NT
	flat_load_u16 v74, v[10:11] offset:64 th:TH_LOAD_NT
	v_and_b32_e32 v45, 0xffff0000, v45
	s_wait_loadcnt_dscnt 0x101
	v_lshlrev_b32_e32 v75, 16, v75
	s_delay_alu instid0(VALU_DEP_1) | instskip(NEXT) | instid1(VALU_DEP_1)
	v_add_f32_e32 v75, v45, v75
	v_and_b32_e32 v45, 0x7f800000, v75
	s_delay_alu instid0(VALU_DEP_1) | instskip(SKIP_2) | instid1(SALU_CYCLE_1)
	v_cmp_ne_u32_e32 vcc_lo, 0x7f800000, v45
                                        ; implicit-def: $vgpr45
	s_wait_xcnt 0x0
	s_and_saveexec_b32 s40, vcc_lo
	s_xor_b32 s40, exec_lo, s40
; %bb.1215:                             ;   in Loop: Header=BB2_1198 Depth=3
	v_bfe_u32 v45, v75, 16, 1
	s_delay_alu instid0(VALU_DEP_1)
	v_add3_u32 v45, v75, v45, 0x7fff
                                        ; implicit-def: $vgpr75
; %bb.1216:                             ;   in Loop: Header=BB2_1198 Depth=3
	s_and_not1_saveexec_b32 s40, s40
; %bb.1217:                             ;   in Loop: Header=BB2_1198 Depth=3
	v_and_b32_e32 v45, 0xffff, v75
	v_or_b32_e32 v76, 0x10000, v75
	s_delay_alu instid0(VALU_DEP_2) | instskip(NEXT) | instid1(VALU_DEP_2)
	v_cmp_eq_u32_e32 vcc_lo, 0, v45
	v_cndmask_b32_e32 v45, v76, v75, vcc_lo
; %bb.1218:                             ;   in Loop: Header=BB2_1198 Depth=3
	s_or_b32 exec_lo, exec_lo, s40
	v_and_b32_e32 v46, 0xffff0000, v46
	s_wait_loadcnt_dscnt 0x0
	v_lshlrev_b32_e32 v74, 16, v74
	s_delay_alu instid0(VALU_DEP_1) | instskip(NEXT) | instid1(VALU_DEP_1)
	v_add_f32_e32 v74, v46, v74
	v_and_b32_e32 v46, 0x7f800000, v74
	s_delay_alu instid0(VALU_DEP_1) | instskip(SKIP_1) | instid1(SALU_CYCLE_1)
	v_cmp_ne_u32_e32 vcc_lo, 0x7f800000, v46
                                        ; implicit-def: $vgpr46
	s_and_saveexec_b32 s40, vcc_lo
	s_xor_b32 s40, exec_lo, s40
; %bb.1219:                             ;   in Loop: Header=BB2_1198 Depth=3
	v_bfe_u32 v46, v74, 16, 1
	s_delay_alu instid0(VALU_DEP_1)
	v_add3_u32 v46, v74, v46, 0x7fff
                                        ; implicit-def: $vgpr74
; %bb.1220:                             ;   in Loop: Header=BB2_1198 Depth=3
	s_and_not1_saveexec_b32 s40, s40
; %bb.1221:                             ;   in Loop: Header=BB2_1198 Depth=3
	v_and_b32_e32 v46, 0xffff, v74
	v_or_b32_e32 v75, 0x10000, v74
	s_delay_alu instid0(VALU_DEP_2) | instskip(NEXT) | instid1(VALU_DEP_2)
	v_cmp_eq_u32_e32 vcc_lo, 0, v46
	v_cndmask_b32_e32 v46, v75, v74, vcc_lo
; %bb.1222:                             ;   in Loop: Header=BB2_1198 Depth=3
	s_or_b32 exec_lo, exec_lo, s40
	v_and_b32_e32 v47, 0xffff0000, v47
	v_lshlrev_b32_e32 v73, 16, v73
	s_delay_alu instid0(VALU_DEP_1) | instskip(NEXT) | instid1(VALU_DEP_1)
	v_add_f32_e32 v73, v47, v73
	v_and_b32_e32 v47, 0x7f800000, v73
	s_delay_alu instid0(VALU_DEP_1) | instskip(SKIP_1) | instid1(SALU_CYCLE_1)
	v_cmp_ne_u32_e32 vcc_lo, 0x7f800000, v47
                                        ; implicit-def: $vgpr47
	s_and_saveexec_b32 s40, vcc_lo
	s_xor_b32 s40, exec_lo, s40
; %bb.1223:                             ;   in Loop: Header=BB2_1198 Depth=3
	v_bfe_u32 v47, v73, 16, 1
	s_delay_alu instid0(VALU_DEP_1)
	v_add3_u32 v47, v73, v47, 0x7fff
                                        ; implicit-def: $vgpr73
; %bb.1224:                             ;   in Loop: Header=BB2_1198 Depth=3
	s_and_not1_saveexec_b32 s40, s40
; %bb.1225:                             ;   in Loop: Header=BB2_1198 Depth=3
	v_and_b32_e32 v47, 0xffff, v73
	v_or_b32_e32 v74, 0x10000, v73
	s_delay_alu instid0(VALU_DEP_2) | instskip(NEXT) | instid1(VALU_DEP_2)
	v_cmp_eq_u32_e32 vcc_lo, 0, v47
	v_cndmask_b32_e32 v47, v74, v73, vcc_lo
; %bb.1226:                             ;   in Loop: Header=BB2_1198 Depth=3
	s_or_b32 exec_lo, exec_lo, s40
	v_and_b32_e32 v63, 0xffff0000, v63
	v_lshlrev_b32_e32 v72, 16, v72
	s_delay_alu instid0(VALU_DEP_1) | instskip(NEXT) | instid1(VALU_DEP_1)
	v_add_f32_e32 v72, v63, v72
	v_and_b32_e32 v63, 0x7f800000, v72
	s_delay_alu instid0(VALU_DEP_1) | instskip(SKIP_1) | instid1(SALU_CYCLE_1)
	v_cmp_ne_u32_e32 vcc_lo, 0x7f800000, v63
                                        ; implicit-def: $vgpr63
	s_and_saveexec_b32 s40, vcc_lo
	s_xor_b32 s40, exec_lo, s40
; %bb.1227:                             ;   in Loop: Header=BB2_1198 Depth=3
	v_bfe_u32 v63, v72, 16, 1
	s_delay_alu instid0(VALU_DEP_1)
	v_add3_u32 v63, v72, v63, 0x7fff
                                        ; implicit-def: $vgpr72
; %bb.1228:                             ;   in Loop: Header=BB2_1198 Depth=3
	s_and_not1_saveexec_b32 s40, s40
	s_cbranch_execz .LBB2_1197
; %bb.1229:                             ;   in Loop: Header=BB2_1198 Depth=3
	v_and_b32_e32 v63, 0xffff, v72
	v_or_b32_e32 v73, 0x10000, v72
	s_delay_alu instid0(VALU_DEP_2) | instskip(NEXT) | instid1(VALU_DEP_2)
	v_cmp_eq_u32_e32 vcc_lo, 0, v63
	v_cndmask_b32_e32 v63, v73, v72, vcc_lo
	s_branch .LBB2_1197
.LBB2_1230:                             ;   in Loop: Header=BB2_779 Depth=2
	s_or_b32 exec_lo, exec_lo, s15
.LBB2_1231:                             ;   in Loop: Header=BB2_779 Depth=2
	s_delay_alu instid0(SALU_CYCLE_1) | instskip(SKIP_1) | instid1(VALU_DEP_1)
	s_or_b32 exec_lo, exec_lo, s14
	v_lshlrev_b32_e32 v8, 8, v43
	v_cmp_ne_u32_e32 vcc_lo, v101, v8
	s_and_b32 exec_lo, exec_lo, vcc_lo
	s_cbranch_execz .LBB2_1243
; %bb.1232:                             ;   in Loop: Header=BB2_779 Depth=2
	v_dual_lshlrev_b32 v9, 5, v103 :: v_dual_lshlrev_b32 v10, 5, v42
	s_delay_alu instid0(VALU_DEP_1) | instskip(NEXT) | instid1(VALU_DEP_1)
	v_sub_nc_u32_e32 v9, v41, v9
	v_sub_nc_u32_e32 v9, v9, v10
	s_delay_alu instid0(VALU_DEP_1) | instskip(NEXT) | instid1(VALU_DEP_1)
	v_ashrrev_i32_e32 v10, 31, v9
	v_lshrrev_b32_e32 v10, 27, v10
	s_delay_alu instid0(VALU_DEP_1) | instskip(NEXT) | instid1(VALU_DEP_1)
	v_add_nc_u32_e32 v10, v9, v10
	v_and_b32_e32 v11, 0x7fffffe0, v10
	s_delay_alu instid0(VALU_DEP_1) | instskip(NEXT) | instid1(VALU_DEP_1)
	v_dual_lshlrev_b32 v10, 1, v10 :: v_dual_sub_nc_u32 v9, v9, v11
	v_and_b32_e32 v10, 0xffffffc0, v10
	s_delay_alu instid0(VALU_DEP_2) | instskip(NEXT) | instid1(VALU_DEP_1)
	v_lshlrev_b32_e32 v9, 1, v9
	v_add3_u32 v8, v10, v9, v8
	s_delay_alu instid0(VALU_DEP_1) | instskip(NEXT) | instid1(VALU_DEP_1)
	v_sub_nc_u32_e32 v101, v101, v8
	v_cmp_lt_i32_e32 vcc_lo, 1, v101
	s_and_b32 exec_lo, exec_lo, vcc_lo
	s_cbranch_execz .LBB2_1243
; %bb.1233:                             ;   in Loop: Header=BB2_779 Depth=2
	s_trap 2
	ds_load_b64 v[10:11], v0
	ds_load_b32 v103, v0
	v_add_nc_u32_e32 v118, v8, v40
	s_mov_b32 s14, 0
	s_wait_dscnt 0x0
	s_delay_alu instid0(VALU_DEP_1) | instskip(NEXT) | instid1(VALU_DEP_1)
	v_dual_lshlrev_b32 v103, 16, v103 :: v_dual_ashrrev_i32 v119, 31, v118
	v_add_nc_u64_e32 v[8:9], v[118:119], v[114:115]
	v_add_nc_u64_e32 v[10:11], v[10:11], v[118:119]
	;; [unrolled: 1-line block ×3, first 2 shown]
	s_branch .LBB2_1235
.LBB2_1234:                             ;   in Loop: Header=BB2_1235 Depth=3
	s_or_b32 exec_lo, exec_lo, s15
	v_sub_nc_u32_e32 v101, v101, v64
	flat_store_d16_hi_b16 v[114:115], v116 th:TH_STORE_NT
	v_add_nc_u64_e32 v[8:9], v[8:9], v[64:65]
	v_add_nc_u64_e32 v[10:11], v[10:11], v[64:65]
	s_wait_xcnt 0x0
	v_add_nc_u64_e32 v[114:115], v[114:115], v[64:65]
	v_cmp_gt_i32_e32 vcc_lo, 2, v101
	s_or_b32 s14, vcc_lo, s14
	s_delay_alu instid0(SALU_CYCLE_1)
	s_and_not1_b32 exec_lo, exec_lo, s14
	s_cbranch_execz .LBB2_1243
.LBB2_1235:                             ;   Parent Loop BB2_47 Depth=1
                                        ;     Parent Loop BB2_779 Depth=2
                                        ; =>    This Inner Loop Header: Depth=3
	flat_load_u16 v116, v[8:9] th:TH_LOAD_NT
	s_wait_loadcnt_dscnt 0x0
	v_lshlrev_b32_e32 v116, 16, v116
	s_delay_alu instid0(VALU_DEP_1) | instskip(NEXT) | instid1(VALU_DEP_1)
	v_mul_f32_e32 v116, v103, v116
	v_and_b32_e32 v117, 0x7f800000, v116
	s_delay_alu instid0(VALU_DEP_1) | instskip(SKIP_2) | instid1(SALU_CYCLE_1)
	v_cmp_ne_u32_e32 vcc_lo, 0x7f800000, v117
                                        ; implicit-def: $vgpr117
	s_wait_xcnt 0x0
	s_and_saveexec_b32 s15, vcc_lo
	s_xor_b32 s15, exec_lo, s15
; %bb.1236:                             ;   in Loop: Header=BB2_1235 Depth=3
	v_bfe_u32 v117, v116, 16, 1
	s_delay_alu instid0(VALU_DEP_1)
	v_add3_u32 v117, v116, v117, 0x7fff
                                        ; implicit-def: $vgpr116
; %bb.1237:                             ;   in Loop: Header=BB2_1235 Depth=3
	s_and_not1_saveexec_b32 s15, s15
; %bb.1238:                             ;   in Loop: Header=BB2_1235 Depth=3
	v_and_b32_e32 v117, 0xffff, v116
	v_or_b32_e32 v118, 0x10000, v116
	s_delay_alu instid0(VALU_DEP_2) | instskip(NEXT) | instid1(VALU_DEP_2)
	v_cmp_eq_u32_e32 vcc_lo, 0, v117
	v_cndmask_b32_e32 v117, v118, v116, vcc_lo
; %bb.1239:                             ;   in Loop: Header=BB2_1235 Depth=3
	s_or_b32 exec_lo, exec_lo, s15
	flat_load_u16 v116, v[10:11] th:TH_LOAD_NT
	v_and_b32_e32 v117, 0xffff0000, v117
	s_wait_loadcnt_dscnt 0x0
	v_lshlrev_b32_e32 v116, 16, v116
	s_delay_alu instid0(VALU_DEP_1) | instskip(NEXT) | instid1(VALU_DEP_1)
	v_add_f32_e32 v117, v117, v116
	v_and_b32_e32 v116, 0x7f800000, v117
	s_delay_alu instid0(VALU_DEP_1) | instskip(SKIP_2) | instid1(SALU_CYCLE_1)
	v_cmp_ne_u32_e32 vcc_lo, 0x7f800000, v116
                                        ; implicit-def: $vgpr116
	s_wait_xcnt 0x0
	s_and_saveexec_b32 s15, vcc_lo
	s_xor_b32 s15, exec_lo, s15
; %bb.1240:                             ;   in Loop: Header=BB2_1235 Depth=3
	v_bfe_u32 v116, v117, 16, 1
	s_delay_alu instid0(VALU_DEP_1)
	v_add3_u32 v116, v117, v116, 0x7fff
                                        ; implicit-def: $vgpr117
; %bb.1241:                             ;   in Loop: Header=BB2_1235 Depth=3
	s_and_not1_saveexec_b32 s15, s15
	s_cbranch_execz .LBB2_1234
; %bb.1242:                             ;   in Loop: Header=BB2_1235 Depth=3
	v_and_b32_e32 v116, 0xffff, v117
	v_or_b32_e32 v118, 0x10000, v117
	s_delay_alu instid0(VALU_DEP_2) | instskip(NEXT) | instid1(VALU_DEP_2)
	v_cmp_eq_u32_e32 vcc_lo, 0, v116
	v_cndmask_b32_e32 v116, v118, v117, vcc_lo
	s_branch .LBB2_1234
.LBB2_1243:                             ;   in Loop: Header=BB2_779 Depth=2
	s_or_b32 exec_lo, exec_lo, s13
.LBB2_1244:                             ;   in Loop: Header=BB2_779 Depth=2
	v_cmp_lt_i32_e64 s13, 0, v2
	s_and_saveexec_b32 s14, s2
	s_cbranch_execz .LBB2_1263
.LBB2_1245:                             ;   in Loop: Header=BB2_779 Depth=2
	s_and_saveexec_b32 s15, s3
	s_delay_alu instid0(SALU_CYCLE_1)
	s_xor_b32 s15, exec_lo, s15
	s_cbranch_execz .LBB2_1260
; %bb.1246:                             ;   in Loop: Header=BB2_779 Depth=2
	s_and_saveexec_b32 s40, s6
	s_cbranch_execz .LBB2_1259
; %bb.1247:                             ;   in Loop: Header=BB2_779 Depth=2
	s_mov_b32 s62, exec_lo
	s_mov_b32 s41, exec_lo
	v_mbcnt_lo_u32_b32 v2, s62, 0
	global_wb scope:SCOPE_DEV
	s_wait_storecnt 0x0
	s_wait_loadcnt_dscnt 0x0
	global_inv scope:SCOPE_DEV
	v_cmpx_eq_u32_e32 0, v2
	s_cbranch_execz .LBB2_1249
; %bb.1248:                             ;   in Loop: Header=BB2_779 Depth=2
	s_bcnt1_i32_b32 s62, s62
	s_delay_alu instid0(SALU_CYCLE_1)
	v_mov_b32_e32 v2, s62
	s_wait_loadcnt 0x0
	ds_add_u64 v0, v[2:3]
	s_trap 2
.LBB2_1249:                             ;   in Loop: Header=BB2_779 Depth=2
	s_or_b32 exec_lo, exec_lo, s41
	s_trap 2
	ds_load_b64 v[8:9], v0
	s_wait_dscnt 0x0
	v_add_nc_u64_e32 v[12:13], v[12:13], v[32:33]
	s_mov_b32 s41, exec_lo
	s_delay_alu instid0(VALU_DEP_1)
	v_cmpx_lt_u64_e64 v[8:9], v[12:13]
	s_cbranch_execz .LBB2_1258
; %bb.1250:                             ;   in Loop: Header=BB2_779 Depth=2
	s_mov_b32 s62, 0
	s_mov_b32 s73, 0
                                        ; implicit-def: $sgpr63
                                        ; implicit-def: $sgpr72
	s_branch .LBB2_1252
.LBB2_1251:                             ;   in Loop: Header=BB2_1252 Depth=3
	s_or_b32 exec_lo, exec_lo, s75
	s_delay_alu instid0(SALU_CYCLE_1) | instskip(NEXT) | instid1(SALU_CYCLE_1)
	s_and_b32 s74, exec_lo, s76
	s_or_b32 s62, s74, s62
	s_and_not1_b32 s63, s63, exec_lo
	s_and_b32 s74, s72, exec_lo
	s_delay_alu instid0(SALU_CYCLE_1)
	s_or_b32 s63, s63, s74
	s_and_not1_b32 exec_lo, exec_lo, s62
	s_cbranch_execz .LBB2_1256
.LBB2_1252:                             ;   Parent Loop BB2_47 Depth=1
                                        ;     Parent Loop BB2_779 Depth=2
                                        ; =>    This Inner Loop Header: Depth=3
	s_add_co_i32 s73, s73, 1
	s_delay_alu instid0(SALU_CYCLE_1) | instskip(SKIP_1) | instid1(SALU_CYCLE_1)
	s_cmp_lg_u32 s73, 0x2710
	s_cselect_b32 s74, -1, 0
	s_and_b32 vcc_lo, exec_lo, s74
	s_cbranch_vccz .LBB2_1254
; %bb.1253:                             ;   in Loop: Header=BB2_1252 Depth=3
	s_mov_b32 s76, -1
	s_or_b32 s72, s72, exec_lo
	s_and_saveexec_b32 s75, s74
	s_cbranch_execz .LBB2_1251
	s_branch .LBB2_1255
.LBB2_1254:                             ;   in Loop: Header=BB2_1252 Depth=3
	s_trap 2
	ds_load_b64 v[8:9], v0
	s_and_not1_b32 s74, s74, exec_lo
	s_mov_b32 s73, 0
	s_wait_loadcnt_dscnt 0x0
	flat_load_b32 v2, v[8:9] scope:SCOPE_SYS
	s_wait_loadcnt_dscnt 0x0
	global_inv scope:SCOPE_SYS
	v_cmp_eq_u32_e32 vcc_lo, 0, v2
	s_and_b32 s75, vcc_lo, exec_lo
	s_delay_alu instid0(SALU_CYCLE_1)
	s_or_b32 s74, s74, s75
	s_mov_b32 s76, -1
	s_or_b32 s72, s72, exec_lo
	s_and_saveexec_b32 s75, s74
	s_cbranch_execz .LBB2_1251
.LBB2_1255:                             ;   in Loop: Header=BB2_1252 Depth=3
	s_sleep 1
	s_trap 2
	ds_load_b64 v[8:9], v0
	s_wait_dscnt 0x0
	s_and_not1_b32 s72, s72, exec_lo
	v_cmp_ge_u64_e32 vcc_lo, v[8:9], v[12:13]
	s_or_not1_b32 s76, vcc_lo, exec_lo
	s_branch .LBB2_1251
.LBB2_1256:                             ;   in Loop: Header=BB2_779 Depth=2
	s_or_b32 exec_lo, exec_lo, s62
	s_and_saveexec_b32 s62, s63
	s_delay_alu instid0(SALU_CYCLE_1)
	s_xor_b32 s62, exec_lo, s62
	s_cbranch_execz .LBB2_1258
; %bb.1257:                             ;   in Loop: Header=BB2_779 Depth=2
	ds_store_b32 v0, v59
	s_trap 2
.LBB2_1258:                             ;   in Loop: Header=BB2_779 Depth=2
	s_or_b32 exec_lo, exec_lo, s41
	;;#ASMSTART
	s_wakeup
	;;#ASMEND
.LBB2_1259:                             ;   in Loop: Header=BB2_779 Depth=2
	s_or_b32 exec_lo, exec_lo, s40
.LBB2_1260:                             ;   in Loop: Header=BB2_779 Depth=2
	s_and_not1_saveexec_b32 s15, s15
	s_cbranch_execz .LBB2_1262
; %bb.1261:                             ;   in Loop: Header=BB2_779 Depth=2
	global_wb scope:SCOPE_DEV
	s_wait_storecnt 0x0
	s_wait_loadcnt_dscnt 0x0
	global_inv scope:SCOPE_DEV
	s_barrier_signal -1
	s_barrier_wait -1
.LBB2_1262:                             ;   in Loop: Header=BB2_779 Depth=2
	s_or_b32 exec_lo, exec_lo, s15
.LBB2_1263:                             ;   in Loop: Header=BB2_779 Depth=2
	s_delay_alu instid0(SALU_CYCLE_1) | instskip(SKIP_2) | instid1(SALU_CYCLE_1)
	s_or_b32 exec_lo, exec_lo, s14
	v_and_b32_e32 v8, 16, v30
	s_and_saveexec_b32 s14, s12
	s_xor_b32 s14, exec_lo, s14
	s_cbranch_execz .LBB2_1267
; %bb.1264:                             ;   in Loop: Header=BB2_779 Depth=2
	v_and_b32_e32 v2, 16, v30
	v_and_b32_e32 v8, 16, v30
	s_delay_alu instid0(VALU_DEP_2) | instskip(SKIP_1) | instid1(SALU_CYCLE_1)
	v_cmp_ne_u32_e32 vcc_lo, 0, v2
	s_and_b32 s15, vcc_lo, s13
	s_and_saveexec_b32 s13, s15
	s_cbranch_execz .LBB2_1266
; %bb.1265:                             ;   in Loop: Header=BB2_779 Depth=2
	v_mov_b32_e32 v8, 1
	global_wb scope:SCOPE_SYS
	s_wait_storecnt 0x0
	s_wait_loadcnt_dscnt 0x0
	global_inv scope:SCOPE_SYS
.LBB2_1266:                             ;   in Loop: Header=BB2_779 Depth=2
	s_or_b32 exec_lo, exec_lo, s13
.LBB2_1267:                             ;   in Loop: Header=BB2_779 Depth=2
	s_and_not1_saveexec_b32 s13, s14
	s_cbranch_execz .LBB2_1286
; %bb.1268:                             ;   in Loop: Header=BB2_779 Depth=2
	s_and_saveexec_b32 s14, s3
	s_delay_alu instid0(SALU_CYCLE_1)
	s_xor_b32 s14, exec_lo, s14
	s_cbranch_execz .LBB2_1283
; %bb.1269:                             ;   in Loop: Header=BB2_779 Depth=2
	s_and_saveexec_b32 s15, s6
	s_cbranch_execz .LBB2_1282
; %bb.1270:                             ;   in Loop: Header=BB2_779 Depth=2
	s_mov_b32 s41, exec_lo
	s_mov_b32 s40, exec_lo
	v_mbcnt_lo_u32_b32 v2, s41, 0
	;;#ASMSTART
	s_waitcnt lgkmcnt(0) vmcnt(0)
	;;#ASMEND
	s_delay_alu instid0(VALU_DEP_1)
	v_cmpx_eq_u32_e32 0, v2
	s_cbranch_execz .LBB2_1272
; %bb.1271:                             ;   in Loop: Header=BB2_779 Depth=2
	s_bcnt1_i32_b32 s41, s41
	s_delay_alu instid0(SALU_CYCLE_1)
	v_mov_b32_e32 v2, s41
	s_wait_storecnt 0x0
	s_wait_loadcnt_dscnt 0x0
	ds_add_u64 v0, v[2:3]
	s_trap 2
.LBB2_1272:                             ;   in Loop: Header=BB2_779 Depth=2
	s_or_b32 exec_lo, exec_lo, s40
	s_trap 2
	ds_load_b64 v[10:11], v0
	s_wait_dscnt 0x0
	v_add_nc_u64_e32 v[12:13], v[12:13], v[32:33]
	s_mov_b32 s40, exec_lo
	s_delay_alu instid0(VALU_DEP_1)
	v_cmpx_lt_u64_e64 v[10:11], v[12:13]
	s_cbranch_execz .LBB2_1281
; %bb.1273:                             ;   in Loop: Header=BB2_779 Depth=2
	s_mov_b32 s41, 0
	s_mov_b32 s72, 0
                                        ; implicit-def: $sgpr62
                                        ; implicit-def: $sgpr63
	s_branch .LBB2_1275
.LBB2_1274:                             ;   in Loop: Header=BB2_1275 Depth=3
	s_or_b32 exec_lo, exec_lo, s74
	s_delay_alu instid0(SALU_CYCLE_1) | instskip(NEXT) | instid1(SALU_CYCLE_1)
	s_and_b32 s73, exec_lo, s75
	s_or_b32 s41, s73, s41
	s_and_not1_b32 s62, s62, exec_lo
	s_and_b32 s73, s63, exec_lo
	s_delay_alu instid0(SALU_CYCLE_1)
	s_or_b32 s62, s62, s73
	s_and_not1_b32 exec_lo, exec_lo, s41
	s_cbranch_execz .LBB2_1279
.LBB2_1275:                             ;   Parent Loop BB2_47 Depth=1
                                        ;     Parent Loop BB2_779 Depth=2
                                        ; =>    This Inner Loop Header: Depth=3
	s_add_co_i32 s72, s72, 1
	s_delay_alu instid0(SALU_CYCLE_1) | instskip(SKIP_1) | instid1(SALU_CYCLE_1)
	s_cmp_lg_u32 s72, 0x2710
	s_cselect_b32 s73, -1, 0
	s_and_b32 vcc_lo, exec_lo, s73
	s_cbranch_vccz .LBB2_1277
; %bb.1276:                             ;   in Loop: Header=BB2_1275 Depth=3
	s_mov_b32 s75, -1
	s_or_b32 s63, s63, exec_lo
	s_and_saveexec_b32 s74, s73
	s_cbranch_execz .LBB2_1274
	s_branch .LBB2_1278
.LBB2_1277:                             ;   in Loop: Header=BB2_1275 Depth=3
	s_trap 2
	ds_load_b64 v[10:11], v0
	s_and_not1_b32 s73, s73, exec_lo
	s_mov_b32 s72, 0
	s_wait_storecnt 0x0
	s_wait_loadcnt_dscnt 0x0
	flat_load_b32 v2, v[10:11] scope:SCOPE_SYS
	s_wait_loadcnt_dscnt 0x0
	global_inv scope:SCOPE_SYS
	v_cmp_eq_u32_e32 vcc_lo, 0, v2
	s_and_b32 s74, vcc_lo, exec_lo
	s_delay_alu instid0(SALU_CYCLE_1)
	s_or_b32 s73, s73, s74
	s_mov_b32 s75, -1
	s_or_b32 s63, s63, exec_lo
	s_and_saveexec_b32 s74, s73
	s_cbranch_execz .LBB2_1274
.LBB2_1278:                             ;   in Loop: Header=BB2_1275 Depth=3
	s_sleep 1
	s_trap 2
	ds_load_b64 v[10:11], v0
	s_wait_dscnt 0x0
	s_and_not1_b32 s63, s63, exec_lo
	v_cmp_ge_u64_e32 vcc_lo, v[10:11], v[12:13]
	s_or_not1_b32 s75, vcc_lo, exec_lo
	s_branch .LBB2_1274
.LBB2_1279:                             ;   in Loop: Header=BB2_779 Depth=2
	s_or_b32 exec_lo, exec_lo, s41
	s_and_saveexec_b32 s41, s62
	s_delay_alu instid0(SALU_CYCLE_1)
	s_xor_b32 s41, exec_lo, s41
	s_cbranch_execz .LBB2_1281
; %bb.1280:                             ;   in Loop: Header=BB2_779 Depth=2
	ds_store_b32 v0, v59
	s_trap 2
.LBB2_1281:                             ;   in Loop: Header=BB2_779 Depth=2
	s_or_b32 exec_lo, exec_lo, s40
	;;#ASMSTART
	s_wakeup
	;;#ASMEND
.LBB2_1282:                             ;   in Loop: Header=BB2_779 Depth=2
	s_or_b32 exec_lo, exec_lo, s15
.LBB2_1283:                             ;   in Loop: Header=BB2_779 Depth=2
	s_and_not1_saveexec_b32 s14, s14
	s_cbranch_execz .LBB2_1285
; %bb.1284:                             ;   in Loop: Header=BB2_779 Depth=2
	;;#ASMSTART
	s_waitcnt lgkmcnt(0) vmcnt(0)
	;;#ASMEND
	s_barrier_signal -1
	s_barrier_wait -1
.LBB2_1285:                             ;   in Loop: Header=BB2_779 Depth=2
	s_or_b32 exec_lo, exec_lo, s14
.LBB2_1286:                             ;   in Loop: Header=BB2_779 Depth=2
	s_delay_alu instid0(SALU_CYCLE_1) | instskip(SKIP_2) | instid1(SALU_CYCLE_1)
	s_or_b32 exec_lo, exec_lo, s13
	v_cmp_ne_u32_e32 vcc_lo, 0, v8
	s_xor_b32 s13, s4, -1
	s_and_b32 s14, vcc_lo, s13
	s_delay_alu instid0(SALU_CYCLE_1)
	s_and_saveexec_b32 s13, s14
	s_cbranch_execz .LBB2_1288
; %bb.1287:                             ;   in Loop: Header=BB2_779 Depth=2
	global_wb scope:SCOPE_SYS
	s_wait_storecnt 0x0
	s_wait_loadcnt_dscnt 0x0
	flat_store_b32 v[26:27], v59 scope:SCOPE_SYS
.LBB2_1288:                             ;   in Loop: Header=BB2_779 Depth=2
	s_wait_xcnt 0x0
	s_or_b32 exec_lo, exec_lo, s13
	v_and_b32_e32 v2, 48, v30
	s_mov_b32 s13, exec_lo
	s_delay_alu instid0(VALU_DEP_1)
	v_cmpx_ne_u32_e32 0, v2
	s_cbranch_execz .LBB2_778
; %bb.1289:                             ;   in Loop: Header=BB2_779 Depth=2
	v_add_nc_u64_e32 v[86:87], 2, v[86:87]
	global_wb scope:SCOPE_SYS
	s_wait_storecnt 0x0
	s_wait_loadcnt_dscnt 0x0
	flat_store_b64 v[20:21], v[86:87] scope:SCOPE_SYS
	s_branch .LBB2_778
.LBB2_1290:                             ;   in Loop: Header=BB2_47 Depth=1
	s_or_b32 exec_lo, exec_lo, s27
.LBB2_1291:                             ;   in Loop: Header=BB2_47 Depth=1
	s_delay_alu instid0(SALU_CYCLE_1) | instskip(NEXT) | instid1(SALU_CYCLE_1)
	s_or_b32 exec_lo, exec_lo, s18
	s_mov_b32 s14, exec_lo
	v_cmpx_gt_i32_e32 2, v2
	s_cbranch_execz .LBB2_1367
; %bb.1292:                             ;   in Loop: Header=BB2_47 Depth=1
	v_cmp_eq_u32_e64 s18, 0, v2
	s_mov_b32 s15, 0
	s_branch .LBB2_1294
.LBB2_1293:                             ;   in Loop: Header=BB2_1294 Depth=2
	s_wait_xcnt 0x0
	s_or_b32 exec_lo, exec_lo, s13
	v_add_nc_u32_e32 v102, v100, v102
	s_mov_b32 s18, 0
	s_and_not1_b32 exec_lo, exec_lo, s15
	s_cbranch_execz .LBB2_1366
.LBB2_1294:                             ;   Parent Loop BB2_47 Depth=1
                                        ; =>  This Loop Header: Depth=2
                                        ;       Child Loop BB2_1300 Depth 3
                                        ;       Child Loop BB2_1328 Depth 3
	;; [unrolled: 1-line block ×3, first 2 shown]
	s_delay_alu instid0(VALU_DEP_1) | instskip(SKIP_2) | instid1(VALU_DEP_2)
	v_sub_nc_u32_e32 v2, v62, v102
	v_and_b32_e32 v8, 12, v30
	s_mov_b32 s27, exec_lo
	v_min_i32_e32 v100, v100, v2
	s_delay_alu instid0(VALU_DEP_2)
	v_cmpx_ne_u32_e32 0, v8
	s_cbranch_execz .LBB2_1320
; %bb.1295:                             ;   in Loop: Header=BB2_1294 Depth=2
	v_and_b32_e32 v2, 8, v30
	v_add_nc_u64_e32 v[8:9], 2, v[86:87]
	s_mov_b32 s40, exec_lo
	s_wait_loadcnt_dscnt 0x1
	s_delay_alu instid0(VALU_DEP_2) | instskip(NEXT) | instid1(VALU_DEP_1)
	v_add_nc_u64_e32 v[10:11], v[28:29], v[2:3]
	v_cmpx_lt_u64_e64 v[10:11], v[8:9]
	s_cbranch_execz .LBB2_1307
; %bb.1296:                             ;   in Loop: Header=BB2_1294 Depth=2
	v_and_b32_e32 v10, 64, v30
	s_mov_b32 s41, 0
	s_mov_b32 s63, 0
                                        ; implicit-def: $sgpr60
                                        ; implicit-def: $sgpr61
                                        ; implicit-def: $sgpr62
	s_delay_alu instid0(VALU_DEP_1)
	v_cmp_eq_u32_e32 vcc_lo, 0, v10
	s_branch .LBB2_1300
.LBB2_1297:                             ;   in Loop: Header=BB2_1300 Depth=3
	s_wait_loadcnt_dscnt 0x0
	v_add_nc_u64_e32 v[112:113], v[28:29], v[2:3]
	s_or_b32 s74, s74, exec_lo
	s_delay_alu instid0(VALU_DEP_1)
	v_cmp_ge_u64_e64 s13, v[112:113], v[8:9]
	s_or_not1_b32 s73, s13, exec_lo
.LBB2_1298:                             ;   in Loop: Header=BB2_1300 Depth=3
	s_or_b32 exec_lo, exec_lo, s76
	s_delay_alu instid0(SALU_CYCLE_1)
	s_and_not1_b32 s13, s62, exec_lo
	s_and_b32 s62, s74, exec_lo
	s_and_not1_b32 s61, s61, exec_lo
	s_and_b32 s73, s73, exec_lo
	s_or_b32 s62, s13, s62
	s_or_b32 s61, s61, s73
.LBB2_1299:                             ;   in Loop: Header=BB2_1300 Depth=3
	s_or_b32 exec_lo, exec_lo, s72
	s_delay_alu instid0(SALU_CYCLE_1) | instskip(NEXT) | instid1(SALU_CYCLE_1)
	s_and_b32 s13, exec_lo, s61
	s_or_b32 s41, s13, s41
	s_and_not1_b32 s13, s60, exec_lo
	s_and_b32 s60, s62, exec_lo
	s_delay_alu instid0(SALU_CYCLE_1)
	s_or_b32 s60, s13, s60
	s_and_not1_b32 exec_lo, exec_lo, s41
	s_cbranch_execz .LBB2_1304
.LBB2_1300:                             ;   Parent Loop BB2_47 Depth=1
                                        ;     Parent Loop BB2_1294 Depth=2
                                        ; =>    This Inner Loop Header: Depth=3
	s_sleep 1
	s_wait_loadcnt_dscnt 0x0
	flat_load_b64 v[28:29], v[20:21] scope:SCOPE_SYS
	s_or_b32 s62, s62, exec_lo
	s_or_b32 s61, s61, exec_lo
                                        ; implicit-def: $vgpr10
	s_wait_xcnt 0x0
	s_and_saveexec_b32 s72, vcc_lo
	s_cbranch_execz .LBB2_1299
; %bb.1301:                             ;   in Loop: Header=BB2_1300 Depth=3
	s_cmp_lt_i32 s63, 0x270f
	s_mov_b32 s73, -1
	s_cselect_b32 s75, -1, 0
	s_cmp_gt_i32 s63, 0x270e
	s_cbranch_scc0 .LBB2_1303
; %bb.1302:                             ;   in Loop: Header=BB2_1300 Depth=3
	s_trap 2
	ds_load_b64 v[10:11], v0
	s_and_not1_b32 s63, s75, exec_lo
	s_mov_b32 s74, 0
	s_wait_storecnt 0x0
	s_wait_loadcnt_dscnt 0x0
	flat_load_b32 v10, v[10:11] scope:SCOPE_SYS
	s_wait_loadcnt_dscnt 0x0
	global_inv scope:SCOPE_SYS
	v_cmp_eq_u32_e64 s13, 0, v10
	s_and_b32 s13, s13, exec_lo
	s_delay_alu instid0(SALU_CYCLE_1)
	s_or_b32 s75, s63, s13
	s_mov_b32 s63, 0
	s_and_saveexec_b32 s76, s75
	s_cbranch_execz .LBB2_1298
	s_branch .LBB2_1297
.LBB2_1303:                             ;   in Loop: Header=BB2_1300 Depth=3
	s_add_co_i32 s63, s63, 1
	s_mov_b32 s74, -1
                                        ; implicit-def: $vgpr10
	s_and_saveexec_b32 s76, s75
	s_cbranch_execz .LBB2_1298
	s_branch .LBB2_1297
.LBB2_1304:                             ;   in Loop: Header=BB2_1294 Depth=2
	s_or_b32 exec_lo, exec_lo, s41
	s_xor_b32 s13, s60, -1
	s_delay_alu instid0(SALU_CYCLE_1) | instskip(NEXT) | instid1(SALU_CYCLE_1)
	s_and_saveexec_b32 s41, s13
	s_xor_b32 s13, exec_lo, s41
	s_cbranch_execz .LBB2_1306
; %bb.1305:                             ;   in Loop: Header=BB2_1294 Depth=2
	v_or_b32_e32 v30, 64, v30
	s_wait_storecnt 0x0
	s_wait_loadcnt_dscnt 0x0
	ds_store_b32 v0, v10
	s_trap 2
.LBB2_1306:                             ;   in Loop: Header=BB2_1294 Depth=2
	s_or_b32 exec_lo, exec_lo, s13
.LBB2_1307:                             ;   in Loop: Header=BB2_1294 Depth=2
	s_delay_alu instid0(SALU_CYCLE_1) | instskip(SKIP_2) | instid1(VALU_DEP_1)
	s_or_b32 exec_lo, exec_lo, s40
	v_and_b32_e32 v10, 0x108, v30
	;;#ASMSTART
	s_wakeup
	;;#ASMEND
	v_cmp_ne_u32_e32 vcc_lo, 0x108, v10
                                        ; implicit-def: $vgpr10_vgpr11
	s_and_saveexec_b32 s13, vcc_lo
	s_delay_alu instid0(SALU_CYCLE_1)
	s_xor_b32 s13, exec_lo, s13
; %bb.1308:                             ;   in Loop: Header=BB2_1294 Depth=2
	v_dual_mov_b32 v11, v3 :: v_dual_bitop2_b32 v10, 7, v86 bitop3:0x40
                                        ; implicit-def: $vgpr86_vgpr87
; %bb.1309:                             ;   in Loop: Header=BB2_1294 Depth=2
	s_and_not1_saveexec_b32 s13, s13
	s_cbranch_execz .LBB2_1311
; %bb.1310:                             ;   in Loop: Header=BB2_1294 Depth=2
	v_dual_ashrrev_i32 v101, 31, v100 :: v_dual_bitop2_b32 v10, 7, v86 bitop3:0x40
	v_mov_b32_e32 v11, v3
	s_delay_alu instid0(VALU_DEP_2) | instskip(NEXT) | instid1(VALU_DEP_3)
	v_mad_nc_u64_u32 v[86:87], v10, 24, v[6:7]
	v_lshlrev_b64_e32 v[112:113], 1, v[100:101]
	flat_store_b64 v[86:87], v[112:113] offset:8
.LBB2_1311:                             ;   in Loop: Header=BB2_1294 Depth=2
	s_wait_xcnt 0x0
	s_or_b32 exec_lo, exec_lo, s13
	v_and_b32_e32 v86, 0x100, v30
	s_mov_b32 s13, -1
	s_delay_alu instid0(VALU_DEP_1)
	v_cmp_ne_u32_e32 vcc_lo, 0, v86
                                        ; implicit-def: $vgpr86_vgpr87
	s_and_saveexec_b32 s40, vcc_lo
	s_cbranch_execz .LBB2_1315
; %bb.1312:                             ;   in Loop: Header=BB2_1294 Depth=2
	v_mad_nc_u64_u32 v[112:113], v10, 24, v[6:7]
	s_delay_alu instid0(VALU_DEP_1)
	v_mad_u32 v113, v11, 24, v113
	flat_load_b32 v86, v[112:113]
	s_wait_loadcnt_dscnt 0x0
	v_cmp_eq_u32_e64 s13, 1, v86
	v_cmp_ne_u32_e32 vcc_lo, 1, v86
                                        ; implicit-def: $vgpr86_vgpr87
	s_wait_xcnt 0x0
	s_and_saveexec_b32 s41, s13
	s_cbranch_execz .LBB2_1314
; %bb.1313:                             ;   in Loop: Header=BB2_1294 Depth=2
	flat_load_b32 v86, v[112:113] offset:4 scope:SCOPE_SYS
	s_wait_loadcnt_dscnt 0x0
	v_ashrrev_i32_e32 v87, 31, v86
	s_delay_alu instid0(VALU_DEP_1)
	v_lshrrev_b64 v[86:87], 1, v[86:87]
.LBB2_1314:                             ;   in Loop: Header=BB2_1294 Depth=2
	s_wait_xcnt 0x0
	s_or_b32 exec_lo, exec_lo, s41
	s_delay_alu instid0(SALU_CYCLE_1)
	s_or_not1_b32 s13, vcc_lo, exec_lo
.LBB2_1315:                             ;   in Loop: Header=BB2_1294 Depth=2
	s_or_b32 exec_lo, exec_lo, s40
	s_and_saveexec_b32 s40, s13
; %bb.1316:                             ;   in Loop: Header=BB2_1294 Depth=2
	v_mul_u64_e32 v[86:87], v[10:11], v[22:23]
; %bb.1317:                             ;   in Loop: Header=BB2_1294 Depth=2
	s_or_b32 exec_lo, exec_lo, s40
	v_cmp_eq_u32_e32 vcc_lo, 0, v2
	v_and_b32_e32 v101, 0x2000, v30
	s_delay_alu instid0(VALU_DEP_3) | instskip(SKIP_2) | instid1(VALU_DEP_1)
	v_lshl_add_u64 v[10:11], v[86:87], 1, v[24:25]
	s_mov_b32 s13, exec_lo
	v_cndmask_b32_e32 v2, 0xd0, v60, vcc_lo
	v_add_nc_u32_e32 v2, v0, v2
	ds_store_b64 v2, v[10:11] offset:584
	v_cmpx_ne_u32_e32 0, v101
	s_cbranch_execz .LBB2_1319
; %bb.1318:                             ;   in Loop: Header=BB2_1294 Depth=2
	ds_load_b64 v[10:11], v0 offset:872
	s_wait_dscnt 0x0
	v_add_nc_u64_e32 v[10:11], 1, v[10:11]
	ds_store_b64 v0, v[10:11] offset:872
.LBB2_1319:                             ;   in Loop: Header=BB2_1294 Depth=2
	s_or_b32 exec_lo, exec_lo, s13
	v_mov_b64_e32 v[86:87], v[8:9]
.LBB2_1320:                             ;   in Loop: Header=BB2_1294 Depth=2
	s_or_b32 exec_lo, exec_lo, s27
	s_xor_b32 s13, s18, -1
	s_delay_alu instid0(SALU_CYCLE_1) | instskip(NEXT) | instid1(SALU_CYCLE_1)
	s_and_b32 s13, exec_lo, s13
	s_or_b32 s15, s13, s15
	s_and_saveexec_b32 s13, s2
	s_cbranch_execz .LBB2_1339
; %bb.1321:                             ;   in Loop: Header=BB2_1294 Depth=2
	s_and_saveexec_b32 s18, s3
	s_delay_alu instid0(SALU_CYCLE_1)
	s_xor_b32 s18, exec_lo, s18
	s_cbranch_execz .LBB2_1336
; %bb.1322:                             ;   in Loop: Header=BB2_1294 Depth=2
	s_and_saveexec_b32 s27, s6
	s_cbranch_execz .LBB2_1335
; %bb.1323:                             ;   in Loop: Header=BB2_1294 Depth=2
	s_mov_b32 s41, exec_lo
	s_mov_b32 s40, exec_lo
	v_mbcnt_lo_u32_b32 v2, s41, 0
	global_wb scope:SCOPE_DEV
	s_wait_storecnt 0x0
	s_wait_loadcnt_dscnt 0x0
	global_inv scope:SCOPE_DEV
	v_cmpx_eq_u32_e32 0, v2
	s_cbranch_execz .LBB2_1325
; %bb.1324:                             ;   in Loop: Header=BB2_1294 Depth=2
	s_bcnt1_i32_b32 s41, s41
	s_delay_alu instid0(SALU_CYCLE_1)
	v_mov_b32_e32 v2, s41
	s_wait_loadcnt 0x0
	ds_add_u64 v0, v[2:3]
	s_trap 2
.LBB2_1325:                             ;   in Loop: Header=BB2_1294 Depth=2
	s_or_b32 exec_lo, exec_lo, s40
	s_trap 2
	ds_load_b64 v[8:9], v0
	s_wait_dscnt 0x0
	v_add_nc_u64_e32 v[12:13], v[12:13], v[32:33]
	s_mov_b32 s40, exec_lo
	s_delay_alu instid0(VALU_DEP_1)
	v_cmpx_lt_u64_e64 v[8:9], v[12:13]
	s_cbranch_execz .LBB2_1334
; %bb.1326:                             ;   in Loop: Header=BB2_1294 Depth=2
	s_mov_b32 s41, 0
	s_mov_b32 s62, 0
                                        ; implicit-def: $sgpr60
                                        ; implicit-def: $sgpr61
	s_branch .LBB2_1328
.LBB2_1327:                             ;   in Loop: Header=BB2_1328 Depth=3
	s_or_b32 exec_lo, exec_lo, s72
	s_delay_alu instid0(SALU_CYCLE_1) | instskip(NEXT) | instid1(SALU_CYCLE_1)
	s_and_b32 s63, exec_lo, s73
	s_or_b32 s41, s63, s41
	s_and_not1_b32 s60, s60, exec_lo
	s_and_b32 s63, s61, exec_lo
	s_delay_alu instid0(SALU_CYCLE_1)
	s_or_b32 s60, s60, s63
	s_and_not1_b32 exec_lo, exec_lo, s41
	s_cbranch_execz .LBB2_1332
.LBB2_1328:                             ;   Parent Loop BB2_47 Depth=1
                                        ;     Parent Loop BB2_1294 Depth=2
                                        ; =>    This Inner Loop Header: Depth=3
	s_add_co_i32 s62, s62, 1
	s_delay_alu instid0(SALU_CYCLE_1) | instskip(SKIP_1) | instid1(SALU_CYCLE_1)
	s_cmp_lg_u32 s62, 0x2710
	s_cselect_b32 s63, -1, 0
	s_and_b32 vcc_lo, exec_lo, s63
	s_cbranch_vccz .LBB2_1330
; %bb.1329:                             ;   in Loop: Header=BB2_1328 Depth=3
	s_mov_b32 s73, -1
	s_or_b32 s61, s61, exec_lo
	s_and_saveexec_b32 s72, s63
	s_cbranch_execz .LBB2_1327
	s_branch .LBB2_1331
.LBB2_1330:                             ;   in Loop: Header=BB2_1328 Depth=3
	s_trap 2
	ds_load_b64 v[8:9], v0
	s_and_not1_b32 s63, s63, exec_lo
	s_mov_b32 s62, 0
	s_wait_loadcnt_dscnt 0x0
	flat_load_b32 v2, v[8:9] scope:SCOPE_SYS
	s_wait_loadcnt_dscnt 0x0
	global_inv scope:SCOPE_SYS
	v_cmp_eq_u32_e32 vcc_lo, 0, v2
	s_and_b32 s72, vcc_lo, exec_lo
	s_delay_alu instid0(SALU_CYCLE_1)
	s_or_b32 s63, s63, s72
	s_mov_b32 s73, -1
	s_or_b32 s61, s61, exec_lo
	s_and_saveexec_b32 s72, s63
	s_cbranch_execz .LBB2_1327
.LBB2_1331:                             ;   in Loop: Header=BB2_1328 Depth=3
	s_sleep 1
	s_trap 2
	ds_load_b64 v[8:9], v0
	s_wait_dscnt 0x0
	s_and_not1_b32 s61, s61, exec_lo
	v_cmp_ge_u64_e32 vcc_lo, v[8:9], v[12:13]
	s_or_not1_b32 s73, vcc_lo, exec_lo
	s_branch .LBB2_1327
.LBB2_1332:                             ;   in Loop: Header=BB2_1294 Depth=2
	s_or_b32 exec_lo, exec_lo, s41
	s_and_saveexec_b32 s41, s60
	s_delay_alu instid0(SALU_CYCLE_1)
	s_xor_b32 s41, exec_lo, s41
	s_cbranch_execz .LBB2_1334
; %bb.1333:                             ;   in Loop: Header=BB2_1294 Depth=2
	ds_store_b32 v0, v59
	s_trap 2
.LBB2_1334:                             ;   in Loop: Header=BB2_1294 Depth=2
	s_or_b32 exec_lo, exec_lo, s40
	;;#ASMSTART
	s_wakeup
	;;#ASMEND
.LBB2_1335:                             ;   in Loop: Header=BB2_1294 Depth=2
	s_or_b32 exec_lo, exec_lo, s27
.LBB2_1336:                             ;   in Loop: Header=BB2_1294 Depth=2
	s_and_not1_saveexec_b32 s18, s18
	s_cbranch_execz .LBB2_1338
; %bb.1337:                             ;   in Loop: Header=BB2_1294 Depth=2
	global_wb scope:SCOPE_DEV
	s_wait_storecnt 0x0
	s_wait_loadcnt_dscnt 0x0
	global_inv scope:SCOPE_DEV
	s_barrier_signal -1
	s_barrier_wait -1
.LBB2_1338:                             ;   in Loop: Header=BB2_1294 Depth=2
	s_or_b32 exec_lo, exec_lo, s18
.LBB2_1339:                             ;   in Loop: Header=BB2_1294 Depth=2
	s_delay_alu instid0(SALU_CYCLE_1) | instskip(SKIP_2) | instid1(SALU_CYCLE_1)
	s_or_b32 exec_lo, exec_lo, s13
	v_and_b32_e32 v8, 16, v30
	s_and_saveexec_b32 s13, s12
	s_xor_b32 s18, exec_lo, s13
	s_cbranch_execz .LBB2_1343
; %bb.1340:                             ;   in Loop: Header=BB2_1294 Depth=2
	s_trap 2
	ds_load_b32 v2, v0
	v_cmp_lt_i32_e32 vcc_lo, 0, v100
	v_and_b32_e32 v8, 16, v30
	s_wait_dscnt 0x0
	v_readfirstlane_b32 s13, v2
	v_and_b32_e32 v2, 16, v30
	s_cmp_eq_u32 s13, 0
	s_delay_alu instid0(VALU_DEP_1) | instskip(SKIP_1) | instid1(SALU_CYCLE_1)
	v_cmp_ne_u32_e64 s13, 0, v2
	s_cselect_b32 s27, -1, 0
	s_and_b32 s27, vcc_lo, s27
	s_delay_alu instid0(SALU_CYCLE_1) | instskip(NEXT) | instid1(SALU_CYCLE_1)
	s_and_b32 s27, s13, s27
	s_and_saveexec_b32 s13, s27
	s_cbranch_execz .LBB2_1342
; %bb.1341:                             ;   in Loop: Header=BB2_1294 Depth=2
	v_mov_b32_e32 v8, 1
	global_wb scope:SCOPE_SYS
	s_wait_loadcnt 0x0
	s_wait_storecnt 0x0
	global_inv scope:SCOPE_SYS
.LBB2_1342:                             ;   in Loop: Header=BB2_1294 Depth=2
	s_or_b32 exec_lo, exec_lo, s13
.LBB2_1343:                             ;   in Loop: Header=BB2_1294 Depth=2
	s_and_not1_saveexec_b32 s13, s18
	s_cbranch_execz .LBB2_1362
; %bb.1344:                             ;   in Loop: Header=BB2_1294 Depth=2
	s_and_saveexec_b32 s18, s3
	s_delay_alu instid0(SALU_CYCLE_1)
	s_xor_b32 s18, exec_lo, s18
	s_cbranch_execz .LBB2_1359
; %bb.1345:                             ;   in Loop: Header=BB2_1294 Depth=2
	s_and_saveexec_b32 s27, s6
	s_cbranch_execz .LBB2_1358
; %bb.1346:                             ;   in Loop: Header=BB2_1294 Depth=2
	s_mov_b32 s41, exec_lo
	s_mov_b32 s40, exec_lo
	v_mbcnt_lo_u32_b32 v2, s41, 0
	;;#ASMSTART
	s_waitcnt lgkmcnt(0) vmcnt(0)
	;;#ASMEND
	s_delay_alu instid0(VALU_DEP_1)
	v_cmpx_eq_u32_e32 0, v2
	s_cbranch_execz .LBB2_1348
; %bb.1347:                             ;   in Loop: Header=BB2_1294 Depth=2
	s_bcnt1_i32_b32 s41, s41
	s_delay_alu instid0(SALU_CYCLE_1)
	v_mov_b32_e32 v2, s41
	s_wait_storecnt 0x0
	s_wait_loadcnt_dscnt 0x0
	ds_add_u64 v0, v[2:3]
	s_trap 2
.LBB2_1348:                             ;   in Loop: Header=BB2_1294 Depth=2
	s_or_b32 exec_lo, exec_lo, s40
	s_trap 2
	ds_load_b64 v[10:11], v0
	s_wait_dscnt 0x0
	v_add_nc_u64_e32 v[12:13], v[12:13], v[32:33]
	s_mov_b32 s40, exec_lo
	s_delay_alu instid0(VALU_DEP_1)
	v_cmpx_lt_u64_e64 v[10:11], v[12:13]
	s_cbranch_execz .LBB2_1357
; %bb.1349:                             ;   in Loop: Header=BB2_1294 Depth=2
	s_mov_b32 s41, 0
	s_mov_b32 s62, 0
                                        ; implicit-def: $sgpr60
                                        ; implicit-def: $sgpr61
	s_branch .LBB2_1351
.LBB2_1350:                             ;   in Loop: Header=BB2_1351 Depth=3
	s_or_b32 exec_lo, exec_lo, s72
	s_delay_alu instid0(SALU_CYCLE_1) | instskip(NEXT) | instid1(SALU_CYCLE_1)
	s_and_b32 s63, exec_lo, s73
	s_or_b32 s41, s63, s41
	s_and_not1_b32 s60, s60, exec_lo
	s_and_b32 s63, s61, exec_lo
	s_delay_alu instid0(SALU_CYCLE_1)
	s_or_b32 s60, s60, s63
	s_and_not1_b32 exec_lo, exec_lo, s41
	s_cbranch_execz .LBB2_1355
.LBB2_1351:                             ;   Parent Loop BB2_47 Depth=1
                                        ;     Parent Loop BB2_1294 Depth=2
                                        ; =>    This Inner Loop Header: Depth=3
	s_add_co_i32 s62, s62, 1
	s_delay_alu instid0(SALU_CYCLE_1) | instskip(SKIP_1) | instid1(SALU_CYCLE_1)
	s_cmp_lg_u32 s62, 0x2710
	s_cselect_b32 s63, -1, 0
	s_and_b32 vcc_lo, exec_lo, s63
	s_cbranch_vccz .LBB2_1353
; %bb.1352:                             ;   in Loop: Header=BB2_1351 Depth=3
	s_mov_b32 s73, -1
	s_or_b32 s61, s61, exec_lo
	s_and_saveexec_b32 s72, s63
	s_cbranch_execz .LBB2_1350
	s_branch .LBB2_1354
.LBB2_1353:                             ;   in Loop: Header=BB2_1351 Depth=3
	s_trap 2
	ds_load_b64 v[10:11], v0
	s_and_not1_b32 s63, s63, exec_lo
	s_mov_b32 s62, 0
	s_wait_storecnt 0x0
	s_wait_loadcnt_dscnt 0x0
	flat_load_b32 v2, v[10:11] scope:SCOPE_SYS
	s_wait_loadcnt_dscnt 0x0
	global_inv scope:SCOPE_SYS
	v_cmp_eq_u32_e32 vcc_lo, 0, v2
	s_and_b32 s72, vcc_lo, exec_lo
	s_delay_alu instid0(SALU_CYCLE_1)
	s_or_b32 s63, s63, s72
	s_mov_b32 s73, -1
	s_or_b32 s61, s61, exec_lo
	s_and_saveexec_b32 s72, s63
	s_cbranch_execz .LBB2_1350
.LBB2_1354:                             ;   in Loop: Header=BB2_1351 Depth=3
	s_sleep 1
	s_trap 2
	ds_load_b64 v[10:11], v0
	s_wait_dscnt 0x0
	s_and_not1_b32 s61, s61, exec_lo
	v_cmp_ge_u64_e32 vcc_lo, v[10:11], v[12:13]
	s_or_not1_b32 s73, vcc_lo, exec_lo
	s_branch .LBB2_1350
.LBB2_1355:                             ;   in Loop: Header=BB2_1294 Depth=2
	s_or_b32 exec_lo, exec_lo, s41
	s_and_saveexec_b32 s41, s60
	s_delay_alu instid0(SALU_CYCLE_1)
	s_xor_b32 s41, exec_lo, s41
	s_cbranch_execz .LBB2_1357
; %bb.1356:                             ;   in Loop: Header=BB2_1294 Depth=2
	ds_store_b32 v0, v59
	s_trap 2
.LBB2_1357:                             ;   in Loop: Header=BB2_1294 Depth=2
	s_or_b32 exec_lo, exec_lo, s40
	;;#ASMSTART
	s_wakeup
	;;#ASMEND
.LBB2_1358:                             ;   in Loop: Header=BB2_1294 Depth=2
	s_or_b32 exec_lo, exec_lo, s27
.LBB2_1359:                             ;   in Loop: Header=BB2_1294 Depth=2
	s_and_not1_saveexec_b32 s18, s18
	s_cbranch_execz .LBB2_1361
; %bb.1360:                             ;   in Loop: Header=BB2_1294 Depth=2
	;;#ASMSTART
	s_waitcnt lgkmcnt(0) vmcnt(0)
	;;#ASMEND
	s_barrier_signal -1
	s_barrier_wait -1
.LBB2_1361:                             ;   in Loop: Header=BB2_1294 Depth=2
	s_or_b32 exec_lo, exec_lo, s18
.LBB2_1362:                             ;   in Loop: Header=BB2_1294 Depth=2
	s_delay_alu instid0(SALU_CYCLE_1) | instskip(SKIP_2) | instid1(SALU_CYCLE_1)
	s_or_b32 exec_lo, exec_lo, s13
	v_cmp_ne_u32_e32 vcc_lo, 0, v8
	s_xor_b32 s13, s4, -1
	s_and_b32 s18, vcc_lo, s13
	s_delay_alu instid0(SALU_CYCLE_1)
	s_and_saveexec_b32 s13, s18
	s_cbranch_execz .LBB2_1364
; %bb.1363:                             ;   in Loop: Header=BB2_1294 Depth=2
	global_wb scope:SCOPE_SYS
	s_wait_storecnt 0x0
	s_wait_loadcnt_dscnt 0x0
	flat_store_b32 v[26:27], v59 scope:SCOPE_SYS
.LBB2_1364:                             ;   in Loop: Header=BB2_1294 Depth=2
	s_wait_xcnt 0x0
	s_or_b32 exec_lo, exec_lo, s13
	v_and_b32_e32 v2, 48, v30
	s_mov_b32 s13, exec_lo
	s_delay_alu instid0(VALU_DEP_1)
	v_cmpx_ne_u32_e32 0, v2
	s_cbranch_execz .LBB2_1293
; %bb.1365:                             ;   in Loop: Header=BB2_1294 Depth=2
	v_add_nc_u64_e32 v[86:87], 2, v[86:87]
	global_wb scope:SCOPE_SYS
	s_wait_storecnt 0x0
	s_wait_loadcnt_dscnt 0x0
	flat_store_b64 v[20:21], v[86:87] scope:SCOPE_SYS
	s_branch .LBB2_1293
.LBB2_1366:                             ;   in Loop: Header=BB2_47 Depth=1
	s_or_b32 exec_lo, exec_lo, s15
.LBB2_1367:                             ;   in Loop: Header=BB2_47 Depth=1
	s_delay_alu instid0(SALU_CYCLE_1) | instskip(NEXT) | instid1(SALU_CYCLE_1)
	s_or_b32 exec_lo, exec_lo, s14
	s_and_not1_b32 vcc_lo, exec_lo, s46
	s_cbranch_vccnz .LBB2_1626
; %bb.1368:                             ;   in Loop: Header=BB2_47 Depth=1
	s_mov_b32 s18, 1
.LBB2_1369:                             ;   Parent Loop BB2_47 Depth=1
                                        ; =>  This Loop Header: Depth=2
                                        ;       Child Loop BB2_1372 Depth 3
                                        ;         Child Loop BB2_1380 Depth 4
                                        ;         Child Loop BB2_1408 Depth 4
                                        ;         Child Loop BB2_1427 Depth 4
                                        ;         Child Loop BB2_1450 Depth 4
                                        ;           Child Loop BB2_1451 Depth 5
                                        ;         Child Loop BB2_1457 Depth 4
                                        ;           Child Loop BB2_1458 Depth 5
                                        ;         Child Loop BB2_1465 Depth 4
                                        ;         Child Loop BB2_1470 Depth 4
                                        ;           Child Loop BB2_1471 Depth 5
                                        ;         Child Loop BB2_1483 Depth 4
                                        ;         Child Loop BB2_1488 Depth 4
	;; [unrolled: 1-line block ×6, first 2 shown]
                                        ;       Child Loop BB2_1551 Depth 3
                                        ;         Child Loop BB2_1557 Depth 4
                                        ;         Child Loop BB2_1585 Depth 4
                                        ;         Child Loop BB2_1608 Depth 4
	s_delay_alu instid0(SALU_CYCLE_1) | instskip(SKIP_4) | instid1(SALU_CYCLE_1)
	s_sub_co_i32 s13, s44, s18
	s_mov_b32 s60, 0
	s_cmp_ge_i32 s13, s16
	v_mov_b32_e32 v102, 0
	s_cselect_b32 s14, s16, 0
	s_sub_co_i32 s14, s13, s14
	s_delay_alu instid0(SALU_CYCLE_1) | instskip(NEXT) | instid1(SALU_CYCLE_1)
	s_ashr_i32 s15, s14, 31
	v_mul_u64_e32 v[8:9], s[14:15], v[84:85]
	s_delay_alu instid0(VALU_DEP_1) | instskip(NEXT) | instid1(VALU_DEP_1)
	v_sub_nc_u64_e32 v[10:11], v[96:97], v[8:9]
	v_min_i64 v[10:11], v[84:85], v[10:11]
	s_delay_alu instid0(VALU_DEP_1) | instskip(SKIP_1) | instid1(VALU_DEP_2)
	v_max_i32_e32 v46, 0, v10
	v_cmp_lt_i32_e32 vcc_lo, 0, v10
	v_add_nc_u32_e32 v2, 31, v46
	s_and_b32 s13, s57, vcc_lo
	s_delay_alu instid0(VALU_DEP_1) | instskip(NEXT) | instid1(VALU_DEP_1)
	v_lshrrev_b32_e32 v2, 1, v2
	v_and_b32_e32 v11, 0x3ffffff0, v2
	s_delay_alu instid0(VALU_DEP_1)
	v_dual_mov_b32 v2, 0 :: v_dual_max_i32 v100, s45, v11
	s_and_saveexec_b32 s27, s13
	s_cbranch_execz .LBB2_1548
; %bb.1370:                             ;   in Loop: Header=BB2_1369 Depth=2
	v_add_nc_u64_e32 v[8:9], v[8:9], v[98:99]
	v_mov_b32_e32 v102, 0
	s_mov_b32 s62, 1
	s_mov_b32 s61, -1
	s_delay_alu instid0(VALU_DEP_2)
	v_lshlrev_b64_e32 v[112:113], 1, v[8:9]
	s_branch .LBB2_1372
.LBB2_1371:                             ;   in Loop: Header=BB2_1372 Depth=3
	s_wait_xcnt 0x0
	s_or_b32 exec_lo, exec_lo, s13
	v_dual_add_nc_u32 v102, v100, v102 :: v_dual_mov_b32 v2, s62
	s_xor_b32 s13, s61, -1
	s_mov_b32 s61, 0
	s_mov_b32 s62, 2
	s_delay_alu instid0(VALU_DEP_1) | instskip(SKIP_1) | instid1(SALU_CYCLE_1)
	v_cmp_ge_i32_e32 vcc_lo, v102, v46
	s_or_b32 s13, s13, vcc_lo
	s_and_b32 s13, exec_lo, s13
	s_delay_alu instid0(SALU_CYCLE_1) | instskip(NEXT) | instid1(SALU_CYCLE_1)
	s_or_b32 s60, s13, s60
	s_and_not1_b32 exec_lo, exec_lo, s60
	s_cbranch_execz .LBB2_1547
.LBB2_1372:                             ;   Parent Loop BB2_47 Depth=1
                                        ;     Parent Loop BB2_1369 Depth=2
                                        ; =>    This Loop Header: Depth=3
                                        ;         Child Loop BB2_1380 Depth 4
                                        ;         Child Loop BB2_1408 Depth 4
	;; [unrolled: 1-line block ×4, first 2 shown]
                                        ;           Child Loop BB2_1451 Depth 5
                                        ;         Child Loop BB2_1457 Depth 4
                                        ;           Child Loop BB2_1458 Depth 5
                                        ;         Child Loop BB2_1465 Depth 4
                                        ;         Child Loop BB2_1470 Depth 4
                                        ;           Child Loop BB2_1471 Depth 5
                                        ;         Child Loop BB2_1483 Depth 4
                                        ;         Child Loop BB2_1488 Depth 4
                                        ;         Child Loop BB2_1494 Depth 4
                                        ;         Child Loop BB2_1499 Depth 4
                                        ;         Child Loop BB2_1509 Depth 4
                                        ;         Child Loop BB2_1532 Depth 4
	s_and_saveexec_b32 s13, s0
	s_cbranch_execz .LBB2_1374
; %bb.1373:                             ;   in Loop: Header=BB2_1372 Depth=3
	s_trap 2
	ds_load_b128 v[8:11], v0
	s_wait_dscnt 0x0
	v_cmp_ne_u64_e32 vcc_lo, 0, v[10:11]
	v_ashrrev_i32_e32 v103, 31, v102
	v_add_nc_u64_e32 v[116:117], v[10:11], v[112:113]
	v_add_nc_u64_e32 v[8:9], v[8:9], v[112:113]
	s_delay_alu instid0(VALU_DEP_3) | instskip(NEXT) | instid1(VALU_DEP_1)
	v_lshlrev_b64_e32 v[114:115], 1, v[102:103]
	v_add_nc_u64_e32 v[116:117], v[116:117], v[114:115]
	s_delay_alu instid0(VALU_DEP_3) | instskip(NEXT) | instid1(VALU_DEP_2)
	v_add_nc_u64_e32 v[8:9], v[8:9], v[114:115]
	v_dual_cndmask_b32 v11, 0, v117 :: v_dual_cndmask_b32 v10, 0, v116
	ds_store_b64 v0, v[8:9]
	ds_store_b64 v0, v[10:11]
.LBB2_1374:                             ;   in Loop: Header=BB2_1372 Depth=3
	s_or_b32 exec_lo, exec_lo, s13
	v_sub_nc_u32_e32 v2, v46, v102
	v_and_b32_e32 v8, 12, v30
	s_mov_b32 s14, exec_lo
	s_delay_alu instid0(VALU_DEP_2) | instskip(NEXT) | instid1(VALU_DEP_2)
	v_min_i32_e32 v100, v100, v2
	v_cmpx_ne_u32_e32 0, v8
	s_cbranch_execz .LBB2_1400
; %bb.1375:                             ;   in Loop: Header=BB2_1372 Depth=3
	v_and_b32_e32 v2, 8, v30
	v_add_nc_u64_e32 v[8:9], 2, v[86:87]
	s_mov_b32 s15, exec_lo
	s_wait_loadcnt_dscnt 0x1
	s_delay_alu instid0(VALU_DEP_2) | instskip(NEXT) | instid1(VALU_DEP_1)
	v_add_nc_u64_e32 v[10:11], v[28:29], v[2:3]
	v_cmpx_lt_u64_e64 v[10:11], v[8:9]
	s_cbranch_execz .LBB2_1387
; %bb.1376:                             ;   in Loop: Header=BB2_1372 Depth=3
	v_and_b32_e32 v10, 64, v30
	s_mov_b32 s40, 0
	s_mov_b32 s73, 0
                                        ; implicit-def: $sgpr41
                                        ; implicit-def: $sgpr63
                                        ; implicit-def: $sgpr72
	s_delay_alu instid0(VALU_DEP_1)
	v_cmp_eq_u32_e32 vcc_lo, 0, v10
	s_branch .LBB2_1380
.LBB2_1377:                             ;   in Loop: Header=BB2_1380 Depth=4
	s_wait_loadcnt_dscnt 0x0
	v_add_nc_u64_e32 v[114:115], v[28:29], v[2:3]
	s_or_b32 s76, s76, exec_lo
	s_delay_alu instid0(VALU_DEP_1)
	v_cmp_ge_u64_e64 s13, v[114:115], v[8:9]
	s_or_not1_b32 s75, s13, exec_lo
.LBB2_1378:                             ;   in Loop: Header=BB2_1380 Depth=4
	s_or_b32 exec_lo, exec_lo, s78
	s_delay_alu instid0(SALU_CYCLE_1)
	s_and_not1_b32 s13, s72, exec_lo
	s_and_b32 s72, s76, exec_lo
	s_and_not1_b32 s63, s63, exec_lo
	s_and_b32 s75, s75, exec_lo
	s_or_b32 s72, s13, s72
	s_or_b32 s63, s63, s75
.LBB2_1379:                             ;   in Loop: Header=BB2_1380 Depth=4
	s_or_b32 exec_lo, exec_lo, s74
	s_delay_alu instid0(SALU_CYCLE_1) | instskip(NEXT) | instid1(SALU_CYCLE_1)
	s_and_b32 s13, exec_lo, s63
	s_or_b32 s40, s13, s40
	s_and_not1_b32 s13, s41, exec_lo
	s_and_b32 s41, s72, exec_lo
	s_delay_alu instid0(SALU_CYCLE_1)
	s_or_b32 s41, s13, s41
	s_and_not1_b32 exec_lo, exec_lo, s40
	s_cbranch_execz .LBB2_1384
.LBB2_1380:                             ;   Parent Loop BB2_47 Depth=1
                                        ;     Parent Loop BB2_1369 Depth=2
                                        ;       Parent Loop BB2_1372 Depth=3
                                        ; =>      This Inner Loop Header: Depth=4
	s_sleep 1
	s_wait_loadcnt_dscnt 0x0
	flat_load_b64 v[28:29], v[20:21] scope:SCOPE_SYS
	s_or_b32 s72, s72, exec_lo
	s_or_b32 s63, s63, exec_lo
                                        ; implicit-def: $vgpr10
	s_wait_xcnt 0x0
	s_and_saveexec_b32 s74, vcc_lo
	s_cbranch_execz .LBB2_1379
; %bb.1381:                             ;   in Loop: Header=BB2_1380 Depth=4
	s_cmp_lt_i32 s73, 0x270f
	s_mov_b32 s75, -1
	s_cselect_b32 s77, -1, 0
	s_cmp_gt_i32 s73, 0x270e
	s_cbranch_scc0 .LBB2_1383
; %bb.1382:                             ;   in Loop: Header=BB2_1380 Depth=4
	s_trap 2
	ds_load_b64 v[10:11], v0
	s_and_not1_b32 s73, s77, exec_lo
	s_mov_b32 s76, 0
	s_wait_storecnt 0x0
	s_wait_loadcnt_dscnt 0x0
	flat_load_b32 v10, v[10:11] scope:SCOPE_SYS
	s_wait_loadcnt_dscnt 0x0
	global_inv scope:SCOPE_SYS
	v_cmp_eq_u32_e64 s13, 0, v10
	s_and_b32 s13, s13, exec_lo
	s_delay_alu instid0(SALU_CYCLE_1)
	s_or_b32 s77, s73, s13
	s_mov_b32 s73, 0
	s_and_saveexec_b32 s78, s77
	s_cbranch_execz .LBB2_1378
	s_branch .LBB2_1377
.LBB2_1383:                             ;   in Loop: Header=BB2_1380 Depth=4
	s_add_co_i32 s73, s73, 1
	s_mov_b32 s76, -1
                                        ; implicit-def: $vgpr10
	s_and_saveexec_b32 s78, s77
	s_cbranch_execz .LBB2_1378
	s_branch .LBB2_1377
.LBB2_1384:                             ;   in Loop: Header=BB2_1372 Depth=3
	s_or_b32 exec_lo, exec_lo, s40
	s_xor_b32 s13, s41, -1
	s_delay_alu instid0(SALU_CYCLE_1) | instskip(NEXT) | instid1(SALU_CYCLE_1)
	s_and_saveexec_b32 s40, s13
	s_xor_b32 s13, exec_lo, s40
	s_cbranch_execz .LBB2_1386
; %bb.1385:                             ;   in Loop: Header=BB2_1372 Depth=3
	v_or_b32_e32 v30, 64, v30
	s_wait_storecnt 0x0
	s_wait_loadcnt_dscnt 0x0
	ds_store_b32 v0, v10
	s_trap 2
.LBB2_1386:                             ;   in Loop: Header=BB2_1372 Depth=3
	s_or_b32 exec_lo, exec_lo, s13
.LBB2_1387:                             ;   in Loop: Header=BB2_1372 Depth=3
	s_delay_alu instid0(SALU_CYCLE_1) | instskip(SKIP_2) | instid1(VALU_DEP_1)
	s_or_b32 exec_lo, exec_lo, s15
	v_and_b32_e32 v10, 0x108, v30
	;;#ASMSTART
	s_wakeup
	;;#ASMEND
	v_cmp_ne_u32_e32 vcc_lo, 0x108, v10
                                        ; implicit-def: $vgpr10_vgpr11
	s_and_saveexec_b32 s13, vcc_lo
	s_delay_alu instid0(SALU_CYCLE_1)
	s_xor_b32 s13, exec_lo, s13
; %bb.1388:                             ;   in Loop: Header=BB2_1372 Depth=3
	v_dual_mov_b32 v11, v3 :: v_dual_bitop2_b32 v10, 7, v86 bitop3:0x40
                                        ; implicit-def: $vgpr86_vgpr87
; %bb.1389:                             ;   in Loop: Header=BB2_1372 Depth=3
	s_and_not1_saveexec_b32 s13, s13
	s_cbranch_execz .LBB2_1391
; %bb.1390:                             ;   in Loop: Header=BB2_1372 Depth=3
	v_dual_ashrrev_i32 v101, 31, v100 :: v_dual_bitop2_b32 v10, 7, v86 bitop3:0x40
	v_mov_b32_e32 v11, v3
	s_delay_alu instid0(VALU_DEP_2) | instskip(NEXT) | instid1(VALU_DEP_3)
	v_mad_nc_u64_u32 v[86:87], v10, 24, v[6:7]
	v_lshlrev_b64_e32 v[114:115], 1, v[100:101]
	flat_store_b64 v[86:87], v[114:115] offset:8
.LBB2_1391:                             ;   in Loop: Header=BB2_1372 Depth=3
	s_wait_xcnt 0x0
	s_or_b32 exec_lo, exec_lo, s13
	v_and_b32_e32 v86, 0x100, v30
	s_mov_b32 s13, -1
	s_delay_alu instid0(VALU_DEP_1)
	v_cmp_ne_u32_e32 vcc_lo, 0, v86
                                        ; implicit-def: $vgpr86_vgpr87
	s_and_saveexec_b32 s15, vcc_lo
	s_cbranch_execz .LBB2_1395
; %bb.1392:                             ;   in Loop: Header=BB2_1372 Depth=3
	v_mad_nc_u64_u32 v[114:115], v10, 24, v[6:7]
	s_delay_alu instid0(VALU_DEP_1)
	v_mad_u32 v115, v11, 24, v115
	flat_load_b32 v86, v[114:115]
	s_wait_loadcnt_dscnt 0x0
	v_cmp_eq_u32_e64 s13, 1, v86
	v_cmp_ne_u32_e32 vcc_lo, 1, v86
                                        ; implicit-def: $vgpr86_vgpr87
	s_wait_xcnt 0x0
	s_and_saveexec_b32 s40, s13
	s_cbranch_execz .LBB2_1394
; %bb.1393:                             ;   in Loop: Header=BB2_1372 Depth=3
	flat_load_b32 v86, v[114:115] offset:4 scope:SCOPE_SYS
	s_wait_loadcnt_dscnt 0x0
	v_ashrrev_i32_e32 v87, 31, v86
	s_delay_alu instid0(VALU_DEP_1)
	v_lshrrev_b64 v[86:87], 1, v[86:87]
.LBB2_1394:                             ;   in Loop: Header=BB2_1372 Depth=3
	s_wait_xcnt 0x0
	s_or_b32 exec_lo, exec_lo, s40
	s_delay_alu instid0(SALU_CYCLE_1)
	s_or_not1_b32 s13, vcc_lo, exec_lo
.LBB2_1395:                             ;   in Loop: Header=BB2_1372 Depth=3
	s_or_b32 exec_lo, exec_lo, s15
	s_and_saveexec_b32 s15, s13
; %bb.1396:                             ;   in Loop: Header=BB2_1372 Depth=3
	v_mul_u64_e32 v[86:87], v[10:11], v[22:23]
; %bb.1397:                             ;   in Loop: Header=BB2_1372 Depth=3
	s_or_b32 exec_lo, exec_lo, s15
	v_cmp_eq_u32_e32 vcc_lo, 0, v2
	v_and_b32_e32 v101, 0x2000, v30
	s_delay_alu instid0(VALU_DEP_3) | instskip(SKIP_2) | instid1(VALU_DEP_1)
	v_lshl_add_u64 v[10:11], v[86:87], 1, v[24:25]
	s_mov_b32 s13, exec_lo
	v_cndmask_b32_e32 v2, 0xd0, v61, vcc_lo
	v_add_nc_u32_e32 v2, v0, v2
	ds_store_b64 v2, v[10:11] offset:584
	v_cmpx_ne_u32_e32 0, v101
	s_cbranch_execz .LBB2_1399
; %bb.1398:                             ;   in Loop: Header=BB2_1372 Depth=3
	ds_load_b64 v[10:11], v0 offset:872
	s_wait_dscnt 0x0
	v_add_nc_u64_e32 v[10:11], 1, v[10:11]
	ds_store_b64 v0, v[10:11] offset:872
.LBB2_1399:                             ;   in Loop: Header=BB2_1372 Depth=3
	s_or_b32 exec_lo, exec_lo, s13
	v_mov_b64_e32 v[86:87], v[8:9]
.LBB2_1400:                             ;   in Loop: Header=BB2_1372 Depth=3
	s_or_b32 exec_lo, exec_lo, s14
	s_and_saveexec_b32 s13, s2
	s_cbranch_execz .LBB2_1419
; %bb.1401:                             ;   in Loop: Header=BB2_1372 Depth=3
	s_and_saveexec_b32 s14, s3
	s_delay_alu instid0(SALU_CYCLE_1)
	s_xor_b32 s14, exec_lo, s14
	s_cbranch_execz .LBB2_1416
; %bb.1402:                             ;   in Loop: Header=BB2_1372 Depth=3
	s_and_saveexec_b32 s15, s6
	s_cbranch_execz .LBB2_1415
; %bb.1403:                             ;   in Loop: Header=BB2_1372 Depth=3
	s_mov_b32 s41, exec_lo
	s_mov_b32 s40, exec_lo
	v_mbcnt_lo_u32_b32 v2, s41, 0
	global_wb scope:SCOPE_DEV
	s_wait_storecnt 0x0
	s_wait_loadcnt_dscnt 0x0
	global_inv scope:SCOPE_DEV
	v_cmpx_eq_u32_e32 0, v2
	s_cbranch_execz .LBB2_1405
; %bb.1404:                             ;   in Loop: Header=BB2_1372 Depth=3
	s_bcnt1_i32_b32 s41, s41
	s_delay_alu instid0(SALU_CYCLE_1)
	v_mov_b32_e32 v2, s41
	s_wait_loadcnt 0x0
	ds_add_u64 v0, v[2:3]
	s_trap 2
.LBB2_1405:                             ;   in Loop: Header=BB2_1372 Depth=3
	s_or_b32 exec_lo, exec_lo, s40
	s_trap 2
	ds_load_b64 v[8:9], v0
	s_wait_dscnt 0x0
	v_add_nc_u64_e32 v[12:13], v[12:13], v[32:33]
	s_mov_b32 s40, exec_lo
	s_delay_alu instid0(VALU_DEP_1)
	v_cmpx_lt_u64_e64 v[8:9], v[12:13]
	s_cbranch_execz .LBB2_1414
; %bb.1406:                             ;   in Loop: Header=BB2_1372 Depth=3
	s_mov_b32 s41, 0
	s_mov_b32 s73, 0
                                        ; implicit-def: $sgpr63
                                        ; implicit-def: $sgpr72
	s_branch .LBB2_1408
.LBB2_1407:                             ;   in Loop: Header=BB2_1408 Depth=4
	s_or_b32 exec_lo, exec_lo, s75
	s_delay_alu instid0(SALU_CYCLE_1) | instskip(NEXT) | instid1(SALU_CYCLE_1)
	s_and_b32 s74, exec_lo, s76
	s_or_b32 s41, s74, s41
	s_and_not1_b32 s63, s63, exec_lo
	s_and_b32 s74, s72, exec_lo
	s_delay_alu instid0(SALU_CYCLE_1)
	s_or_b32 s63, s63, s74
	s_and_not1_b32 exec_lo, exec_lo, s41
	s_cbranch_execz .LBB2_1412
.LBB2_1408:                             ;   Parent Loop BB2_47 Depth=1
                                        ;     Parent Loop BB2_1369 Depth=2
                                        ;       Parent Loop BB2_1372 Depth=3
                                        ; =>      This Inner Loop Header: Depth=4
	s_add_co_i32 s73, s73, 1
	s_delay_alu instid0(SALU_CYCLE_1) | instskip(SKIP_1) | instid1(SALU_CYCLE_1)
	s_cmp_lg_u32 s73, 0x2710
	s_cselect_b32 s74, -1, 0
	s_and_b32 vcc_lo, exec_lo, s74
	s_cbranch_vccz .LBB2_1410
; %bb.1409:                             ;   in Loop: Header=BB2_1408 Depth=4
	s_mov_b32 s76, -1
	s_or_b32 s72, s72, exec_lo
	s_and_saveexec_b32 s75, s74
	s_cbranch_execz .LBB2_1407
	s_branch .LBB2_1411
.LBB2_1410:                             ;   in Loop: Header=BB2_1408 Depth=4
	s_trap 2
	ds_load_b64 v[8:9], v0
	s_and_not1_b32 s74, s74, exec_lo
	s_mov_b32 s73, 0
	s_wait_loadcnt_dscnt 0x0
	flat_load_b32 v2, v[8:9] scope:SCOPE_SYS
	s_wait_loadcnt_dscnt 0x0
	global_inv scope:SCOPE_SYS
	v_cmp_eq_u32_e32 vcc_lo, 0, v2
	s_and_b32 s75, vcc_lo, exec_lo
	s_delay_alu instid0(SALU_CYCLE_1)
	s_or_b32 s74, s74, s75
	s_mov_b32 s76, -1
	s_or_b32 s72, s72, exec_lo
	s_and_saveexec_b32 s75, s74
	s_cbranch_execz .LBB2_1407
.LBB2_1411:                             ;   in Loop: Header=BB2_1408 Depth=4
	s_sleep 1
	s_trap 2
	ds_load_b64 v[8:9], v0
	s_wait_dscnt 0x0
	s_and_not1_b32 s72, s72, exec_lo
	v_cmp_ge_u64_e32 vcc_lo, v[8:9], v[12:13]
	s_or_not1_b32 s76, vcc_lo, exec_lo
	s_branch .LBB2_1407
.LBB2_1412:                             ;   in Loop: Header=BB2_1372 Depth=3
	s_or_b32 exec_lo, exec_lo, s41
	s_and_saveexec_b32 s41, s63
	s_delay_alu instid0(SALU_CYCLE_1)
	s_xor_b32 s41, exec_lo, s41
	s_cbranch_execz .LBB2_1414
; %bb.1413:                             ;   in Loop: Header=BB2_1372 Depth=3
	ds_store_b32 v0, v59
	s_trap 2
.LBB2_1414:                             ;   in Loop: Header=BB2_1372 Depth=3
	s_or_b32 exec_lo, exec_lo, s40
	;;#ASMSTART
	s_wakeup
	;;#ASMEND
.LBB2_1415:                             ;   in Loop: Header=BB2_1372 Depth=3
	s_or_b32 exec_lo, exec_lo, s15
.LBB2_1416:                             ;   in Loop: Header=BB2_1372 Depth=3
	s_and_not1_saveexec_b32 s14, s14
	s_cbranch_execz .LBB2_1418
; %bb.1417:                             ;   in Loop: Header=BB2_1372 Depth=3
	global_wb scope:SCOPE_DEV
	s_wait_storecnt 0x0
	s_wait_loadcnt_dscnt 0x0
	global_inv scope:SCOPE_DEV
	s_barrier_signal -1
	s_barrier_wait -1
.LBB2_1418:                             ;   in Loop: Header=BB2_1372 Depth=3
	s_or_b32 exec_lo, exec_lo, s14
.LBB2_1419:                             ;   in Loop: Header=BB2_1372 Depth=3
	s_delay_alu instid0(SALU_CYCLE_1) | instskip(SKIP_4) | instid1(VALU_DEP_1)
	s_or_b32 exec_lo, exec_lo, s13
	s_trap 2
	ds_load_b32 v8, v0
	v_and_b32_e32 v2, 0x4000, v30
	s_xor_b32 s13, s1, -1
	v_cmp_ne_u32_e32 vcc_lo, 0, v2
	s_and_b32 s14, s13, vcc_lo
	s_delay_alu instid0(SALU_CYCLE_1)
	s_and_saveexec_b32 s13, s14
	s_cbranch_execz .LBB2_1438
; %bb.1420:                             ;   in Loop: Header=BB2_1372 Depth=3
	s_and_saveexec_b32 s14, s3
	s_delay_alu instid0(SALU_CYCLE_1)
	s_xor_b32 s14, exec_lo, s14
	s_cbranch_execz .LBB2_1435
; %bb.1421:                             ;   in Loop: Header=BB2_1372 Depth=3
	s_and_saveexec_b32 s15, s6
	s_cbranch_execz .LBB2_1434
; %bb.1422:                             ;   in Loop: Header=BB2_1372 Depth=3
	s_mov_b32 s41, exec_lo
	s_mov_b32 s40, exec_lo
	v_mbcnt_lo_u32_b32 v2, s41, 0
	global_wb scope:SCOPE_DEV
	s_wait_storecnt 0x0
	s_wait_loadcnt_dscnt 0x0
	global_inv scope:SCOPE_DEV
	v_cmpx_eq_u32_e32 0, v2
	s_cbranch_execz .LBB2_1424
; %bb.1423:                             ;   in Loop: Header=BB2_1372 Depth=3
	s_bcnt1_i32_b32 s41, s41
	s_delay_alu instid0(SALU_CYCLE_1)
	v_mov_b32_e32 v2, s41
	s_wait_loadcnt 0x0
	ds_add_u64 v0, v[2:3]
	s_trap 2
.LBB2_1424:                             ;   in Loop: Header=BB2_1372 Depth=3
	s_or_b32 exec_lo, exec_lo, s40
	s_trap 2
	ds_load_b64 v[10:11], v0
	s_wait_dscnt 0x0
	v_add_nc_u64_e32 v[12:13], v[12:13], v[32:33]
	s_mov_b32 s40, exec_lo
	s_delay_alu instid0(VALU_DEP_1)
	v_cmpx_lt_u64_e64 v[10:11], v[12:13]
	s_cbranch_execz .LBB2_1433
; %bb.1425:                             ;   in Loop: Header=BB2_1372 Depth=3
	s_mov_b32 s41, 0
	s_mov_b32 s73, 0
                                        ; implicit-def: $sgpr63
                                        ; implicit-def: $sgpr72
	s_branch .LBB2_1427
.LBB2_1426:                             ;   in Loop: Header=BB2_1427 Depth=4
	s_or_b32 exec_lo, exec_lo, s75
	s_delay_alu instid0(SALU_CYCLE_1) | instskip(NEXT) | instid1(SALU_CYCLE_1)
	s_and_b32 s74, exec_lo, s76
	s_or_b32 s41, s74, s41
	s_and_not1_b32 s63, s63, exec_lo
	s_and_b32 s74, s72, exec_lo
	s_delay_alu instid0(SALU_CYCLE_1)
	s_or_b32 s63, s63, s74
	s_and_not1_b32 exec_lo, exec_lo, s41
	s_cbranch_execz .LBB2_1431
.LBB2_1427:                             ;   Parent Loop BB2_47 Depth=1
                                        ;     Parent Loop BB2_1369 Depth=2
                                        ;       Parent Loop BB2_1372 Depth=3
                                        ; =>      This Inner Loop Header: Depth=4
	s_add_co_i32 s73, s73, 1
	s_delay_alu instid0(SALU_CYCLE_1) | instskip(SKIP_1) | instid1(SALU_CYCLE_1)
	s_cmp_lg_u32 s73, 0x2710
	s_cselect_b32 s74, -1, 0
	s_and_b32 vcc_lo, exec_lo, s74
	s_cbranch_vccz .LBB2_1429
; %bb.1428:                             ;   in Loop: Header=BB2_1427 Depth=4
	s_mov_b32 s76, -1
	s_or_b32 s72, s72, exec_lo
	s_and_saveexec_b32 s75, s74
	s_cbranch_execz .LBB2_1426
	s_branch .LBB2_1430
.LBB2_1429:                             ;   in Loop: Header=BB2_1427 Depth=4
	s_trap 2
	ds_load_b64 v[10:11], v0
	s_and_not1_b32 s74, s74, exec_lo
	s_mov_b32 s73, 0
	s_wait_loadcnt_dscnt 0x0
	flat_load_b32 v2, v[10:11] scope:SCOPE_SYS
	s_wait_loadcnt_dscnt 0x0
	global_inv scope:SCOPE_SYS
	v_cmp_eq_u32_e32 vcc_lo, 0, v2
	s_and_b32 s75, vcc_lo, exec_lo
	s_delay_alu instid0(SALU_CYCLE_1)
	s_or_b32 s74, s74, s75
	s_mov_b32 s76, -1
	s_or_b32 s72, s72, exec_lo
	s_and_saveexec_b32 s75, s74
	s_cbranch_execz .LBB2_1426
.LBB2_1430:                             ;   in Loop: Header=BB2_1427 Depth=4
	s_sleep 1
	s_trap 2
	ds_load_b64 v[10:11], v0
	s_wait_dscnt 0x0
	s_and_not1_b32 s72, s72, exec_lo
	v_cmp_ge_u64_e32 vcc_lo, v[10:11], v[12:13]
	s_or_not1_b32 s76, vcc_lo, exec_lo
	s_branch .LBB2_1426
.LBB2_1431:                             ;   in Loop: Header=BB2_1372 Depth=3
	s_or_b32 exec_lo, exec_lo, s41
	s_and_saveexec_b32 s41, s63
	s_delay_alu instid0(SALU_CYCLE_1)
	s_xor_b32 s41, exec_lo, s41
	s_cbranch_execz .LBB2_1433
; %bb.1432:                             ;   in Loop: Header=BB2_1372 Depth=3
	ds_store_b32 v0, v59
	s_trap 2
.LBB2_1433:                             ;   in Loop: Header=BB2_1372 Depth=3
	s_or_b32 exec_lo, exec_lo, s40
	;;#ASMSTART
	s_wakeup
	;;#ASMEND
.LBB2_1434:                             ;   in Loop: Header=BB2_1372 Depth=3
	s_or_b32 exec_lo, exec_lo, s15
.LBB2_1435:                             ;   in Loop: Header=BB2_1372 Depth=3
	s_and_not1_saveexec_b32 s14, s14
	s_cbranch_execz .LBB2_1437
; %bb.1436:                             ;   in Loop: Header=BB2_1372 Depth=3
	global_wb scope:SCOPE_DEV
	s_wait_storecnt 0x0
	s_wait_loadcnt_dscnt 0x0
	global_inv scope:SCOPE_DEV
	s_barrier_signal -1
	s_barrier_wait -1
.LBB2_1437:                             ;   in Loop: Header=BB2_1372 Depth=3
	s_or_b32 exec_lo, exec_lo, s14
.LBB2_1438:                             ;   in Loop: Header=BB2_1372 Depth=3
	s_delay_alu instid0(SALU_CYCLE_1)
	s_or_b32 exec_lo, exec_lo, s13
	s_trap 2
	ds_load_b64 v[114:115], v0
	s_wait_dscnt 0x0
	v_cmp_eq_u64_e32 vcc_lo, 0, v[114:115]
	s_cbranch_vccnz .LBB2_1447
; %bb.1439:                             ;   in Loop: Header=BB2_1372 Depth=3
	s_trap 2
	ds_load_b64 v[116:117], v0
	s_wait_dscnt 0x0
	v_cmp_eq_u64_e32 vcc_lo, 0, v[116:117]
	s_cbranch_vccnz .LBB2_1447
; %bb.1440:                             ;   in Loop: Header=BB2_1372 Depth=3
	s_trap 2
	ds_load_b64 v[118:119], v0
	v_cmp_eq_u32_e32 vcc_lo, 0, v8
	s_mov_b32 s13, -1
	v_cndmask_b32_e32 v2, 0, v100, vcc_lo
	s_delay_alu instid0(VALU_DEP_1)
	v_lshlrev_b32_e32 v101, 1, v2
	s_wait_dscnt 0x0
	v_cmp_ne_u64_e32 vcc_lo, 0, v[118:119]
	s_cbranch_vccz .LBB2_1474
; %bb.1441:                             ;   in Loop: Header=BB2_1372 Depth=3
	s_and_saveexec_b32 s14, s10
	s_cbranch_execz .LBB2_1443
; %bb.1442:                             ;   in Loop: Header=BB2_1372 Depth=3
	ds_load_b32 v8, v0 offset:720
	s_wait_dscnt 0x0
	v_and_b32_e32 v8, 15, v8
	s_delay_alu instid0(VALU_DEP_1)
	v_cmp_eq_u32_e32 vcc_lo, 0, v8
	s_or_not1_b32 s13, vcc_lo, exec_lo
.LBB2_1443:                             ;   in Loop: Header=BB2_1372 Depth=3
	s_or_b32 exec_lo, exec_lo, s14
	s_and_saveexec_b32 s14, s11
	s_cbranch_execz .LBB2_1445
; %bb.1444:                             ;   in Loop: Header=BB2_1372 Depth=3
	ds_load_b32 v8, v0 offset:784
	s_wait_dscnt 0x0
	v_and_b32_e32 v8, 15, v8
	s_delay_alu instid0(VALU_DEP_1) | instskip(SKIP_3) | instid1(SALU_CYCLE_1)
	v_cmp_eq_u32_e32 vcc_lo, 0, v8
	s_and_b32 s15, s13, vcc_lo
	s_and_not1_b32 s13, s13, exec_lo
	s_and_b32 s15, s15, exec_lo
	s_or_b32 s13, s13, s15
.LBB2_1445:                             ;   in Loop: Header=BB2_1372 Depth=3
	s_or_b32 exec_lo, exec_lo, s14
	s_xor_b32 s13, s13, -1
	v_dual_mov_b32 v42, 0 :: v_dual_mov_b32 v43, v101
	v_cndmask_b32_e64 v8, 0, 1, s13
	v_mov_b32_e32 v44, v0
	s_mov_b32 s14, -1
	s_delay_alu instid0(VALU_DEP_2)
	v_cmp_ne_u32_e32 vcc_lo, 0, v8
	s_cbranch_vccz .LBB2_1448
; %bb.1446:                             ;   in Loop: Header=BB2_1372 Depth=3
	s_and_saveexec_b32 s15, s14
	s_cbranch_execnz .LBB2_1463
	s_branch .LBB2_1473
.LBB2_1447:                             ;   in Loop: Header=BB2_1372 Depth=3
	s_mov_b32 s13, 0
	s_and_saveexec_b32 s14, s2
	s_cbranch_execnz .LBB2_1502
	s_branch .LBB2_1520
.LBB2_1448:                             ;   in Loop: Header=BB2_1372 Depth=3
	v_ashrrev_i32_e32 v8, 31, v101
	s_mov_b32 s63, exec_lo
	v_sub_nc_u32_e32 v47, v101, v36
	s_delay_alu instid0(VALU_DEP_2) | instskip(NEXT) | instid1(VALU_DEP_1)
	v_lshrrev_b32_e32 v8, 23, v8
	v_add_nc_u32_e32 v8, v101, v8
	s_delay_alu instid0(VALU_DEP_1) | instskip(NEXT) | instid1(VALU_DEP_1)
	v_and_b32_e32 v103, 0xfffffe00, v8
	v_dual_ashrrev_i32 v8, 9, v8 :: v_dual_sub_nc_u32 v62, v101, v103
	s_delay_alu instid0(VALU_DEP_1) | instskip(NEXT) | instid1(VALU_DEP_2)
	v_sub_nc_u32_e32 v8, v8, v58
	v_cmp_lt_i32_e64 s13, 15, v62
	s_delay_alu instid0(VALU_DEP_1)
	v_add_co_ci_u32_e64 v63, null, 0, v8, s13
	v_cmpx_lt_i32_e32 15, v47
	s_cbranch_execz .LBB2_1454
; %bb.1449:                             ;   in Loop: Header=BB2_1372 Depth=3
	v_add_nc_u64_e32 v[40:41], v[114:115], v[36:37]
	v_add_nc_u64_e32 v[42:43], v[116:117], v[36:37]
	;; [unrolled: 1-line block ×3, first 2 shown]
	s_mov_b32 s72, 0
.LBB2_1450:                             ;   Parent Loop BB2_47 Depth=1
                                        ;     Parent Loop BB2_1369 Depth=2
                                        ;       Parent Loop BB2_1372 Depth=3
                                        ; =>      This Loop Header: Depth=4
                                        ;           Child Loop BB2_1451 Depth 5
	global_load_b128 v[8:11], v[40:41], off th:TH_LOAD_NT
	s_mov_b64 s[40:41], 0
	s_mov_b32 s73, -1
.LBB2_1451:                             ;   Parent Loop BB2_47 Depth=1
                                        ;     Parent Loop BB2_1369 Depth=2
                                        ;       Parent Loop BB2_1372 Depth=3
                                        ;         Parent Loop BB2_1450 Depth=4
                                        ; =>        This Inner Loop Header: Depth=5
	s_cmp_eq_u32 s40, 1
	s_cselect_b32 vcc_lo, -1, 0
	s_cmp_eq_u32 s40, 0
	s_wait_xcnt 0x0
	v_dual_cndmask_b32 v73, v43, v45 :: v_dual_cndmask_b32 v72, v42, v44
	s_cselect_b32 s14, -1, 0
	s_and_b32 s15, exec_lo, s73
	s_mov_b64 s[40:41], 1
	s_mov_b32 s73, 0
	v_add_nc_u64_e32 v[74:75], 0x200, v[72:73]
	s_wait_loadcnt 0x0
	global_store_b128 v[72:73], v[8:11], off th:TH_STORE_NT
	v_dual_cndmask_b32 v45, v45, v75 :: v_dual_cndmask_b32 v44, v44, v74
	v_dual_cndmask_b32 v43, v43, v75, s14 :: v_dual_cndmask_b32 v42, v42, v74, s14
	s_mov_b32 vcc_lo, s15
	s_cbranch_vccnz .LBB2_1451
; %bb.1452:                             ;   in Loop: Header=BB2_1450 Depth=4
	v_sub_nc_u32_e32 v47, v47, v52
	s_delay_alu instid0(VALU_DEP_2)
	v_add_nc_u64_e32 v[42:43], v[42:43], v[68:69]
	v_add_nc_u64_e32 v[44:45], v[44:45], v[68:69]
	s_wait_xcnt 0x1
	v_add_nc_u64_e32 v[40:41], v[80:81], v[40:41]
	v_sub_nc_u32_e32 v63, v63, v32
	v_cmp_gt_i32_e32 vcc_lo, 16, v47
	s_or_b32 s72, vcc_lo, s72
	s_wait_xcnt 0x0
	s_and_not1_b32 exec_lo, exec_lo, s72
	s_cbranch_execnz .LBB2_1450
; %bb.1453:                             ;   in Loop: Header=BB2_1372 Depth=3
	s_or_b32 exec_lo, exec_lo, s72
.LBB2_1454:                             ;   in Loop: Header=BB2_1372 Depth=3
	s_delay_alu instid0(SALU_CYCLE_1) | instskip(SKIP_3) | instid1(VALU_DEP_1)
	s_or_b32 exec_lo, exec_lo, s63
	v_dual_mov_b32 v42, 0 :: v_dual_bitop2_b32 v8, 14, v101 bitop3:0x40
	s_mov_b32 s14, 0
	s_mov_b32 s63, exec_lo
                                        ; implicit-def: $vgpr43
                                        ; implicit-def: $vgpr44
	v_cndmask_b32_e64 v47, v62, v8, s13
	s_delay_alu instid0(VALU_DEP_1)
	v_cmpx_ne_u32_e32 0, v47
	s_cbranch_execz .LBB2_1462
; %bb.1455:                             ;   in Loop: Header=BB2_1372 Depth=3
	v_cmp_lt_i32_e32 vcc_lo, 0, v63
	s_mov_b32 s72, exec_lo
	v_dual_ashrrev_i32 v11, 31, v47 :: v_dual_cndmask_b32 v9, 0, v32, vcc_lo
	s_delay_alu instid0(VALU_DEP_1) | instskip(NEXT) | instid1(VALU_DEP_2)
	v_lshrrev_b32_e32 v11, 23, v11
	v_sub_nc_u32_e32 v9, v9, v63
	s_delay_alu instid0(VALU_DEP_1) | instskip(NEXT) | instid1(VALU_DEP_1)
	v_lshl_or_b32 v9, v9, 5, v57
	v_ashrrev_i32_e32 v10, 31, v9
	s_delay_alu instid0(VALU_DEP_1) | instskip(NEXT) | instid1(VALU_DEP_1)
	v_lshrrev_b32_e32 v10, 27, v10
	v_add_nc_u32_e32 v10, v9, v10
	s_delay_alu instid0(VALU_DEP_1) | instskip(NEXT) | instid1(VALU_DEP_1)
	v_and_b32_e32 v40, 0xffffffe0, v10
	v_dual_add_nc_u32 v11, v47, v11 :: v_dual_sub_nc_u32 v63, v9, v40
	s_delay_alu instid0(VALU_DEP_1) | instskip(SKIP_2) | instid1(VALU_DEP_3)
	v_and_b32_e32 v72, 0xfffffe00, v11
	v_dual_ashrrev_i32 v9, 5, v10 :: v_dual_sub_nc_u32 v40, v62, v8
	v_ashrrev_i32_e32 v11, 9, v11
	v_dual_lshlrev_b32 v10, 4, v63 :: v_dual_sub_nc_u32 v62, v47, v72
	s_delay_alu instid0(VALU_DEP_1) | instskip(NEXT) | instid1(VALU_DEP_4)
	v_lshl_add_u32 v8, v9, 9, v10
	v_cndmask_b32_e64 v10, 0, v40, s13
	s_delay_alu instid0(VALU_DEP_3) | instskip(NEXT) | instid1(VALU_DEP_1)
	v_cmp_lt_i32_e64 s13, 15, v62
	v_add_co_ci_u32_e64 v11, null, 0, v11, s13
	s_delay_alu instid0(VALU_DEP_1) | instskip(NEXT) | instid1(VALU_DEP_4)
	v_sub_nc_u32_e32 v73, v11, v9
	v_dual_sub_nc_u32 v74, v47, v8 :: v_dual_add_nc_u32 v103, v10, v103
	s_delay_alu instid0(VALU_DEP_1)
	v_cmpx_lt_i32_e32 15, v74
	s_cbranch_execz .LBB2_1461
; %bb.1456:                             ;   in Loop: Header=BB2_1372 Depth=3
	s_delay_alu instid0(VALU_DEP_2) | instskip(SKIP_1) | instid1(VALU_DEP_1)
	v_add_nc_u32_e32 v8, v8, v103
	s_mov_b32 s73, 0
	v_ashrrev_i32_e32 v9, 31, v8
	s_delay_alu instid0(VALU_DEP_1)
	v_add_nc_u64_e32 v[40:41], v[8:9], v[114:115]
	v_add_nc_u64_e32 v[42:43], v[8:9], v[116:117]
	;; [unrolled: 1-line block ×3, first 2 shown]
.LBB2_1457:                             ;   Parent Loop BB2_47 Depth=1
                                        ;     Parent Loop BB2_1369 Depth=2
                                        ;       Parent Loop BB2_1372 Depth=3
                                        ; =>      This Loop Header: Depth=4
                                        ;           Child Loop BB2_1458 Depth 5
	global_load_b128 v[8:11], v[40:41], off th:TH_LOAD_NT
	s_mov_b64 s[40:41], 0
	s_mov_b32 s74, -1
.LBB2_1458:                             ;   Parent Loop BB2_47 Depth=1
                                        ;     Parent Loop BB2_1369 Depth=2
                                        ;       Parent Loop BB2_1372 Depth=3
                                        ;         Parent Loop BB2_1457 Depth=4
                                        ; =>        This Inner Loop Header: Depth=5
	s_cmp_eq_u32 s40, 1
	s_cselect_b32 vcc_lo, -1, 0
	s_cmp_eq_u32 s40, 0
	s_wait_xcnt 0x0
	v_dual_cndmask_b32 v77, v43, v45 :: v_dual_cndmask_b32 v76, v42, v44
	s_cselect_b32 s14, -1, 0
	s_and_b32 s15, exec_lo, s74
	s_mov_b64 s[40:41], 1
	s_mov_b32 s74, 0
	v_add_nc_u64_e32 v[78:79], 0x200, v[76:77]
	s_wait_loadcnt 0x0
	global_store_b128 v[76:77], v[8:11], off th:TH_STORE_NT
	v_dual_cndmask_b32 v45, v45, v79 :: v_dual_cndmask_b32 v44, v44, v78
	v_dual_cndmask_b32 v43, v43, v79, s14 :: v_dual_cndmask_b32 v42, v42, v78, s14
	s_mov_b32 vcc_lo, s15
	s_cbranch_vccnz .LBB2_1458
; %bb.1459:                             ;   in Loop: Header=BB2_1457 Depth=4
	v_sub_nc_u32_e32 v74, v74, v52
	s_delay_alu instid0(VALU_DEP_2)
	v_add_nc_u64_e32 v[42:43], v[42:43], v[68:69]
	v_add_nc_u64_e32 v[44:45], v[44:45], v[68:69]
	s_wait_xcnt 0x1
	v_add_nc_u64_e32 v[40:41], v[80:81], v[40:41]
	v_sub_nc_u32_e32 v73, v73, v32
	v_cmp_gt_i32_e32 vcc_lo, 16, v74
	s_or_b32 s73, vcc_lo, s73
	s_wait_xcnt 0x0
	s_and_not1_b32 exec_lo, exec_lo, s73
	s_cbranch_execnz .LBB2_1457
; %bb.1460:                             ;   in Loop: Header=BB2_1372 Depth=3
	s_or_b32 exec_lo, exec_lo, s73
.LBB2_1461:                             ;   in Loop: Header=BB2_1372 Depth=3
	s_delay_alu instid0(SALU_CYCLE_1) | instskip(SKIP_2) | instid1(VALU_DEP_1)
	s_or_b32 exec_lo, exec_lo, s72
	v_cmp_lt_i32_e32 vcc_lo, 0, v73
	v_dual_cndmask_b32 v10, 0, v32, vcc_lo :: v_dual_bitop2_b32 v8, 14, v47 bitop3:0x40
	v_dual_sub_nc_u32 v9, v62, v8 :: v_dual_cndmask_b32 v43, v62, v8, s13
	s_delay_alu instid0(VALU_DEP_1) | instskip(NEXT) | instid1(VALU_DEP_3)
	v_cndmask_b32_e64 v8, 0, v9, s13
	v_sub_nc_u32_e32 v9, v10, v73
	s_delay_alu instid0(VALU_DEP_3) | instskip(NEXT) | instid1(VALU_DEP_3)
	v_cmp_ne_u32_e32 vcc_lo, 0, v43
	v_add3_u32 v42, v72, v103, v8
	s_delay_alu instid0(VALU_DEP_3)
	v_lshl_add_u32 v44, v9, 5, v63
	s_and_b32 s14, vcc_lo, exec_lo
.LBB2_1462:                             ;   in Loop: Header=BB2_1372 Depth=3
	s_or_b32 exec_lo, exec_lo, s63
	s_and_saveexec_b32 s15, s14
	s_cbranch_execz .LBB2_1473
.LBB2_1463:                             ;   in Loop: Header=BB2_1372 Depth=3
	v_dual_ashrrev_i32 v8, 31, v44 :: v_dual_ashrrev_i32 v9, 31, v43
	s_mov_b32 s13, exec_lo
	s_delay_alu instid0(VALU_DEP_1) | instskip(NEXT) | instid1(VALU_DEP_1)
	v_dual_lshrrev_b32 v8, 27, v8 :: v_dual_lshrrev_b32 v9, 24, v9
	v_dual_add_nc_u32 v8, v44, v8 :: v_dual_add_nc_u32 v9, v43, v9
	s_delay_alu instid0(VALU_DEP_1) | instskip(NEXT) | instid1(VALU_DEP_1)
	v_dual_ashrrev_i32 v103, 5, v8 :: v_dual_ashrrev_i32 v47, 8, v9
	v_sub_nc_u32_e32 v45, v47, v103
	s_delay_alu instid0(VALU_DEP_1)
	v_cmpx_lt_i32_e32 0, v45
	s_cbranch_execz .LBB2_1467
; %bb.1464:                             ;   in Loop: Header=BB2_1372 Depth=3
	v_and_b32_e32 v8, 0x7fffffe0, v8
	s_mov_b32 s14, 0
	s_delay_alu instid0(VALU_DEP_1) | instskip(NEXT) | instid1(VALU_DEP_1)
	v_dual_lshlrev_b32 v9, 8, v103 :: v_dual_sub_nc_u32 v8, v44, v8
	v_lshlrev_b32_e32 v8, 1, v8
	s_delay_alu instid0(VALU_DEP_1) | instskip(NEXT) | instid1(VALU_DEP_1)
	v_add3_u32 v40, v8, v42, v9
	v_ashrrev_i32_e32 v41, 31, v40
	s_delay_alu instid0(VALU_DEP_1)
	v_add_nc_u64_e32 v[8:9], v[40:41], v[114:115]
	v_add_nc_u64_e32 v[10:11], v[40:41], v[116:117]
	;; [unrolled: 1-line block ×3, first 2 shown]
.LBB2_1465:                             ;   Parent Loop BB2_47 Depth=1
                                        ;     Parent Loop BB2_1369 Depth=2
                                        ;       Parent Loop BB2_1372 Depth=3
                                        ; =>      This Inner Loop Header: Depth=4
	s_clause 0x3
	flat_load_u16 v62, v[8:9] th:TH_LOAD_NT
	flat_load_u16 v63, v[8:9] offset:64 th:TH_LOAD_NT
	flat_load_u16 v72, v[8:9] offset:128 th:TH_LOAD_NT
	;; [unrolled: 1-line block ×3, first 2 shown]
	v_sub_nc_u32_e32 v45, v45, v32
	s_wait_xcnt 0x0
	v_add_nc_u64_e32 v[8:9], v[8:9], v[54:55]
	s_wait_loadcnt_dscnt 0x303
	flat_store_b16 v[10:11], v62 th:TH_STORE_NT
	s_wait_loadcnt_dscnt 0x203
	flat_store_b16 v[10:11], v63 offset:64 th:TH_STORE_NT
	s_wait_loadcnt_dscnt 0x103
	flat_store_b16 v[10:11], v72 offset:128 th:TH_STORE_NT
	;; [unrolled: 2-line block ×3, first 2 shown]
	s_clause 0x3
	flat_store_b16 v[40:41], v62 th:TH_STORE_NT
	flat_store_b16 v[40:41], v63 offset:64 th:TH_STORE_NT
	flat_store_b16 v[40:41], v72 offset:128 th:TH_STORE_NT
	;; [unrolled: 1-line block ×3, first 2 shown]
	v_cmp_gt_i32_e32 vcc_lo, 1, v45
	s_wait_xcnt 0x4
	v_add_nc_u64_e32 v[10:11], v[10:11], v[54:55]
	s_wait_xcnt 0x0
	v_add_nc_u64_e32 v[40:41], v[40:41], v[54:55]
	s_or_b32 s14, vcc_lo, s14
	s_delay_alu instid0(SALU_CYCLE_1)
	s_and_not1_b32 exec_lo, exec_lo, s14
	s_cbranch_execnz .LBB2_1465
; %bb.1466:                             ;   in Loop: Header=BB2_1372 Depth=3
	s_or_b32 exec_lo, exec_lo, s14
.LBB2_1467:                             ;   in Loop: Header=BB2_1372 Depth=3
	s_delay_alu instid0(SALU_CYCLE_1) | instskip(SKIP_1) | instid1(VALU_DEP_1)
	s_or_b32 exec_lo, exec_lo, s13
	v_lshlrev_b32_e32 v8, 8, v47
	v_cmp_ne_u32_e32 vcc_lo, v43, v8
	s_and_b32 exec_lo, exec_lo, vcc_lo
	s_cbranch_execz .LBB2_1473
; %bb.1468:                             ;   in Loop: Header=BB2_1372 Depth=3
	v_dual_lshlrev_b32 v9, 5, v103 :: v_dual_lshlrev_b32 v10, 5, v45
	s_delay_alu instid0(VALU_DEP_1) | instskip(NEXT) | instid1(VALU_DEP_1)
	v_sub_nc_u32_e32 v9, v44, v9
	v_sub_nc_u32_e32 v9, v9, v10
	s_delay_alu instid0(VALU_DEP_1) | instskip(NEXT) | instid1(VALU_DEP_1)
	v_ashrrev_i32_e32 v10, 31, v9
	v_lshrrev_b32_e32 v10, 27, v10
	s_delay_alu instid0(VALU_DEP_1) | instskip(NEXT) | instid1(VALU_DEP_1)
	v_add_nc_u32_e32 v10, v9, v10
	v_and_b32_e32 v11, 0x7fffffe0, v10
	s_delay_alu instid0(VALU_DEP_1) | instskip(NEXT) | instid1(VALU_DEP_1)
	v_dual_lshlrev_b32 v10, 1, v10 :: v_dual_sub_nc_u32 v9, v9, v11
	v_and_b32_e32 v10, 0xffffffc0, v10
	s_delay_alu instid0(VALU_DEP_2) | instskip(NEXT) | instid1(VALU_DEP_1)
	v_lshlrev_b32_e32 v9, 1, v9
	v_add3_u32 v8, v10, v9, v8
	s_delay_alu instid0(VALU_DEP_1) | instskip(NEXT) | instid1(VALU_DEP_1)
	v_sub_nc_u32_e32 v103, v43, v8
	v_cmp_lt_i32_e32 vcc_lo, 1, v103
	s_and_b32 exec_lo, exec_lo, vcc_lo
	s_cbranch_execz .LBB2_1473
; %bb.1469:                             ;   in Loop: Header=BB2_1372 Depth=3
	v_add_nc_u32_e32 v40, v8, v42
	s_mov_b32 s63, 0
	s_delay_alu instid0(VALU_DEP_1) | instskip(NEXT) | instid1(VALU_DEP_1)
	v_ashrrev_i32_e32 v41, 31, v40
	v_add_nc_u64_e32 v[8:9], v[40:41], v[114:115]
	v_add_nc_u64_e32 v[10:11], v[40:41], v[116:117]
	;; [unrolled: 1-line block ×3, first 2 shown]
.LBB2_1470:                             ;   Parent Loop BB2_47 Depth=1
                                        ;     Parent Loop BB2_1369 Depth=2
                                        ;       Parent Loop BB2_1372 Depth=3
                                        ; =>      This Loop Header: Depth=4
                                        ;           Child Loop BB2_1471 Depth 5
	flat_load_u16 v40, v[8:9] th:TH_LOAD_NT
	s_mov_b64 s[40:41], 0
	s_mov_b32 s72, -1
.LBB2_1471:                             ;   Parent Loop BB2_47 Depth=1
                                        ;     Parent Loop BB2_1369 Depth=2
                                        ;       Parent Loop BB2_1372 Depth=3
                                        ;         Parent Loop BB2_1470 Depth=4
                                        ; =>        This Inner Loop Header: Depth=5
	s_cmp_eq_u32 s40, 1
	s_cselect_b32 vcc_lo, -1, 0
	s_cmp_eq_u32 s40, 0
	s_wait_xcnt 0x0
	v_dual_cndmask_b32 v43, v11, v119 :: v_dual_cndmask_b32 v42, v10, v118
	s_cselect_b32 s13, -1, 0
	s_and_b32 s14, exec_lo, s72
	s_mov_b64 s[40:41], 1
	s_mov_b32 s72, 0
	v_add_nc_u64_e32 v[44:45], 64, v[42:43]
	s_wait_loadcnt_dscnt 0x0
	flat_store_b16 v[42:43], v40 th:TH_STORE_NT
	v_dual_cndmask_b32 v119, v119, v45 :: v_dual_cndmask_b32 v118, v118, v44
	v_dual_cndmask_b32 v11, v11, v45, s13 :: v_dual_cndmask_b32 v10, v10, v44, s13
	s_mov_b32 vcc_lo, s14
	s_cbranch_vccnz .LBB2_1471
; %bb.1472:                             ;   in Loop: Header=BB2_1470 Depth=4
	v_sub_nc_u32_e32 v103, v103, v64
	s_delay_alu instid0(VALU_DEP_2)
	v_add_nc_u64_e32 v[10:11], v[10:11], v[70:71]
	v_add_nc_u64_e32 v[118:119], v[118:119], v[70:71]
	s_wait_xcnt 0x1
	v_add_nc_u64_e32 v[8:9], v[82:83], v[8:9]
	v_cmp_gt_i32_e32 vcc_lo, 2, v103
	s_or_b32 s63, vcc_lo, s63
	s_wait_xcnt 0x0
	s_and_not1_b32 exec_lo, exec_lo, s63
	s_cbranch_execnz .LBB2_1470
.LBB2_1473:                             ;   in Loop: Header=BB2_1372 Depth=3
	s_or_b32 exec_lo, exec_lo, s15
	s_mov_b32 s13, 0
.LBB2_1474:                             ;   in Loop: Header=BB2_1372 Depth=3
	s_delay_alu instid0(SALU_CYCLE_1)
	s_and_b32 vcc_lo, exec_lo, s13
	s_cbranch_vccz .LBB2_1501
; %bb.1475:                             ;   in Loop: Header=BB2_1372 Depth=3
	s_mov_b32 s13, -1
	s_and_saveexec_b32 s14, s10
	s_cbranch_execz .LBB2_1477
; %bb.1476:                             ;   in Loop: Header=BB2_1372 Depth=3
	ds_load_b32 v8, v0 offset:720
	s_wait_dscnt 0x0
	v_and_b32_e32 v8, 15, v8
	s_delay_alu instid0(VALU_DEP_1)
	v_cmp_eq_u32_e32 vcc_lo, 0, v8
	s_or_not1_b32 s13, vcc_lo, exec_lo
.LBB2_1477:                             ;   in Loop: Header=BB2_1372 Depth=3
	s_or_b32 exec_lo, exec_lo, s14
	s_and_saveexec_b32 s14, s7
	s_cbranch_execz .LBB2_1479
; %bb.1478:                             ;   in Loop: Header=BB2_1372 Depth=3
	ds_load_b32 v8, v0 offset:784
	s_wait_dscnt 0x0
	v_and_b32_e32 v8, 15, v8
	s_delay_alu instid0(VALU_DEP_1) | instskip(SKIP_3) | instid1(SALU_CYCLE_1)
	v_cmp_eq_u32_e32 vcc_lo, 0, v8
	s_and_b32 s15, s13, vcc_lo
	s_and_not1_b32 s13, s13, exec_lo
	s_and_b32 s15, s15, exec_lo
	s_or_b32 s13, s13, s15
.LBB2_1479:                             ;   in Loop: Header=BB2_1372 Depth=3
	s_or_b32 exec_lo, exec_lo, s14
	s_xor_b32 s13, s13, -1
	v_mov_b32_e32 v103, 0
	v_cndmask_b32_e64 v8, 0, 1, s13
	s_mov_b32 s15, -1
	s_delay_alu instid0(VALU_DEP_1)
	v_cmp_ne_u32_e32 vcc_lo, 0, v8
	s_cbranch_vccz .LBB2_1481
; %bb.1480:                             ;   in Loop: Header=BB2_1372 Depth=3
	v_mov_b32_e32 v40, v0
	s_and_saveexec_b32 s13, s15
	s_cbranch_execnz .LBB2_1492
	s_branch .LBB2_1500
.LBB2_1481:                             ;   in Loop: Header=BB2_1372 Depth=3
	v_ashrrev_i32_e32 v8, 31, v101
	s_mov_b32 s13, exec_lo
	s_delay_alu instid0(VALU_DEP_1) | instskip(NEXT) | instid1(VALU_DEP_1)
	v_lshrrev_b32_e32 v8, 22, v8
	v_add_nc_u32_e32 v8, v101, v8
	s_delay_alu instid0(VALU_DEP_1) | instskip(NEXT) | instid1(VALU_DEP_1)
	v_ashrrev_i32_e32 v10, 10, v8
	v_sub_nc_u32_e32 v11, v10, v58
	s_delay_alu instid0(VALU_DEP_1)
	v_cmpx_lt_i32_e32 0, v11
	s_cbranch_execz .LBB2_1485
; %bb.1482:                             ;   in Loop: Header=BB2_1372 Depth=3
	v_mov_b64_e32 v[8:9], v[66:67]
	s_mov_b32 s14, 0
.LBB2_1483:                             ;   Parent Loop BB2_47 Depth=1
                                        ;     Parent Loop BB2_1369 Depth=2
                                        ;       Parent Loop BB2_1372 Depth=3
                                        ; =>      This Inner Loop Header: Depth=4
	s_delay_alu instid0(VALU_DEP_1)
	v_add_nc_u64_e32 v[118:119], v[114:115], v[8:9]
	v_sub_nc_u32_e32 v11, v11, v32
	s_clause 0x1
	global_load_b128 v[40:43], v[118:119], off th:TH_LOAD_NT
	global_load_b128 v[72:75], v[118:119], off offset:512 th:TH_LOAD_NT
	s_wait_xcnt 0x0
	v_add_nc_u64_e32 v[118:119], v[116:117], v[8:9]
	v_cmp_gt_i32_e32 vcc_lo, 1, v11
	v_add_nc_u64_e32 v[8:9], v[8:9], v[50:51]
	s_wait_loadcnt 0x1
	global_store_b128 v[118:119], v[40:43], off th:TH_STORE_NT
	s_wait_loadcnt 0x0
	global_store_b128 v[118:119], v[72:75], off offset:512 th:TH_STORE_NT
	s_or_b32 s14, vcc_lo, s14
	s_wait_xcnt 0x0
	s_and_not1_b32 exec_lo, exec_lo, s14
	s_cbranch_execnz .LBB2_1483
; %bb.1484:                             ;   in Loop: Header=BB2_1372 Depth=3
	s_or_b32 exec_lo, exec_lo, s14
.LBB2_1485:                             ;   in Loop: Header=BB2_1372 Depth=3
	s_delay_alu instid0(SALU_CYCLE_1) | instskip(SKIP_3) | instid1(VALU_DEP_1)
	s_or_b32 exec_lo, exec_lo, s13
	v_dual_mov_b32 v103, 0 :: v_dual_lshlrev_b32 v10, 10, v10
	s_mov_b32 s15, 0
	s_mov_b32 s14, exec_lo
                                        ; implicit-def: $vgpr40
	v_cmpx_ne_u32_e64 v101, v10
	s_cbranch_execz .LBB2_1491
; %bb.1486:                             ;   in Loop: Header=BB2_1372 Depth=3
	v_dual_lshlrev_b32 v8, 5, v11 :: v_dual_sub_nc_u32 v119, v101, v10
	s_mov_b32 s15, exec_lo
	s_delay_alu instid0(VALU_DEP_1) | instskip(NEXT) | instid1(VALU_DEP_1)
	v_dual_sub_nc_u32 v8, v57, v8 :: v_dual_ashrrev_i32 v11, 31, v119
	v_dual_ashrrev_i32 v9, 31, v8 :: v_dual_lshrrev_b32 v11, 23, v11
	s_delay_alu instid0(VALU_DEP_1) | instskip(NEXT) | instid1(VALU_DEP_1)
	v_lshrrev_b32_e32 v9, 27, v9
	v_dual_add_nc_u32 v9, v8, v9 :: v_dual_add_nc_u32 v40, v119, v11
	s_delay_alu instid0(VALU_DEP_1) | instskip(NEXT) | instid1(VALU_DEP_1)
	v_and_b32_e32 v103, 0xffffffe0, v9
	v_dual_ashrrev_i32 v9, 5, v9 :: v_dual_sub_nc_u32 v11, v8, v103
	s_delay_alu instid0(VALU_DEP_3) | instskip(NEXT) | instid1(VALU_DEP_1)
	v_and_b32_e32 v103, 0xfffffe00, v40
	v_dual_ashrrev_i32 v40, 9, v40 :: v_dual_sub_nc_u32 v118, v119, v103
	s_delay_alu instid0(VALU_DEP_3) | instskip(NEXT) | instid1(VALU_DEP_2)
	v_lshlrev_b32_e32 v8, 4, v11
	v_cmp_lt_i32_e32 vcc_lo, 15, v118
	s_delay_alu instid0(VALU_DEP_2) | instskip(NEXT) | instid1(VALU_DEP_4)
	v_lshl_add_u32 v8, v9, 9, v8
	v_add_co_ci_u32_e64 v41, null, 0, v40, vcc_lo
	s_delay_alu instid0(VALU_DEP_1) | instskip(NEXT) | instid1(VALU_DEP_1)
	v_dual_sub_nc_u32 v40, v119, v8 :: v_dual_sub_nc_u32 v119, v41, v9
	v_cmpx_lt_i32_e32 15, v40
	s_cbranch_execz .LBB2_1490
; %bb.1487:                             ;   in Loop: Header=BB2_1372 Depth=3
	v_add_nc_u32_e32 v8, v8, v10
	s_mov_b32 s40, 0
	s_delay_alu instid0(VALU_DEP_1)
	v_ashrrev_i32_e32 v9, 31, v8
.LBB2_1488:                             ;   Parent Loop BB2_47 Depth=1
                                        ;     Parent Loop BB2_1369 Depth=2
                                        ;       Parent Loop BB2_1372 Depth=3
                                        ; =>      This Inner Loop Header: Depth=4
	s_delay_alu instid0(VALU_DEP_1) | instskip(SKIP_4) | instid1(VALU_DEP_4)
	v_add_nc_u64_e32 v[42:43], v[114:115], v[8:9]
	v_sub_nc_u32_e32 v40, v40, v52
	v_add_nc_u64_e32 v[62:63], v[116:117], v[8:9]
	v_add_nc_u64_e32 v[8:9], v[8:9], v[52:53]
	v_sub_nc_u32_e32 v119, v119, v32
	v_cmp_gt_i32_e64 s13, 16, v40
	global_load_b128 v[42:45], v[42:43], off th:TH_LOAD_NT
	s_or_b32 s40, s13, s40
	s_wait_loadcnt 0x0
	global_store_b128 v[62:63], v[42:45], off th:TH_STORE_NT
	s_wait_xcnt 0x0
	s_and_not1_b32 exec_lo, exec_lo, s40
	s_cbranch_execnz .LBB2_1488
; %bb.1489:                             ;   in Loop: Header=BB2_1372 Depth=3
	s_or_b32 exec_lo, exec_lo, s40
.LBB2_1490:                             ;   in Loop: Header=BB2_1372 Depth=3
	s_delay_alu instid0(SALU_CYCLE_1) | instskip(NEXT) | instid1(VALU_DEP_2)
	s_or_b32 exec_lo, exec_lo, s15
	v_cmp_lt_i32_e64 s13, 0, v119
	s_delay_alu instid0(VALU_DEP_1) | instskip(NEXT) | instid1(VALU_DEP_1)
	v_dual_cndmask_b32 v40, 0, v32, s13 :: v_dual_bitop2_b32 v8, 14, v101 bitop3:0x40
	v_dual_sub_nc_u32 v9, v118, v8 :: v_dual_cndmask_b32 v101, v118, v8, vcc_lo
	s_delay_alu instid0(VALU_DEP_1) | instskip(NEXT) | instid1(VALU_DEP_2)
	v_dual_cndmask_b32 v8, 0, v9 :: v_dual_sub_nc_u32 v9, v40, v119
	v_cmp_ne_u32_e32 vcc_lo, 0, v101
	s_delay_alu instid0(VALU_DEP_2) | instskip(NEXT) | instid1(VALU_DEP_3)
	v_add3_u32 v103, v103, v10, v8
	v_lshl_add_u32 v40, v9, 5, v11
	s_and_b32 s15, vcc_lo, exec_lo
.LBB2_1491:                             ;   in Loop: Header=BB2_1372 Depth=3
	s_or_b32 exec_lo, exec_lo, s14
	s_and_saveexec_b32 s13, s15
	s_cbranch_execz .LBB2_1500
.LBB2_1492:                             ;   in Loop: Header=BB2_1372 Depth=3
	s_delay_alu instid0(VALU_DEP_1) | instskip(SKIP_1) | instid1(VALU_DEP_1)
	v_dual_ashrrev_i32 v8, 31, v40 :: v_dual_ashrrev_i32 v9, 31, v101
	s_mov_b32 s14, exec_lo
	v_dual_lshrrev_b32 v8, 27, v8 :: v_dual_lshrrev_b32 v9, 24, v9
	s_delay_alu instid0(VALU_DEP_1) | instskip(NEXT) | instid1(VALU_DEP_1)
	v_dual_add_nc_u32 v8, v40, v8 :: v_dual_add_nc_u32 v9, v101, v9
	v_dual_ashrrev_i32 v41, 5, v8 :: v_dual_ashrrev_i32 v43, 8, v9
	s_delay_alu instid0(VALU_DEP_1) | instskip(NEXT) | instid1(VALU_DEP_1)
	v_sub_nc_u32_e32 v42, v43, v41
	v_cmpx_lt_i32_e32 0, v42
	s_cbranch_execz .LBB2_1496
; %bb.1493:                             ;   in Loop: Header=BB2_1372 Depth=3
	v_and_b32_e32 v8, 0x7fffffe0, v8
	v_mov_b64_e32 v[10:11], v[116:117]
	v_mov_b64_e32 v[118:119], v[114:115]
	s_mov_b32 s15, 0
	s_delay_alu instid0(VALU_DEP_3) | instskip(NEXT) | instid1(VALU_DEP_1)
	v_dual_lshlrev_b32 v9, 8, v41 :: v_dual_sub_nc_u32 v8, v40, v8
	v_lshlrev_b32_e32 v8, 1, v8
	s_delay_alu instid0(VALU_DEP_1) | instskip(NEXT) | instid1(VALU_DEP_1)
	v_add3_u32 v8, v8, v103, v9
	v_ashrrev_i32_e32 v9, 31, v8
.LBB2_1494:                             ;   Parent Loop BB2_47 Depth=1
                                        ;     Parent Loop BB2_1369 Depth=2
                                        ;       Parent Loop BB2_1372 Depth=3
                                        ; =>      This Inner Loop Header: Depth=4
	s_delay_alu instid0(VALU_DEP_1)
	v_add_nc_u64_e32 v[44:45], v[8:9], v[118:119]
	v_sub_nc_u32_e32 v42, v42, v32
	v_add_nc_u64_e32 v[118:119], v[118:119], v[54:55]
	s_clause 0x3
	flat_load_u16 v47, v[44:45] th:TH_LOAD_NT
	flat_load_u16 v62, v[44:45] offset:64 th:TH_LOAD_NT
	flat_load_u16 v63, v[44:45] offset:128 th:TH_LOAD_NT
	;; [unrolled: 1-line block ×3, first 2 shown]
	s_wait_xcnt 0x0
	v_add_nc_u64_e32 v[44:45], v[8:9], v[10:11]
	v_cmp_gt_i32_e32 vcc_lo, 1, v42
	v_add_nc_u64_e32 v[10:11], v[10:11], v[54:55]
	s_wait_loadcnt_dscnt 0x303
	flat_store_b16 v[44:45], v47 th:TH_STORE_NT
	s_wait_loadcnt_dscnt 0x203
	flat_store_b16 v[44:45], v62 offset:64 th:TH_STORE_NT
	s_wait_loadcnt_dscnt 0x103
	flat_store_b16 v[44:45], v63 offset:128 th:TH_STORE_NT
	;; [unrolled: 2-line block ×3, first 2 shown]
	s_or_b32 s15, vcc_lo, s15
	s_wait_xcnt 0x0
	s_and_not1_b32 exec_lo, exec_lo, s15
	s_cbranch_execnz .LBB2_1494
; %bb.1495:                             ;   in Loop: Header=BB2_1372 Depth=3
	s_or_b32 exec_lo, exec_lo, s15
.LBB2_1496:                             ;   in Loop: Header=BB2_1372 Depth=3
	s_delay_alu instid0(SALU_CYCLE_1) | instskip(SKIP_1) | instid1(VALU_DEP_1)
	s_or_b32 exec_lo, exec_lo, s14
	v_lshlrev_b32_e32 v8, 8, v43
	v_cmp_ne_u32_e32 vcc_lo, v101, v8
	s_and_b32 exec_lo, exec_lo, vcc_lo
	s_cbranch_execz .LBB2_1500
; %bb.1497:                             ;   in Loop: Header=BB2_1372 Depth=3
	v_dual_lshlrev_b32 v9, 5, v41 :: v_dual_lshlrev_b32 v10, 5, v42
	s_delay_alu instid0(VALU_DEP_1) | instskip(NEXT) | instid1(VALU_DEP_1)
	v_sub_nc_u32_e32 v9, v40, v9
	v_sub_nc_u32_e32 v9, v9, v10
	s_delay_alu instid0(VALU_DEP_1) | instskip(NEXT) | instid1(VALU_DEP_1)
	v_ashrrev_i32_e32 v10, 31, v9
	v_lshrrev_b32_e32 v10, 27, v10
	s_delay_alu instid0(VALU_DEP_1) | instskip(NEXT) | instid1(VALU_DEP_1)
	v_add_nc_u32_e32 v10, v9, v10
	v_and_b32_e32 v11, 0x7fffffe0, v10
	s_delay_alu instid0(VALU_DEP_1) | instskip(NEXT) | instid1(VALU_DEP_1)
	v_dual_lshlrev_b32 v10, 1, v10 :: v_dual_sub_nc_u32 v9, v9, v11
	v_and_b32_e32 v10, 0xffffffc0, v10
	s_delay_alu instid0(VALU_DEP_2) | instskip(NEXT) | instid1(VALU_DEP_1)
	v_lshlrev_b32_e32 v9, 1, v9
	v_add3_u32 v8, v10, v9, v8
	s_delay_alu instid0(VALU_DEP_1) | instskip(NEXT) | instid1(VALU_DEP_1)
	v_sub_nc_u32_e32 v10, v101, v8
	v_cmp_lt_i32_e32 vcc_lo, 1, v10
	s_and_b32 exec_lo, exec_lo, vcc_lo
	s_cbranch_execz .LBB2_1500
; %bb.1498:                             ;   in Loop: Header=BB2_1372 Depth=3
	v_add_nc_u32_e32 v8, v8, v103
	s_mov_b32 s14, 0
	s_delay_alu instid0(VALU_DEP_1)
	v_ashrrev_i32_e32 v9, 31, v8
.LBB2_1499:                             ;   Parent Loop BB2_47 Depth=1
                                        ;     Parent Loop BB2_1369 Depth=2
                                        ;       Parent Loop BB2_1372 Depth=3
                                        ; =>      This Inner Loop Header: Depth=4
	s_delay_alu instid0(VALU_DEP_1) | instskip(SKIP_1) | instid1(VALU_DEP_1)
	v_add_nc_u64_e32 v[118:119], v[114:115], v[8:9]
	v_sub_nc_u32_e32 v10, v10, v64
	v_cmp_gt_i32_e32 vcc_lo, 2, v10
	flat_load_u16 v11, v[118:119] th:TH_LOAD_NT
	s_wait_xcnt 0x0
	v_add_nc_u64_e32 v[118:119], v[116:117], v[8:9]
	v_add_nc_u64_e32 v[8:9], v[8:9], v[64:65]
	s_or_b32 s14, vcc_lo, s14
	s_wait_loadcnt_dscnt 0x0
	flat_store_b16 v[118:119], v11 th:TH_STORE_NT
	s_wait_xcnt 0x0
	s_and_not1_b32 exec_lo, exec_lo, s14
	s_cbranch_execnz .LBB2_1499
.LBB2_1500:                             ;   in Loop: Header=BB2_1372 Depth=3
	s_or_b32 exec_lo, exec_lo, s13
.LBB2_1501:                             ;   in Loop: Header=BB2_1372 Depth=3
	v_cmp_lt_i32_e64 s13, 0, v2
	s_and_saveexec_b32 s14, s2
	s_cbranch_execz .LBB2_1520
.LBB2_1502:                             ;   in Loop: Header=BB2_1372 Depth=3
	s_and_saveexec_b32 s15, s3
	s_delay_alu instid0(SALU_CYCLE_1)
	s_xor_b32 s15, exec_lo, s15
	s_cbranch_execz .LBB2_1517
; %bb.1503:                             ;   in Loop: Header=BB2_1372 Depth=3
	s_and_saveexec_b32 s40, s6
	s_cbranch_execz .LBB2_1516
; %bb.1504:                             ;   in Loop: Header=BB2_1372 Depth=3
	s_mov_b32 s63, exec_lo
	s_mov_b32 s41, exec_lo
	v_mbcnt_lo_u32_b32 v2, s63, 0
	global_wb scope:SCOPE_DEV
	s_wait_storecnt 0x0
	s_wait_loadcnt_dscnt 0x0
	global_inv scope:SCOPE_DEV
	v_cmpx_eq_u32_e32 0, v2
	s_cbranch_execz .LBB2_1506
; %bb.1505:                             ;   in Loop: Header=BB2_1372 Depth=3
	s_bcnt1_i32_b32 s63, s63
	s_delay_alu instid0(SALU_CYCLE_1)
	v_mov_b32_e32 v2, s63
	s_wait_loadcnt 0x0
	ds_add_u64 v0, v[2:3]
	s_trap 2
.LBB2_1506:                             ;   in Loop: Header=BB2_1372 Depth=3
	s_or_b32 exec_lo, exec_lo, s41
	s_trap 2
	ds_load_b64 v[8:9], v0
	s_wait_dscnt 0x0
	v_add_nc_u64_e32 v[12:13], v[12:13], v[32:33]
	s_mov_b32 s41, exec_lo
	s_delay_alu instid0(VALU_DEP_1)
	v_cmpx_lt_u64_e64 v[8:9], v[12:13]
	s_cbranch_execz .LBB2_1515
; %bb.1507:                             ;   in Loop: Header=BB2_1372 Depth=3
	s_mov_b32 s63, 0
	s_mov_b32 s74, 0
                                        ; implicit-def: $sgpr72
                                        ; implicit-def: $sgpr73
	s_branch .LBB2_1509
.LBB2_1508:                             ;   in Loop: Header=BB2_1509 Depth=4
	s_or_b32 exec_lo, exec_lo, s76
	s_delay_alu instid0(SALU_CYCLE_1) | instskip(NEXT) | instid1(SALU_CYCLE_1)
	s_and_b32 s75, exec_lo, s77
	s_or_b32 s63, s75, s63
	s_and_not1_b32 s72, s72, exec_lo
	s_and_b32 s75, s73, exec_lo
	s_delay_alu instid0(SALU_CYCLE_1)
	s_or_b32 s72, s72, s75
	s_and_not1_b32 exec_lo, exec_lo, s63
	s_cbranch_execz .LBB2_1513
.LBB2_1509:                             ;   Parent Loop BB2_47 Depth=1
                                        ;     Parent Loop BB2_1369 Depth=2
                                        ;       Parent Loop BB2_1372 Depth=3
                                        ; =>      This Inner Loop Header: Depth=4
	s_add_co_i32 s74, s74, 1
	s_delay_alu instid0(SALU_CYCLE_1) | instskip(SKIP_1) | instid1(SALU_CYCLE_1)
	s_cmp_lg_u32 s74, 0x2710
	s_cselect_b32 s75, -1, 0
	s_and_b32 vcc_lo, exec_lo, s75
	s_cbranch_vccz .LBB2_1511
; %bb.1510:                             ;   in Loop: Header=BB2_1509 Depth=4
	s_mov_b32 s77, -1
	s_or_b32 s73, s73, exec_lo
	s_and_saveexec_b32 s76, s75
	s_cbranch_execz .LBB2_1508
	s_branch .LBB2_1512
.LBB2_1511:                             ;   in Loop: Header=BB2_1509 Depth=4
	s_trap 2
	ds_load_b64 v[8:9], v0
	s_and_not1_b32 s75, s75, exec_lo
	s_mov_b32 s74, 0
	s_wait_loadcnt_dscnt 0x0
	flat_load_b32 v2, v[8:9] scope:SCOPE_SYS
	s_wait_loadcnt_dscnt 0x0
	global_inv scope:SCOPE_SYS
	v_cmp_eq_u32_e32 vcc_lo, 0, v2
	s_and_b32 s76, vcc_lo, exec_lo
	s_delay_alu instid0(SALU_CYCLE_1)
	s_or_b32 s75, s75, s76
	s_mov_b32 s77, -1
	s_or_b32 s73, s73, exec_lo
	s_and_saveexec_b32 s76, s75
	s_cbranch_execz .LBB2_1508
.LBB2_1512:                             ;   in Loop: Header=BB2_1509 Depth=4
	s_sleep 1
	s_trap 2
	ds_load_b64 v[8:9], v0
	s_wait_dscnt 0x0
	s_and_not1_b32 s73, s73, exec_lo
	v_cmp_ge_u64_e32 vcc_lo, v[8:9], v[12:13]
	s_or_not1_b32 s77, vcc_lo, exec_lo
	s_branch .LBB2_1508
.LBB2_1513:                             ;   in Loop: Header=BB2_1372 Depth=3
	s_or_b32 exec_lo, exec_lo, s63
	s_and_saveexec_b32 s63, s72
	s_delay_alu instid0(SALU_CYCLE_1)
	s_xor_b32 s63, exec_lo, s63
	s_cbranch_execz .LBB2_1515
; %bb.1514:                             ;   in Loop: Header=BB2_1372 Depth=3
	ds_store_b32 v0, v59
	s_trap 2
.LBB2_1515:                             ;   in Loop: Header=BB2_1372 Depth=3
	s_or_b32 exec_lo, exec_lo, s41
	;;#ASMSTART
	s_wakeup
	;;#ASMEND
.LBB2_1516:                             ;   in Loop: Header=BB2_1372 Depth=3
	s_or_b32 exec_lo, exec_lo, s40
.LBB2_1517:                             ;   in Loop: Header=BB2_1372 Depth=3
	s_and_not1_saveexec_b32 s15, s15
	s_cbranch_execz .LBB2_1519
; %bb.1518:                             ;   in Loop: Header=BB2_1372 Depth=3
	global_wb scope:SCOPE_DEV
	s_wait_storecnt 0x0
	s_wait_loadcnt_dscnt 0x0
	global_inv scope:SCOPE_DEV
	s_barrier_signal -1
	s_barrier_wait -1
.LBB2_1519:                             ;   in Loop: Header=BB2_1372 Depth=3
	s_or_b32 exec_lo, exec_lo, s15
.LBB2_1520:                             ;   in Loop: Header=BB2_1372 Depth=3
	s_delay_alu instid0(SALU_CYCLE_1) | instskip(SKIP_2) | instid1(SALU_CYCLE_1)
	s_or_b32 exec_lo, exec_lo, s14
	v_and_b32_e32 v8, 16, v30
	s_and_saveexec_b32 s14, s12
	s_xor_b32 s14, exec_lo, s14
	s_cbranch_execz .LBB2_1524
; %bb.1521:                             ;   in Loop: Header=BB2_1372 Depth=3
	v_and_b32_e32 v2, 16, v30
	v_and_b32_e32 v8, 16, v30
	s_delay_alu instid0(VALU_DEP_2) | instskip(SKIP_1) | instid1(SALU_CYCLE_1)
	v_cmp_ne_u32_e32 vcc_lo, 0, v2
	s_and_b32 s15, vcc_lo, s13
	s_and_saveexec_b32 s13, s15
	s_cbranch_execz .LBB2_1523
; %bb.1522:                             ;   in Loop: Header=BB2_1372 Depth=3
	v_mov_b32_e32 v8, 1
	global_wb scope:SCOPE_SYS
	s_wait_storecnt 0x0
	s_wait_loadcnt_dscnt 0x0
	global_inv scope:SCOPE_SYS
.LBB2_1523:                             ;   in Loop: Header=BB2_1372 Depth=3
	s_or_b32 exec_lo, exec_lo, s13
.LBB2_1524:                             ;   in Loop: Header=BB2_1372 Depth=3
	s_and_not1_saveexec_b32 s13, s14
	s_cbranch_execz .LBB2_1543
; %bb.1525:                             ;   in Loop: Header=BB2_1372 Depth=3
	s_and_saveexec_b32 s14, s3
	s_delay_alu instid0(SALU_CYCLE_1)
	s_xor_b32 s14, exec_lo, s14
	s_cbranch_execz .LBB2_1540
; %bb.1526:                             ;   in Loop: Header=BB2_1372 Depth=3
	s_and_saveexec_b32 s15, s6
	s_cbranch_execz .LBB2_1539
; %bb.1527:                             ;   in Loop: Header=BB2_1372 Depth=3
	s_mov_b32 s41, exec_lo
	s_mov_b32 s40, exec_lo
	v_mbcnt_lo_u32_b32 v2, s41, 0
	;;#ASMSTART
	s_waitcnt lgkmcnt(0) vmcnt(0)
	;;#ASMEND
	s_delay_alu instid0(VALU_DEP_1)
	v_cmpx_eq_u32_e32 0, v2
	s_cbranch_execz .LBB2_1529
; %bb.1528:                             ;   in Loop: Header=BB2_1372 Depth=3
	s_bcnt1_i32_b32 s41, s41
	s_delay_alu instid0(SALU_CYCLE_1)
	v_mov_b32_e32 v2, s41
	s_wait_storecnt 0x0
	s_wait_loadcnt_dscnt 0x0
	ds_add_u64 v0, v[2:3]
	s_trap 2
.LBB2_1529:                             ;   in Loop: Header=BB2_1372 Depth=3
	s_or_b32 exec_lo, exec_lo, s40
	s_trap 2
	ds_load_b64 v[10:11], v0
	s_wait_dscnt 0x0
	v_add_nc_u64_e32 v[12:13], v[12:13], v[32:33]
	s_mov_b32 s40, exec_lo
	s_delay_alu instid0(VALU_DEP_1)
	v_cmpx_lt_u64_e64 v[10:11], v[12:13]
	s_cbranch_execz .LBB2_1538
; %bb.1530:                             ;   in Loop: Header=BB2_1372 Depth=3
	s_mov_b32 s41, 0
	s_mov_b32 s73, 0
                                        ; implicit-def: $sgpr63
                                        ; implicit-def: $sgpr72
	s_branch .LBB2_1532
.LBB2_1531:                             ;   in Loop: Header=BB2_1532 Depth=4
	s_or_b32 exec_lo, exec_lo, s75
	s_delay_alu instid0(SALU_CYCLE_1) | instskip(NEXT) | instid1(SALU_CYCLE_1)
	s_and_b32 s74, exec_lo, s76
	s_or_b32 s41, s74, s41
	s_and_not1_b32 s63, s63, exec_lo
	s_and_b32 s74, s72, exec_lo
	s_delay_alu instid0(SALU_CYCLE_1)
	s_or_b32 s63, s63, s74
	s_and_not1_b32 exec_lo, exec_lo, s41
	s_cbranch_execz .LBB2_1536
.LBB2_1532:                             ;   Parent Loop BB2_47 Depth=1
                                        ;     Parent Loop BB2_1369 Depth=2
                                        ;       Parent Loop BB2_1372 Depth=3
                                        ; =>      This Inner Loop Header: Depth=4
	s_add_co_i32 s73, s73, 1
	s_delay_alu instid0(SALU_CYCLE_1) | instskip(SKIP_1) | instid1(SALU_CYCLE_1)
	s_cmp_lg_u32 s73, 0x2710
	s_cselect_b32 s74, -1, 0
	s_and_b32 vcc_lo, exec_lo, s74
	s_cbranch_vccz .LBB2_1534
; %bb.1533:                             ;   in Loop: Header=BB2_1532 Depth=4
	s_mov_b32 s76, -1
	s_or_b32 s72, s72, exec_lo
	s_and_saveexec_b32 s75, s74
	s_cbranch_execz .LBB2_1531
	s_branch .LBB2_1535
.LBB2_1534:                             ;   in Loop: Header=BB2_1532 Depth=4
	s_trap 2
	ds_load_b64 v[10:11], v0
	s_and_not1_b32 s74, s74, exec_lo
	s_mov_b32 s73, 0
	s_wait_storecnt 0x0
	s_wait_loadcnt_dscnt 0x0
	flat_load_b32 v2, v[10:11] scope:SCOPE_SYS
	s_wait_loadcnt_dscnt 0x0
	global_inv scope:SCOPE_SYS
	v_cmp_eq_u32_e32 vcc_lo, 0, v2
	s_and_b32 s75, vcc_lo, exec_lo
	s_delay_alu instid0(SALU_CYCLE_1)
	s_or_b32 s74, s74, s75
	s_mov_b32 s76, -1
	s_or_b32 s72, s72, exec_lo
	s_and_saveexec_b32 s75, s74
	s_cbranch_execz .LBB2_1531
.LBB2_1535:                             ;   in Loop: Header=BB2_1532 Depth=4
	s_sleep 1
	s_trap 2
	ds_load_b64 v[10:11], v0
	s_wait_dscnt 0x0
	s_and_not1_b32 s72, s72, exec_lo
	v_cmp_ge_u64_e32 vcc_lo, v[10:11], v[12:13]
	s_or_not1_b32 s76, vcc_lo, exec_lo
	s_branch .LBB2_1531
.LBB2_1536:                             ;   in Loop: Header=BB2_1372 Depth=3
	s_or_b32 exec_lo, exec_lo, s41
	s_and_saveexec_b32 s41, s63
	s_delay_alu instid0(SALU_CYCLE_1)
	s_xor_b32 s41, exec_lo, s41
	s_cbranch_execz .LBB2_1538
; %bb.1537:                             ;   in Loop: Header=BB2_1372 Depth=3
	ds_store_b32 v0, v59
	s_trap 2
.LBB2_1538:                             ;   in Loop: Header=BB2_1372 Depth=3
	s_or_b32 exec_lo, exec_lo, s40
	;;#ASMSTART
	s_wakeup
	;;#ASMEND
.LBB2_1539:                             ;   in Loop: Header=BB2_1372 Depth=3
	s_or_b32 exec_lo, exec_lo, s15
.LBB2_1540:                             ;   in Loop: Header=BB2_1372 Depth=3
	s_and_not1_saveexec_b32 s14, s14
	s_cbranch_execz .LBB2_1542
; %bb.1541:                             ;   in Loop: Header=BB2_1372 Depth=3
	;;#ASMSTART
	s_waitcnt lgkmcnt(0) vmcnt(0)
	;;#ASMEND
	s_barrier_signal -1
	s_barrier_wait -1
.LBB2_1542:                             ;   in Loop: Header=BB2_1372 Depth=3
	s_or_b32 exec_lo, exec_lo, s14
.LBB2_1543:                             ;   in Loop: Header=BB2_1372 Depth=3
	s_delay_alu instid0(SALU_CYCLE_1) | instskip(SKIP_2) | instid1(SALU_CYCLE_1)
	s_or_b32 exec_lo, exec_lo, s13
	v_cmp_ne_u32_e32 vcc_lo, 0, v8
	s_xor_b32 s13, s4, -1
	s_and_b32 s14, vcc_lo, s13
	s_delay_alu instid0(SALU_CYCLE_1)
	s_and_saveexec_b32 s13, s14
	s_cbranch_execz .LBB2_1545
; %bb.1544:                             ;   in Loop: Header=BB2_1372 Depth=3
	global_wb scope:SCOPE_SYS
	s_wait_storecnt 0x0
	s_wait_loadcnt_dscnt 0x0
	flat_store_b32 v[26:27], v59 scope:SCOPE_SYS
.LBB2_1545:                             ;   in Loop: Header=BB2_1372 Depth=3
	s_wait_xcnt 0x0
	s_or_b32 exec_lo, exec_lo, s13
	v_and_b32_e32 v2, 48, v30
	s_mov_b32 s13, exec_lo
	s_delay_alu instid0(VALU_DEP_1)
	v_cmpx_ne_u32_e32 0, v2
	s_cbranch_execz .LBB2_1371
; %bb.1546:                             ;   in Loop: Header=BB2_1372 Depth=3
	v_add_nc_u64_e32 v[86:87], 2, v[86:87]
	global_wb scope:SCOPE_SYS
	s_wait_storecnt 0x0
	s_wait_loadcnt_dscnt 0x0
	flat_store_b64 v[20:21], v[86:87] scope:SCOPE_SYS
	s_branch .LBB2_1371
.LBB2_1547:                             ;   in Loop: Header=BB2_1369 Depth=2
	s_or_b32 exec_lo, exec_lo, s60
.LBB2_1548:                             ;   in Loop: Header=BB2_1369 Depth=2
	s_delay_alu instid0(SALU_CYCLE_1) | instskip(NEXT) | instid1(SALU_CYCLE_1)
	s_or_b32 exec_lo, exec_lo, s27
	s_mov_b32 s14, exec_lo
	v_cmpx_gt_i32_e32 2, v2
	s_cbranch_execz .LBB2_1624
; %bb.1549:                             ;   in Loop: Header=BB2_1369 Depth=2
	v_cmp_eq_u32_e64 s27, 0, v2
	s_mov_b32 s15, 0
	s_branch .LBB2_1551
.LBB2_1550:                             ;   in Loop: Header=BB2_1551 Depth=3
	s_wait_xcnt 0x0
	s_or_b32 exec_lo, exec_lo, s13
	v_add_nc_u32_e32 v102, v100, v102
	s_mov_b32 s27, 0
	s_and_not1_b32 exec_lo, exec_lo, s15
	s_cbranch_execz .LBB2_1623
.LBB2_1551:                             ;   Parent Loop BB2_47 Depth=1
                                        ;     Parent Loop BB2_1369 Depth=2
                                        ; =>    This Loop Header: Depth=3
                                        ;         Child Loop BB2_1557 Depth 4
                                        ;         Child Loop BB2_1585 Depth 4
	;; [unrolled: 1-line block ×3, first 2 shown]
	s_delay_alu instid0(VALU_DEP_1) | instskip(SKIP_2) | instid1(VALU_DEP_2)
	v_sub_nc_u32_e32 v2, v46, v102
	v_and_b32_e32 v8, 12, v30
	s_mov_b32 s40, exec_lo
	v_min_i32_e32 v100, v100, v2
	s_delay_alu instid0(VALU_DEP_2)
	v_cmpx_ne_u32_e32 0, v8
	s_cbranch_execz .LBB2_1577
; %bb.1552:                             ;   in Loop: Header=BB2_1551 Depth=3
	v_and_b32_e32 v2, 8, v30
	v_add_nc_u64_e32 v[8:9], 2, v[86:87]
	s_mov_b32 s41, exec_lo
	s_wait_loadcnt_dscnt 0x1
	s_delay_alu instid0(VALU_DEP_2) | instskip(NEXT) | instid1(VALU_DEP_1)
	v_add_nc_u64_e32 v[10:11], v[28:29], v[2:3]
	v_cmpx_lt_u64_e64 v[10:11], v[8:9]
	s_cbranch_execz .LBB2_1564
; %bb.1553:                             ;   in Loop: Header=BB2_1551 Depth=3
	v_and_b32_e32 v10, 64, v30
	s_mov_b32 s60, 0
	s_mov_b32 s72, 0
                                        ; implicit-def: $sgpr61
                                        ; implicit-def: $sgpr62
                                        ; implicit-def: $sgpr63
	s_delay_alu instid0(VALU_DEP_1)
	v_cmp_eq_u32_e32 vcc_lo, 0, v10
	s_branch .LBB2_1557
.LBB2_1554:                             ;   in Loop: Header=BB2_1557 Depth=4
	s_wait_loadcnt_dscnt 0x0
	v_add_nc_u64_e32 v[112:113], v[28:29], v[2:3]
	s_or_b32 s75, s75, exec_lo
	s_delay_alu instid0(VALU_DEP_1)
	v_cmp_ge_u64_e64 s13, v[112:113], v[8:9]
	s_or_not1_b32 s74, s13, exec_lo
.LBB2_1555:                             ;   in Loop: Header=BB2_1557 Depth=4
	s_or_b32 exec_lo, exec_lo, s77
	s_delay_alu instid0(SALU_CYCLE_1)
	s_and_not1_b32 s13, s63, exec_lo
	s_and_b32 s63, s75, exec_lo
	s_and_not1_b32 s62, s62, exec_lo
	s_and_b32 s74, s74, exec_lo
	s_or_b32 s63, s13, s63
	s_or_b32 s62, s62, s74
.LBB2_1556:                             ;   in Loop: Header=BB2_1557 Depth=4
	s_or_b32 exec_lo, exec_lo, s73
	s_delay_alu instid0(SALU_CYCLE_1) | instskip(NEXT) | instid1(SALU_CYCLE_1)
	s_and_b32 s13, exec_lo, s62
	s_or_b32 s60, s13, s60
	s_and_not1_b32 s13, s61, exec_lo
	s_and_b32 s61, s63, exec_lo
	s_delay_alu instid0(SALU_CYCLE_1)
	s_or_b32 s61, s13, s61
	s_and_not1_b32 exec_lo, exec_lo, s60
	s_cbranch_execz .LBB2_1561
.LBB2_1557:                             ;   Parent Loop BB2_47 Depth=1
                                        ;     Parent Loop BB2_1369 Depth=2
                                        ;       Parent Loop BB2_1551 Depth=3
                                        ; =>      This Inner Loop Header: Depth=4
	s_sleep 1
	s_wait_loadcnt_dscnt 0x0
	flat_load_b64 v[28:29], v[20:21] scope:SCOPE_SYS
	s_or_b32 s63, s63, exec_lo
	s_or_b32 s62, s62, exec_lo
                                        ; implicit-def: $vgpr10
	s_wait_xcnt 0x0
	s_and_saveexec_b32 s73, vcc_lo
	s_cbranch_execz .LBB2_1556
; %bb.1558:                             ;   in Loop: Header=BB2_1557 Depth=4
	s_cmp_lt_i32 s72, 0x270f
	s_mov_b32 s74, -1
	s_cselect_b32 s76, -1, 0
	s_cmp_gt_i32 s72, 0x270e
	s_cbranch_scc0 .LBB2_1560
; %bb.1559:                             ;   in Loop: Header=BB2_1557 Depth=4
	s_trap 2
	ds_load_b64 v[10:11], v0
	s_and_not1_b32 s72, s76, exec_lo
	s_mov_b32 s75, 0
	s_wait_storecnt 0x0
	s_wait_loadcnt_dscnt 0x0
	flat_load_b32 v10, v[10:11] scope:SCOPE_SYS
	s_wait_loadcnt_dscnt 0x0
	global_inv scope:SCOPE_SYS
	v_cmp_eq_u32_e64 s13, 0, v10
	s_and_b32 s13, s13, exec_lo
	s_delay_alu instid0(SALU_CYCLE_1)
	s_or_b32 s76, s72, s13
	s_mov_b32 s72, 0
	s_and_saveexec_b32 s77, s76
	s_cbranch_execz .LBB2_1555
	s_branch .LBB2_1554
.LBB2_1560:                             ;   in Loop: Header=BB2_1557 Depth=4
	s_add_co_i32 s72, s72, 1
	s_mov_b32 s75, -1
                                        ; implicit-def: $vgpr10
	s_and_saveexec_b32 s77, s76
	s_cbranch_execz .LBB2_1555
	s_branch .LBB2_1554
.LBB2_1561:                             ;   in Loop: Header=BB2_1551 Depth=3
	s_or_b32 exec_lo, exec_lo, s60
	s_xor_b32 s13, s61, -1
	s_delay_alu instid0(SALU_CYCLE_1) | instskip(NEXT) | instid1(SALU_CYCLE_1)
	s_and_saveexec_b32 s60, s13
	s_xor_b32 s13, exec_lo, s60
	s_cbranch_execz .LBB2_1563
; %bb.1562:                             ;   in Loop: Header=BB2_1551 Depth=3
	v_or_b32_e32 v30, 64, v30
	s_wait_storecnt 0x0
	s_wait_loadcnt_dscnt 0x0
	ds_store_b32 v0, v10
	s_trap 2
.LBB2_1563:                             ;   in Loop: Header=BB2_1551 Depth=3
	s_or_b32 exec_lo, exec_lo, s13
.LBB2_1564:                             ;   in Loop: Header=BB2_1551 Depth=3
	s_delay_alu instid0(SALU_CYCLE_1) | instskip(SKIP_2) | instid1(VALU_DEP_1)
	s_or_b32 exec_lo, exec_lo, s41
	v_and_b32_e32 v10, 0x108, v30
	;;#ASMSTART
	s_wakeup
	;;#ASMEND
	v_cmp_ne_u32_e32 vcc_lo, 0x108, v10
                                        ; implicit-def: $vgpr10_vgpr11
	s_and_saveexec_b32 s13, vcc_lo
	s_delay_alu instid0(SALU_CYCLE_1)
	s_xor_b32 s13, exec_lo, s13
; %bb.1565:                             ;   in Loop: Header=BB2_1551 Depth=3
	v_dual_mov_b32 v11, v3 :: v_dual_bitop2_b32 v10, 7, v86 bitop3:0x40
                                        ; implicit-def: $vgpr86_vgpr87
; %bb.1566:                             ;   in Loop: Header=BB2_1551 Depth=3
	s_and_not1_saveexec_b32 s13, s13
	s_cbranch_execz .LBB2_1568
; %bb.1567:                             ;   in Loop: Header=BB2_1551 Depth=3
	v_dual_ashrrev_i32 v101, 31, v100 :: v_dual_bitop2_b32 v10, 7, v86 bitop3:0x40
	v_mov_b32_e32 v11, v3
	s_delay_alu instid0(VALU_DEP_2) | instskip(NEXT) | instid1(VALU_DEP_3)
	v_mad_nc_u64_u32 v[86:87], v10, 24, v[6:7]
	v_lshlrev_b64_e32 v[112:113], 1, v[100:101]
	flat_store_b64 v[86:87], v[112:113] offset:8
.LBB2_1568:                             ;   in Loop: Header=BB2_1551 Depth=3
	s_wait_xcnt 0x0
	s_or_b32 exec_lo, exec_lo, s13
	v_and_b32_e32 v86, 0x100, v30
	s_mov_b32 s13, -1
	s_delay_alu instid0(VALU_DEP_1)
	v_cmp_ne_u32_e32 vcc_lo, 0, v86
                                        ; implicit-def: $vgpr86_vgpr87
	s_and_saveexec_b32 s41, vcc_lo
	s_cbranch_execz .LBB2_1572
; %bb.1569:                             ;   in Loop: Header=BB2_1551 Depth=3
	v_mad_nc_u64_u32 v[112:113], v10, 24, v[6:7]
	s_delay_alu instid0(VALU_DEP_1)
	v_mad_u32 v113, v11, 24, v113
	flat_load_b32 v86, v[112:113]
	s_wait_loadcnt_dscnt 0x0
	v_cmp_eq_u32_e64 s13, 1, v86
	v_cmp_ne_u32_e32 vcc_lo, 1, v86
                                        ; implicit-def: $vgpr86_vgpr87
	s_wait_xcnt 0x0
	s_and_saveexec_b32 s60, s13
	s_cbranch_execz .LBB2_1571
; %bb.1570:                             ;   in Loop: Header=BB2_1551 Depth=3
	flat_load_b32 v86, v[112:113] offset:4 scope:SCOPE_SYS
	s_wait_loadcnt_dscnt 0x0
	v_ashrrev_i32_e32 v87, 31, v86
	s_delay_alu instid0(VALU_DEP_1)
	v_lshrrev_b64 v[86:87], 1, v[86:87]
.LBB2_1571:                             ;   in Loop: Header=BB2_1551 Depth=3
	s_wait_xcnt 0x0
	s_or_b32 exec_lo, exec_lo, s60
	s_delay_alu instid0(SALU_CYCLE_1)
	s_or_not1_b32 s13, vcc_lo, exec_lo
.LBB2_1572:                             ;   in Loop: Header=BB2_1551 Depth=3
	s_or_b32 exec_lo, exec_lo, s41
	s_and_saveexec_b32 s41, s13
; %bb.1573:                             ;   in Loop: Header=BB2_1551 Depth=3
	v_mul_u64_e32 v[86:87], v[10:11], v[22:23]
; %bb.1574:                             ;   in Loop: Header=BB2_1551 Depth=3
	s_or_b32 exec_lo, exec_lo, s41
	v_cmp_eq_u32_e32 vcc_lo, 0, v2
	v_and_b32_e32 v101, 0x2000, v30
	s_delay_alu instid0(VALU_DEP_3) | instskip(SKIP_2) | instid1(VALU_DEP_1)
	v_lshl_add_u64 v[10:11], v[86:87], 1, v[24:25]
	s_mov_b32 s13, exec_lo
	v_cndmask_b32_e32 v2, 0xd0, v61, vcc_lo
	v_add_nc_u32_e32 v2, v0, v2
	ds_store_b64 v2, v[10:11] offset:584
	v_cmpx_ne_u32_e32 0, v101
	s_cbranch_execz .LBB2_1576
; %bb.1575:                             ;   in Loop: Header=BB2_1551 Depth=3
	ds_load_b64 v[10:11], v0 offset:872
	s_wait_dscnt 0x0
	v_add_nc_u64_e32 v[10:11], 1, v[10:11]
	ds_store_b64 v0, v[10:11] offset:872
.LBB2_1576:                             ;   in Loop: Header=BB2_1551 Depth=3
	s_or_b32 exec_lo, exec_lo, s13
	v_mov_b64_e32 v[86:87], v[8:9]
.LBB2_1577:                             ;   in Loop: Header=BB2_1551 Depth=3
	s_or_b32 exec_lo, exec_lo, s40
	s_xor_b32 s13, s27, -1
	s_delay_alu instid0(SALU_CYCLE_1) | instskip(NEXT) | instid1(SALU_CYCLE_1)
	s_and_b32 s13, exec_lo, s13
	s_or_b32 s15, s13, s15
	s_and_saveexec_b32 s13, s2
	s_cbranch_execz .LBB2_1596
; %bb.1578:                             ;   in Loop: Header=BB2_1551 Depth=3
	s_and_saveexec_b32 s27, s3
	s_delay_alu instid0(SALU_CYCLE_1)
	s_xor_b32 s27, exec_lo, s27
	s_cbranch_execz .LBB2_1593
; %bb.1579:                             ;   in Loop: Header=BB2_1551 Depth=3
	s_and_saveexec_b32 s40, s6
	s_cbranch_execz .LBB2_1592
; %bb.1580:                             ;   in Loop: Header=BB2_1551 Depth=3
	s_mov_b32 s60, exec_lo
	s_mov_b32 s41, exec_lo
	v_mbcnt_lo_u32_b32 v2, s60, 0
	global_wb scope:SCOPE_DEV
	s_wait_storecnt 0x0
	s_wait_loadcnt_dscnt 0x0
	global_inv scope:SCOPE_DEV
	v_cmpx_eq_u32_e32 0, v2
	s_cbranch_execz .LBB2_1582
; %bb.1581:                             ;   in Loop: Header=BB2_1551 Depth=3
	s_bcnt1_i32_b32 s60, s60
	s_delay_alu instid0(SALU_CYCLE_1)
	v_mov_b32_e32 v2, s60
	s_wait_loadcnt 0x0
	ds_add_u64 v0, v[2:3]
	s_trap 2
.LBB2_1582:                             ;   in Loop: Header=BB2_1551 Depth=3
	s_or_b32 exec_lo, exec_lo, s41
	s_trap 2
	ds_load_b64 v[8:9], v0
	s_wait_dscnt 0x0
	v_add_nc_u64_e32 v[12:13], v[12:13], v[32:33]
	s_mov_b32 s41, exec_lo
	s_delay_alu instid0(VALU_DEP_1)
	v_cmpx_lt_u64_e64 v[8:9], v[12:13]
	s_cbranch_execz .LBB2_1591
; %bb.1583:                             ;   in Loop: Header=BB2_1551 Depth=3
	s_mov_b32 s60, 0
	s_mov_b32 s63, 0
                                        ; implicit-def: $sgpr61
                                        ; implicit-def: $sgpr62
	s_branch .LBB2_1585
.LBB2_1584:                             ;   in Loop: Header=BB2_1585 Depth=4
	s_or_b32 exec_lo, exec_lo, s73
	s_delay_alu instid0(SALU_CYCLE_1) | instskip(NEXT) | instid1(SALU_CYCLE_1)
	s_and_b32 s72, exec_lo, s74
	s_or_b32 s60, s72, s60
	s_and_not1_b32 s61, s61, exec_lo
	s_and_b32 s72, s62, exec_lo
	s_delay_alu instid0(SALU_CYCLE_1)
	s_or_b32 s61, s61, s72
	s_and_not1_b32 exec_lo, exec_lo, s60
	s_cbranch_execz .LBB2_1589
.LBB2_1585:                             ;   Parent Loop BB2_47 Depth=1
                                        ;     Parent Loop BB2_1369 Depth=2
                                        ;       Parent Loop BB2_1551 Depth=3
                                        ; =>      This Inner Loop Header: Depth=4
	s_add_co_i32 s63, s63, 1
	s_delay_alu instid0(SALU_CYCLE_1) | instskip(SKIP_1) | instid1(SALU_CYCLE_1)
	s_cmp_lg_u32 s63, 0x2710
	s_cselect_b32 s72, -1, 0
	s_and_b32 vcc_lo, exec_lo, s72
	s_cbranch_vccz .LBB2_1587
; %bb.1586:                             ;   in Loop: Header=BB2_1585 Depth=4
	s_mov_b32 s74, -1
	s_or_b32 s62, s62, exec_lo
	s_and_saveexec_b32 s73, s72
	s_cbranch_execz .LBB2_1584
	s_branch .LBB2_1588
.LBB2_1587:                             ;   in Loop: Header=BB2_1585 Depth=4
	s_trap 2
	ds_load_b64 v[8:9], v0
	s_and_not1_b32 s72, s72, exec_lo
	s_mov_b32 s63, 0
	s_wait_loadcnt_dscnt 0x0
	flat_load_b32 v2, v[8:9] scope:SCOPE_SYS
	s_wait_loadcnt_dscnt 0x0
	global_inv scope:SCOPE_SYS
	v_cmp_eq_u32_e32 vcc_lo, 0, v2
	s_and_b32 s73, vcc_lo, exec_lo
	s_delay_alu instid0(SALU_CYCLE_1)
	s_or_b32 s72, s72, s73
	s_mov_b32 s74, -1
	s_or_b32 s62, s62, exec_lo
	s_and_saveexec_b32 s73, s72
	s_cbranch_execz .LBB2_1584
.LBB2_1588:                             ;   in Loop: Header=BB2_1585 Depth=4
	s_sleep 1
	s_trap 2
	ds_load_b64 v[8:9], v0
	s_wait_dscnt 0x0
	s_and_not1_b32 s62, s62, exec_lo
	v_cmp_ge_u64_e32 vcc_lo, v[8:9], v[12:13]
	s_or_not1_b32 s74, vcc_lo, exec_lo
	s_branch .LBB2_1584
.LBB2_1589:                             ;   in Loop: Header=BB2_1551 Depth=3
	s_or_b32 exec_lo, exec_lo, s60
	s_and_saveexec_b32 s60, s61
	s_delay_alu instid0(SALU_CYCLE_1)
	s_xor_b32 s60, exec_lo, s60
	s_cbranch_execz .LBB2_1591
; %bb.1590:                             ;   in Loop: Header=BB2_1551 Depth=3
	ds_store_b32 v0, v59
	s_trap 2
.LBB2_1591:                             ;   in Loop: Header=BB2_1551 Depth=3
	s_or_b32 exec_lo, exec_lo, s41
	;;#ASMSTART
	s_wakeup
	;;#ASMEND
.LBB2_1592:                             ;   in Loop: Header=BB2_1551 Depth=3
	s_or_b32 exec_lo, exec_lo, s40
.LBB2_1593:                             ;   in Loop: Header=BB2_1551 Depth=3
	s_and_not1_saveexec_b32 s27, s27
	s_cbranch_execz .LBB2_1595
; %bb.1594:                             ;   in Loop: Header=BB2_1551 Depth=3
	global_wb scope:SCOPE_DEV
	s_wait_storecnt 0x0
	s_wait_loadcnt_dscnt 0x0
	global_inv scope:SCOPE_DEV
	s_barrier_signal -1
	s_barrier_wait -1
.LBB2_1595:                             ;   in Loop: Header=BB2_1551 Depth=3
	s_or_b32 exec_lo, exec_lo, s27
.LBB2_1596:                             ;   in Loop: Header=BB2_1551 Depth=3
	s_delay_alu instid0(SALU_CYCLE_1) | instskip(SKIP_2) | instid1(SALU_CYCLE_1)
	s_or_b32 exec_lo, exec_lo, s13
	v_and_b32_e32 v8, 16, v30
	s_and_saveexec_b32 s13, s12
	s_xor_b32 s27, exec_lo, s13
	s_cbranch_execz .LBB2_1600
; %bb.1597:                             ;   in Loop: Header=BB2_1551 Depth=3
	s_trap 2
	ds_load_b32 v2, v0
	v_cmp_lt_i32_e32 vcc_lo, 0, v100
	v_and_b32_e32 v8, 16, v30
	s_wait_dscnt 0x0
	v_readfirstlane_b32 s13, v2
	v_and_b32_e32 v2, 16, v30
	s_cmp_eq_u32 s13, 0
	s_delay_alu instid0(VALU_DEP_1) | instskip(SKIP_1) | instid1(SALU_CYCLE_1)
	v_cmp_ne_u32_e64 s13, 0, v2
	s_cselect_b32 s40, -1, 0
	s_and_b32 s40, vcc_lo, s40
	s_delay_alu instid0(SALU_CYCLE_1) | instskip(NEXT) | instid1(SALU_CYCLE_1)
	s_and_b32 s40, s13, s40
	s_and_saveexec_b32 s13, s40
	s_cbranch_execz .LBB2_1599
; %bb.1598:                             ;   in Loop: Header=BB2_1551 Depth=3
	v_mov_b32_e32 v8, 1
	global_wb scope:SCOPE_SYS
	s_wait_loadcnt 0x0
	s_wait_storecnt 0x0
	global_inv scope:SCOPE_SYS
.LBB2_1599:                             ;   in Loop: Header=BB2_1551 Depth=3
	s_or_b32 exec_lo, exec_lo, s13
.LBB2_1600:                             ;   in Loop: Header=BB2_1551 Depth=3
	s_and_not1_saveexec_b32 s13, s27
	s_cbranch_execz .LBB2_1619
; %bb.1601:                             ;   in Loop: Header=BB2_1551 Depth=3
	s_and_saveexec_b32 s27, s3
	s_delay_alu instid0(SALU_CYCLE_1)
	s_xor_b32 s27, exec_lo, s27
	s_cbranch_execz .LBB2_1616
; %bb.1602:                             ;   in Loop: Header=BB2_1551 Depth=3
	s_and_saveexec_b32 s40, s6
	s_cbranch_execz .LBB2_1615
; %bb.1603:                             ;   in Loop: Header=BB2_1551 Depth=3
	s_mov_b32 s60, exec_lo
	s_mov_b32 s41, exec_lo
	v_mbcnt_lo_u32_b32 v2, s60, 0
	;;#ASMSTART
	s_waitcnt lgkmcnt(0) vmcnt(0)
	;;#ASMEND
	s_delay_alu instid0(VALU_DEP_1)
	v_cmpx_eq_u32_e32 0, v2
	s_cbranch_execz .LBB2_1605
; %bb.1604:                             ;   in Loop: Header=BB2_1551 Depth=3
	s_bcnt1_i32_b32 s60, s60
	s_delay_alu instid0(SALU_CYCLE_1)
	v_mov_b32_e32 v2, s60
	s_wait_storecnt 0x0
	s_wait_loadcnt_dscnt 0x0
	ds_add_u64 v0, v[2:3]
	s_trap 2
.LBB2_1605:                             ;   in Loop: Header=BB2_1551 Depth=3
	s_or_b32 exec_lo, exec_lo, s41
	s_trap 2
	ds_load_b64 v[10:11], v0
	s_wait_dscnt 0x0
	v_add_nc_u64_e32 v[12:13], v[12:13], v[32:33]
	s_mov_b32 s41, exec_lo
	s_delay_alu instid0(VALU_DEP_1)
	v_cmpx_lt_u64_e64 v[10:11], v[12:13]
	s_cbranch_execz .LBB2_1614
; %bb.1606:                             ;   in Loop: Header=BB2_1551 Depth=3
	s_mov_b32 s60, 0
	s_mov_b32 s63, 0
                                        ; implicit-def: $sgpr61
                                        ; implicit-def: $sgpr62
	s_branch .LBB2_1608
.LBB2_1607:                             ;   in Loop: Header=BB2_1608 Depth=4
	s_or_b32 exec_lo, exec_lo, s73
	s_delay_alu instid0(SALU_CYCLE_1) | instskip(NEXT) | instid1(SALU_CYCLE_1)
	s_and_b32 s72, exec_lo, s74
	s_or_b32 s60, s72, s60
	s_and_not1_b32 s61, s61, exec_lo
	s_and_b32 s72, s62, exec_lo
	s_delay_alu instid0(SALU_CYCLE_1)
	s_or_b32 s61, s61, s72
	s_and_not1_b32 exec_lo, exec_lo, s60
	s_cbranch_execz .LBB2_1612
.LBB2_1608:                             ;   Parent Loop BB2_47 Depth=1
                                        ;     Parent Loop BB2_1369 Depth=2
                                        ;       Parent Loop BB2_1551 Depth=3
                                        ; =>      This Inner Loop Header: Depth=4
	s_add_co_i32 s63, s63, 1
	s_delay_alu instid0(SALU_CYCLE_1) | instskip(SKIP_1) | instid1(SALU_CYCLE_1)
	s_cmp_lg_u32 s63, 0x2710
	s_cselect_b32 s72, -1, 0
	s_and_b32 vcc_lo, exec_lo, s72
	s_cbranch_vccz .LBB2_1610
; %bb.1609:                             ;   in Loop: Header=BB2_1608 Depth=4
	s_mov_b32 s74, -1
	s_or_b32 s62, s62, exec_lo
	s_and_saveexec_b32 s73, s72
	s_cbranch_execz .LBB2_1607
	s_branch .LBB2_1611
.LBB2_1610:                             ;   in Loop: Header=BB2_1608 Depth=4
	s_trap 2
	ds_load_b64 v[10:11], v0
	s_and_not1_b32 s72, s72, exec_lo
	s_mov_b32 s63, 0
	s_wait_storecnt 0x0
	s_wait_loadcnt_dscnt 0x0
	flat_load_b32 v2, v[10:11] scope:SCOPE_SYS
	s_wait_loadcnt_dscnt 0x0
	global_inv scope:SCOPE_SYS
	v_cmp_eq_u32_e32 vcc_lo, 0, v2
	s_and_b32 s73, vcc_lo, exec_lo
	s_delay_alu instid0(SALU_CYCLE_1)
	s_or_b32 s72, s72, s73
	s_mov_b32 s74, -1
	s_or_b32 s62, s62, exec_lo
	s_and_saveexec_b32 s73, s72
	s_cbranch_execz .LBB2_1607
.LBB2_1611:                             ;   in Loop: Header=BB2_1608 Depth=4
	s_sleep 1
	s_trap 2
	ds_load_b64 v[10:11], v0
	s_wait_dscnt 0x0
	s_and_not1_b32 s62, s62, exec_lo
	v_cmp_ge_u64_e32 vcc_lo, v[10:11], v[12:13]
	s_or_not1_b32 s74, vcc_lo, exec_lo
	s_branch .LBB2_1607
.LBB2_1612:                             ;   in Loop: Header=BB2_1551 Depth=3
	s_or_b32 exec_lo, exec_lo, s60
	s_and_saveexec_b32 s60, s61
	s_delay_alu instid0(SALU_CYCLE_1)
	s_xor_b32 s60, exec_lo, s60
	s_cbranch_execz .LBB2_1614
; %bb.1613:                             ;   in Loop: Header=BB2_1551 Depth=3
	ds_store_b32 v0, v59
	s_trap 2
.LBB2_1614:                             ;   in Loop: Header=BB2_1551 Depth=3
	s_or_b32 exec_lo, exec_lo, s41
	;;#ASMSTART
	s_wakeup
	;;#ASMEND
.LBB2_1615:                             ;   in Loop: Header=BB2_1551 Depth=3
	s_or_b32 exec_lo, exec_lo, s40
.LBB2_1616:                             ;   in Loop: Header=BB2_1551 Depth=3
	s_and_not1_saveexec_b32 s27, s27
	s_cbranch_execz .LBB2_1618
; %bb.1617:                             ;   in Loop: Header=BB2_1551 Depth=3
	;;#ASMSTART
	s_waitcnt lgkmcnt(0) vmcnt(0)
	;;#ASMEND
	s_barrier_signal -1
	s_barrier_wait -1
.LBB2_1618:                             ;   in Loop: Header=BB2_1551 Depth=3
	s_or_b32 exec_lo, exec_lo, s27
.LBB2_1619:                             ;   in Loop: Header=BB2_1551 Depth=3
	s_delay_alu instid0(SALU_CYCLE_1) | instskip(SKIP_2) | instid1(SALU_CYCLE_1)
	s_or_b32 exec_lo, exec_lo, s13
	v_cmp_ne_u32_e32 vcc_lo, 0, v8
	s_xor_b32 s13, s4, -1
	s_and_b32 s27, vcc_lo, s13
	s_delay_alu instid0(SALU_CYCLE_1)
	s_and_saveexec_b32 s13, s27
	s_cbranch_execz .LBB2_1621
; %bb.1620:                             ;   in Loop: Header=BB2_1551 Depth=3
	global_wb scope:SCOPE_SYS
	s_wait_storecnt 0x0
	s_wait_loadcnt_dscnt 0x0
	flat_store_b32 v[26:27], v59 scope:SCOPE_SYS
.LBB2_1621:                             ;   in Loop: Header=BB2_1551 Depth=3
	s_wait_xcnt 0x0
	s_or_b32 exec_lo, exec_lo, s13
	v_and_b32_e32 v2, 48, v30
	s_mov_b32 s13, exec_lo
	s_delay_alu instid0(VALU_DEP_1)
	v_cmpx_ne_u32_e32 0, v2
	s_cbranch_execz .LBB2_1550
; %bb.1622:                             ;   in Loop: Header=BB2_1551 Depth=3
	v_add_nc_u64_e32 v[86:87], 2, v[86:87]
	global_wb scope:SCOPE_SYS
	s_wait_storecnt 0x0
	s_wait_loadcnt_dscnt 0x0
	flat_store_b64 v[20:21], v[86:87] scope:SCOPE_SYS
	s_branch .LBB2_1550
.LBB2_1623:                             ;   in Loop: Header=BB2_1369 Depth=2
	s_or_b32 exec_lo, exec_lo, s15
.LBB2_1624:                             ;   in Loop: Header=BB2_1369 Depth=2
	s_delay_alu instid0(SALU_CYCLE_1)
	s_or_b32 exec_lo, exec_lo, s14
	s_add_co_i32 s13, s18, 1
	s_cmp_eq_u32 s18, s56
	s_cbranch_scc1 .LBB2_1626
; %bb.1625:                             ;   in Loop: Header=BB2_1369 Depth=2
	s_mov_b32 s18, s13
	s_branch .LBB2_1369
.LBB2_1626:                             ;   in Loop: Header=BB2_47 Depth=1
	v_mul_u64_e32 v[10:11], s[28:29], v[84:85]
	s_delay_alu instid0(VALU_DEP_1) | instskip(NEXT) | instid1(VALU_DEP_1)
	v_sub_nc_u64_e32 v[8:9], v[96:97], v[10:11]
	v_min_i64 v[8:9], v[84:85], v[8:9]
	s_delay_alu instid0(VALU_DEP_1) | instskip(SKIP_1) | instid1(VALU_DEP_2)
	v_max_i32_e32 v114, 0, v8
	v_cmp_lt_i32_e32 vcc_lo, 0, v8
	v_dual_mov_b32 v8, 0 :: v_dual_add_nc_u32 v2, 31, v114
	s_and_b32 s13, s57, vcc_lo
	s_delay_alu instid0(VALU_DEP_1) | instskip(NEXT) | instid1(VALU_DEP_1)
	v_lshrrev_b32_e32 v2, 1, v2
	v_and_b32_e32 v9, 0x3ffffff0, v2
	s_delay_alu instid0(VALU_DEP_1)
	v_dual_mov_b32 v2, 0 :: v_dual_max_i32 v115, s45, v9
	s_and_saveexec_b32 s14, s13
	s_cbranch_execz .LBB2_1764
; %bb.1627:                             ;   in Loop: Header=BB2_47 Depth=1
	v_add_nc_u64_e32 v[8:9], v[10:11], v[98:99]
	s_mov_b32 s27, 1
	s_mov_b32 s18, -1
	s_mov_b32 s15, 0
	s_delay_alu instid0(VALU_DEP_1)
	v_lshlrev_b64_e32 v[10:11], 1, v[8:9]
	v_mov_b32_e32 v8, 0
	s_branch .LBB2_1629
.LBB2_1628:                             ;   in Loop: Header=BB2_1629 Depth=2
	s_wait_xcnt 0x0
	s_or_b32 exec_lo, exec_lo, s13
	v_dual_add_nc_u32 v8, v115, v8 :: v_dual_mov_b32 v2, s27
	s_xor_b32 s13, s18, -1
	s_mov_b32 s18, 0
	s_mov_b32 s27, 2
	s_delay_alu instid0(VALU_DEP_1) | instskip(SKIP_1) | instid1(SALU_CYCLE_1)
	v_cmp_ge_i32_e32 vcc_lo, v8, v114
	s_or_b32 s13, s13, vcc_lo
	s_and_b32 s13, exec_lo, s13
	s_delay_alu instid0(SALU_CYCLE_1) | instskip(NEXT) | instid1(SALU_CYCLE_1)
	s_or_b32 s15, s13, s15
	s_and_not1_b32 exec_lo, exec_lo, s15
	s_cbranch_execz .LBB2_1763
.LBB2_1629:                             ;   Parent Loop BB2_47 Depth=1
                                        ; =>  This Loop Header: Depth=2
                                        ;       Child Loop BB2_1637 Depth 3
                                        ;       Child Loop BB2_1661 Depth 3
	;; [unrolled: 1-line block ×9, first 2 shown]
	s_and_saveexec_b32 s13, s0
	s_cbranch_execz .LBB2_1631
; %bb.1630:                             ;   in Loop: Header=BB2_1629 Depth=2
	s_trap 2
	ds_load_b128 v[96:99], v0
	s_wait_dscnt 0x0
	v_cmp_ne_u64_e32 vcc_lo, 0, v[98:99]
	v_ashrrev_i32_e32 v9, 31, v8
	v_add_nc_u64_e32 v[102:103], v[98:99], v[10:11]
	v_add_nc_u64_e32 v[96:97], v[96:97], v[10:11]
	s_delay_alu instid0(VALU_DEP_3) | instskip(NEXT) | instid1(VALU_DEP_1)
	v_lshlrev_b64_e32 v[100:101], 1, v[8:9]
	v_add_nc_u64_e32 v[102:103], v[102:103], v[100:101]
	s_delay_alu instid0(VALU_DEP_3) | instskip(NEXT) | instid1(VALU_DEP_2)
	v_add_nc_u64_e32 v[96:97], v[96:97], v[100:101]
	v_dual_cndmask_b32 v99, 0, v103 :: v_dual_cndmask_b32 v98, 0, v102
	ds_store_b64 v0, v[96:97]
	ds_store_b64 v0, v[98:99]
.LBB2_1631:                             ;   in Loop: Header=BB2_1629 Depth=2
	s_or_b32 exec_lo, exec_lo, s13
	v_and_b32_e32 v2, 4, v30
	s_mov_b32 s40, exec_lo
	s_delay_alu instid0(VALU_DEP_1)
	v_cmpx_ne_u32_e32 0, v2
	s_cbranch_execz .LBB2_1653
; %bb.1632:                             ;   in Loop: Header=BB2_1629 Depth=2
	v_add_nc_u64_e32 v[96:97], 2, v[86:87]
	s_mov_b32 s41, exec_lo
	s_wait_loadcnt_dscnt 0x1
	s_delay_alu instid0(VALU_DEP_1)
	v_cmpx_lt_u64_e64 v[28:29], v[96:97]
	s_cbranch_execz .LBB2_1644
; %bb.1633:                             ;   in Loop: Header=BB2_1629 Depth=2
	v_and_b32_e32 v2, 64, v30
	s_mov_b32 s60, 0
	s_mov_b32 s72, 0
                                        ; implicit-def: $sgpr61
                                        ; implicit-def: $sgpr62
                                        ; implicit-def: $sgpr63
	s_delay_alu instid0(VALU_DEP_1)
	v_cmp_eq_u32_e32 vcc_lo, 0, v2
	s_branch .LBB2_1637
.LBB2_1634:                             ;   in Loop: Header=BB2_1637 Depth=3
	s_wait_loadcnt_dscnt 0x0
	v_cmp_ge_u64_e64 s13, v[28:29], v[96:97]
	s_or_b32 s75, s75, exec_lo
	s_or_not1_b32 s74, s13, exec_lo
.LBB2_1635:                             ;   in Loop: Header=BB2_1637 Depth=3
	s_or_b32 exec_lo, exec_lo, s77
	s_delay_alu instid0(SALU_CYCLE_1)
	s_and_not1_b32 s13, s63, exec_lo
	s_and_b32 s63, s75, exec_lo
	s_and_not1_b32 s62, s62, exec_lo
	s_and_b32 s74, s74, exec_lo
	s_or_b32 s63, s13, s63
	s_or_b32 s62, s62, s74
.LBB2_1636:                             ;   in Loop: Header=BB2_1637 Depth=3
	s_or_b32 exec_lo, exec_lo, s73
	s_delay_alu instid0(SALU_CYCLE_1) | instskip(NEXT) | instid1(SALU_CYCLE_1)
	s_and_b32 s13, exec_lo, s62
	s_or_b32 s60, s13, s60
	s_and_not1_b32 s13, s61, exec_lo
	s_and_b32 s61, s63, exec_lo
	s_delay_alu instid0(SALU_CYCLE_1)
	s_or_b32 s61, s13, s61
	s_and_not1_b32 exec_lo, exec_lo, s60
	s_cbranch_execz .LBB2_1641
.LBB2_1637:                             ;   Parent Loop BB2_47 Depth=1
                                        ;     Parent Loop BB2_1629 Depth=2
                                        ; =>    This Inner Loop Header: Depth=3
	s_sleep 1
	s_wait_loadcnt_dscnt 0x0
	flat_load_b64 v[28:29], v[20:21] scope:SCOPE_SYS
	s_or_b32 s63, s63, exec_lo
	s_or_b32 s62, s62, exec_lo
                                        ; implicit-def: $vgpr2
	s_wait_xcnt 0x0
	s_and_saveexec_b32 s73, vcc_lo
	s_cbranch_execz .LBB2_1636
; %bb.1638:                             ;   in Loop: Header=BB2_1637 Depth=3
	s_cmp_lt_i32 s72, 0x270f
	s_mov_b32 s74, -1
	s_cselect_b32 s76, -1, 0
	s_cmp_gt_i32 s72, 0x270e
	s_cbranch_scc0 .LBB2_1640
; %bb.1639:                             ;   in Loop: Header=BB2_1637 Depth=3
	s_trap 2
	ds_load_b64 v[98:99], v0
	s_and_not1_b32 s72, s76, exec_lo
	s_mov_b32 s75, 0
	s_wait_storecnt 0x0
	s_wait_loadcnt_dscnt 0x0
	flat_load_b32 v2, v[98:99] scope:SCOPE_SYS
	s_wait_loadcnt_dscnt 0x0
	global_inv scope:SCOPE_SYS
	v_cmp_eq_u32_e64 s13, 0, v2
	s_and_b32 s13, s13, exec_lo
	s_delay_alu instid0(SALU_CYCLE_1)
	s_or_b32 s76, s72, s13
	s_mov_b32 s72, 0
	s_and_saveexec_b32 s77, s76
	s_cbranch_execz .LBB2_1635
	s_branch .LBB2_1634
.LBB2_1640:                             ;   in Loop: Header=BB2_1637 Depth=3
	s_add_co_i32 s72, s72, 1
	s_mov_b32 s75, -1
                                        ; implicit-def: $vgpr2
	s_and_saveexec_b32 s77, s76
	s_cbranch_execz .LBB2_1635
	s_branch .LBB2_1634
.LBB2_1641:                             ;   in Loop: Header=BB2_1629 Depth=2
	s_or_b32 exec_lo, exec_lo, s60
	s_xor_b32 s13, s61, -1
	s_delay_alu instid0(SALU_CYCLE_1) | instskip(NEXT) | instid1(SALU_CYCLE_1)
	s_and_saveexec_b32 s60, s13
	s_xor_b32 s13, exec_lo, s60
	s_cbranch_execz .LBB2_1643
; %bb.1642:                             ;   in Loop: Header=BB2_1629 Depth=2
	v_or_b32_e32 v30, 64, v30
	s_wait_storecnt 0x0
	s_wait_loadcnt_dscnt 0x0
	ds_store_b32 v0, v2
	s_trap 2
.LBB2_1643:                             ;   in Loop: Header=BB2_1629 Depth=2
	s_or_b32 exec_lo, exec_lo, s13
.LBB2_1644:                             ;   in Loop: Header=BB2_1629 Depth=2
	s_delay_alu instid0(SALU_CYCLE_1) | instskip(SKIP_3) | instid1(VALU_DEP_1)
	s_or_b32 exec_lo, exec_lo, s41
	v_and_b32_e32 v2, 0x100, v30
	s_mov_b32 s13, -1
	;;#ASMSTART
	s_wakeup
	;;#ASMEND
	v_cmp_ne_u32_e32 vcc_lo, 0, v2
	v_and_b32_e32 v2, 7, v86
                                        ; implicit-def: $vgpr86_vgpr87
	s_and_saveexec_b32 s41, vcc_lo
	s_cbranch_execz .LBB2_1648
; %bb.1645:                             ;   in Loop: Header=BB2_1629 Depth=2
	s_delay_alu instid0(VALU_DEP_1)
	v_mad_nc_u64_u32 v[98:99], v2, 24, v[6:7]
	s_mov_b32 s60, exec_lo
                                        ; implicit-def: $vgpr86_vgpr87
	flat_load_b32 v9, v[98:99]
	s_wait_loadcnt_dscnt 0x0
	v_cmp_ne_u32_e32 vcc_lo, 1, v9
	s_wait_xcnt 0x0
	v_cmpx_eq_u32_e32 1, v9
	s_cbranch_execz .LBB2_1647
; %bb.1646:                             ;   in Loop: Header=BB2_1629 Depth=2
	flat_load_b32 v86, v[98:99] offset:4 scope:SCOPE_SYS
	s_wait_loadcnt_dscnt 0x0
	v_ashrrev_i32_e32 v87, 31, v86
	s_delay_alu instid0(VALU_DEP_1)
	v_lshrrev_b64 v[86:87], 1, v[86:87]
.LBB2_1647:                             ;   in Loop: Header=BB2_1629 Depth=2
	s_wait_xcnt 0x0
	s_or_b32 exec_lo, exec_lo, s60
	s_delay_alu instid0(SALU_CYCLE_1)
	s_or_not1_b32 s13, vcc_lo, exec_lo
.LBB2_1648:                             ;   in Loop: Header=BB2_1629 Depth=2
	s_or_b32 exec_lo, exec_lo, s41
	s_and_saveexec_b32 s41, s13
; %bb.1649:                             ;   in Loop: Header=BB2_1629 Depth=2
	v_mul_u64_e32 v[86:87], v[2:3], v[22:23]
; %bb.1650:                             ;   in Loop: Header=BB2_1629 Depth=2
	s_or_b32 exec_lo, exec_lo, s41
	v_and_b32_e32 v2, 0x2000, v30
	s_delay_alu instid0(VALU_DEP_2)
	v_lshl_add_u64 v[86:87], v[86:87], 1, v[24:25]
	s_mov_b32 s13, exec_lo
	ds_store_b64 v0, v[86:87] offset:720
	v_cmpx_ne_u32_e32 0, v2
	s_cbranch_execz .LBB2_1652
; %bb.1651:                             ;   in Loop: Header=BB2_1629 Depth=2
	ds_load_b64 v[86:87], v0 offset:872
	s_wait_dscnt 0x0
	v_add_nc_u64_e32 v[86:87], 1, v[86:87]
	ds_store_b64 v0, v[86:87] offset:872
.LBB2_1652:                             ;   in Loop: Header=BB2_1629 Depth=2
	s_or_b32 exec_lo, exec_lo, s13
	v_mov_b64_e32 v[86:87], v[96:97]
.LBB2_1653:                             ;   in Loop: Header=BB2_1629 Depth=2
	s_or_b32 exec_lo, exec_lo, s40
	s_and_saveexec_b32 s13, s2
	s_cbranch_execz .LBB2_1672
; %bb.1654:                             ;   in Loop: Header=BB2_1629 Depth=2
	s_and_saveexec_b32 s40, s3
	s_delay_alu instid0(SALU_CYCLE_1)
	s_xor_b32 s40, exec_lo, s40
	s_cbranch_execz .LBB2_1669
; %bb.1655:                             ;   in Loop: Header=BB2_1629 Depth=2
	s_and_saveexec_b32 s41, s6
	s_cbranch_execz .LBB2_1668
; %bb.1656:                             ;   in Loop: Header=BB2_1629 Depth=2
	s_mov_b32 s61, exec_lo
	s_mov_b32 s60, exec_lo
	v_mbcnt_lo_u32_b32 v2, s61, 0
	global_wb scope:SCOPE_DEV
	s_wait_storecnt 0x0
	s_wait_loadcnt_dscnt 0x0
	global_inv scope:SCOPE_DEV
	v_cmpx_eq_u32_e32 0, v2
	s_cbranch_execz .LBB2_1658
; %bb.1657:                             ;   in Loop: Header=BB2_1629 Depth=2
	s_bcnt1_i32_b32 s61, s61
	s_delay_alu instid0(SALU_CYCLE_1)
	v_mov_b32_e32 v2, s61
	s_wait_loadcnt 0x0
	ds_add_u64 v0, v[2:3]
	s_trap 2
.LBB2_1658:                             ;   in Loop: Header=BB2_1629 Depth=2
	s_or_b32 exec_lo, exec_lo, s60
	s_trap 2
	ds_load_b64 v[96:97], v0
	s_wait_dscnt 0x0
	v_add_nc_u64_e32 v[12:13], v[12:13], v[32:33]
	s_mov_b32 s60, exec_lo
	s_delay_alu instid0(VALU_DEP_1)
	v_cmpx_lt_u64_e64 v[96:97], v[12:13]
	s_cbranch_execz .LBB2_1667
; %bb.1659:                             ;   in Loop: Header=BB2_1629 Depth=2
	s_mov_b32 s61, 0
	s_mov_b32 s72, 0
                                        ; implicit-def: $sgpr62
                                        ; implicit-def: $sgpr63
	s_branch .LBB2_1661
.LBB2_1660:                             ;   in Loop: Header=BB2_1661 Depth=3
	s_or_b32 exec_lo, exec_lo, s74
	s_delay_alu instid0(SALU_CYCLE_1) | instskip(NEXT) | instid1(SALU_CYCLE_1)
	s_and_b32 s73, exec_lo, s75
	s_or_b32 s61, s73, s61
	s_and_not1_b32 s62, s62, exec_lo
	s_and_b32 s73, s63, exec_lo
	s_delay_alu instid0(SALU_CYCLE_1)
	s_or_b32 s62, s62, s73
	s_and_not1_b32 exec_lo, exec_lo, s61
	s_cbranch_execz .LBB2_1665
.LBB2_1661:                             ;   Parent Loop BB2_47 Depth=1
                                        ;     Parent Loop BB2_1629 Depth=2
                                        ; =>    This Inner Loop Header: Depth=3
	s_add_co_i32 s72, s72, 1
	s_delay_alu instid0(SALU_CYCLE_1) | instskip(SKIP_1) | instid1(SALU_CYCLE_1)
	s_cmp_lg_u32 s72, 0x2710
	s_cselect_b32 s73, -1, 0
	s_and_b32 vcc_lo, exec_lo, s73
	s_cbranch_vccz .LBB2_1663
; %bb.1662:                             ;   in Loop: Header=BB2_1661 Depth=3
	s_mov_b32 s75, -1
	s_or_b32 s63, s63, exec_lo
	s_and_saveexec_b32 s74, s73
	s_cbranch_execz .LBB2_1660
	s_branch .LBB2_1664
.LBB2_1663:                             ;   in Loop: Header=BB2_1661 Depth=3
	s_trap 2
	ds_load_b64 v[96:97], v0
	s_and_not1_b32 s73, s73, exec_lo
	s_mov_b32 s72, 0
	s_wait_loadcnt_dscnt 0x0
	flat_load_b32 v2, v[96:97] scope:SCOPE_SYS
	s_wait_loadcnt_dscnt 0x0
	global_inv scope:SCOPE_SYS
	v_cmp_eq_u32_e32 vcc_lo, 0, v2
	s_and_b32 s74, vcc_lo, exec_lo
	s_delay_alu instid0(SALU_CYCLE_1)
	s_or_b32 s73, s73, s74
	s_mov_b32 s75, -1
	s_or_b32 s63, s63, exec_lo
	s_and_saveexec_b32 s74, s73
	s_cbranch_execz .LBB2_1660
.LBB2_1664:                             ;   in Loop: Header=BB2_1661 Depth=3
	s_sleep 1
	s_trap 2
	ds_load_b64 v[96:97], v0
	s_wait_dscnt 0x0
	s_and_not1_b32 s63, s63, exec_lo
	v_cmp_ge_u64_e32 vcc_lo, v[96:97], v[12:13]
	s_or_not1_b32 s75, vcc_lo, exec_lo
	s_branch .LBB2_1660
.LBB2_1665:                             ;   in Loop: Header=BB2_1629 Depth=2
	s_or_b32 exec_lo, exec_lo, s61
	s_and_saveexec_b32 s61, s62
	s_delay_alu instid0(SALU_CYCLE_1)
	s_xor_b32 s61, exec_lo, s61
	s_cbranch_execz .LBB2_1667
; %bb.1666:                             ;   in Loop: Header=BB2_1629 Depth=2
	ds_store_b32 v0, v59
	s_trap 2
.LBB2_1667:                             ;   in Loop: Header=BB2_1629 Depth=2
	s_or_b32 exec_lo, exec_lo, s60
	;;#ASMSTART
	s_wakeup
	;;#ASMEND
.LBB2_1668:                             ;   in Loop: Header=BB2_1629 Depth=2
	s_or_b32 exec_lo, exec_lo, s41
.LBB2_1669:                             ;   in Loop: Header=BB2_1629 Depth=2
	s_and_not1_saveexec_b32 s40, s40
	s_cbranch_execz .LBB2_1671
; %bb.1670:                             ;   in Loop: Header=BB2_1629 Depth=2
	global_wb scope:SCOPE_DEV
	s_wait_storecnt 0x0
	s_wait_loadcnt_dscnt 0x0
	global_inv scope:SCOPE_DEV
	s_barrier_signal -1
	s_barrier_wait -1
.LBB2_1671:                             ;   in Loop: Header=BB2_1629 Depth=2
	s_or_b32 exec_lo, exec_lo, s40
.LBB2_1672:                             ;   in Loop: Header=BB2_1629 Depth=2
	s_delay_alu instid0(SALU_CYCLE_1) | instskip(SKIP_4) | instid1(VALU_DEP_1)
	s_or_b32 exec_lo, exec_lo, s13
	s_trap 2
	ds_load_b32 v9, v0
	v_and_b32_e32 v2, 0x4000, v30
	s_xor_b32 s13, s1, -1
	v_cmp_ne_u32_e32 vcc_lo, 0, v2
	s_and_b32 s40, s13, vcc_lo
	s_delay_alu instid0(SALU_CYCLE_1)
	s_and_saveexec_b32 s13, s40
	s_cbranch_execz .LBB2_1691
; %bb.1673:                             ;   in Loop: Header=BB2_1629 Depth=2
	s_and_saveexec_b32 s40, s3
	s_delay_alu instid0(SALU_CYCLE_1)
	s_xor_b32 s40, exec_lo, s40
	s_cbranch_execz .LBB2_1688
; %bb.1674:                             ;   in Loop: Header=BB2_1629 Depth=2
	s_and_saveexec_b32 s41, s6
	s_cbranch_execz .LBB2_1687
; %bb.1675:                             ;   in Loop: Header=BB2_1629 Depth=2
	s_mov_b32 s61, exec_lo
	s_mov_b32 s60, exec_lo
	v_mbcnt_lo_u32_b32 v2, s61, 0
	global_wb scope:SCOPE_DEV
	s_wait_storecnt 0x0
	s_wait_loadcnt_dscnt 0x0
	global_inv scope:SCOPE_DEV
	v_cmpx_eq_u32_e32 0, v2
	s_cbranch_execz .LBB2_1677
; %bb.1676:                             ;   in Loop: Header=BB2_1629 Depth=2
	s_bcnt1_i32_b32 s61, s61
	s_delay_alu instid0(SALU_CYCLE_1)
	v_mov_b32_e32 v2, s61
	s_wait_loadcnt 0x0
	ds_add_u64 v0, v[2:3]
	s_trap 2
.LBB2_1677:                             ;   in Loop: Header=BB2_1629 Depth=2
	s_or_b32 exec_lo, exec_lo, s60
	s_trap 2
	ds_load_b64 v[96:97], v0
	s_wait_dscnt 0x0
	v_add_nc_u64_e32 v[12:13], v[12:13], v[32:33]
	s_mov_b32 s60, exec_lo
	s_delay_alu instid0(VALU_DEP_1)
	v_cmpx_lt_u64_e64 v[96:97], v[12:13]
	s_cbranch_execz .LBB2_1686
; %bb.1678:                             ;   in Loop: Header=BB2_1629 Depth=2
	s_mov_b32 s61, 0
	s_mov_b32 s72, 0
                                        ; implicit-def: $sgpr62
                                        ; implicit-def: $sgpr63
	s_branch .LBB2_1680
.LBB2_1679:                             ;   in Loop: Header=BB2_1680 Depth=3
	s_or_b32 exec_lo, exec_lo, s74
	s_delay_alu instid0(SALU_CYCLE_1) | instskip(NEXT) | instid1(SALU_CYCLE_1)
	s_and_b32 s73, exec_lo, s75
	s_or_b32 s61, s73, s61
	s_and_not1_b32 s62, s62, exec_lo
	s_and_b32 s73, s63, exec_lo
	s_delay_alu instid0(SALU_CYCLE_1)
	s_or_b32 s62, s62, s73
	s_and_not1_b32 exec_lo, exec_lo, s61
	s_cbranch_execz .LBB2_1684
.LBB2_1680:                             ;   Parent Loop BB2_47 Depth=1
                                        ;     Parent Loop BB2_1629 Depth=2
                                        ; =>    This Inner Loop Header: Depth=3
	s_add_co_i32 s72, s72, 1
	s_delay_alu instid0(SALU_CYCLE_1) | instskip(SKIP_1) | instid1(SALU_CYCLE_1)
	s_cmp_lg_u32 s72, 0x2710
	s_cselect_b32 s73, -1, 0
	s_and_b32 vcc_lo, exec_lo, s73
	s_cbranch_vccz .LBB2_1682
; %bb.1681:                             ;   in Loop: Header=BB2_1680 Depth=3
	s_mov_b32 s75, -1
	s_or_b32 s63, s63, exec_lo
	s_and_saveexec_b32 s74, s73
	s_cbranch_execz .LBB2_1679
	s_branch .LBB2_1683
.LBB2_1682:                             ;   in Loop: Header=BB2_1680 Depth=3
	s_trap 2
	ds_load_b64 v[96:97], v0
	s_and_not1_b32 s73, s73, exec_lo
	s_mov_b32 s72, 0
	s_wait_loadcnt_dscnt 0x0
	flat_load_b32 v2, v[96:97] scope:SCOPE_SYS
	s_wait_loadcnt_dscnt 0x0
	global_inv scope:SCOPE_SYS
	v_cmp_eq_u32_e32 vcc_lo, 0, v2
	s_and_b32 s74, vcc_lo, exec_lo
	s_delay_alu instid0(SALU_CYCLE_1)
	s_or_b32 s73, s73, s74
	s_mov_b32 s75, -1
	s_or_b32 s63, s63, exec_lo
	s_and_saveexec_b32 s74, s73
	s_cbranch_execz .LBB2_1679
.LBB2_1683:                             ;   in Loop: Header=BB2_1680 Depth=3
	s_sleep 1
	s_trap 2
	ds_load_b64 v[96:97], v0
	s_wait_dscnt 0x0
	s_and_not1_b32 s63, s63, exec_lo
	v_cmp_ge_u64_e32 vcc_lo, v[96:97], v[12:13]
	s_or_not1_b32 s75, vcc_lo, exec_lo
	s_branch .LBB2_1679
.LBB2_1684:                             ;   in Loop: Header=BB2_1629 Depth=2
	s_or_b32 exec_lo, exec_lo, s61
	s_and_saveexec_b32 s61, s62
	s_delay_alu instid0(SALU_CYCLE_1)
	s_xor_b32 s61, exec_lo, s61
	s_cbranch_execz .LBB2_1686
; %bb.1685:                             ;   in Loop: Header=BB2_1629 Depth=2
	ds_store_b32 v0, v59
	s_trap 2
.LBB2_1686:                             ;   in Loop: Header=BB2_1629 Depth=2
	s_or_b32 exec_lo, exec_lo, s60
	;;#ASMSTART
	s_wakeup
	;;#ASMEND
.LBB2_1687:                             ;   in Loop: Header=BB2_1629 Depth=2
	s_or_b32 exec_lo, exec_lo, s41
.LBB2_1688:                             ;   in Loop: Header=BB2_1629 Depth=2
	s_and_not1_saveexec_b32 s40, s40
	s_cbranch_execz .LBB2_1690
; %bb.1689:                             ;   in Loop: Header=BB2_1629 Depth=2
	global_wb scope:SCOPE_DEV
	s_wait_storecnt 0x0
	s_wait_loadcnt_dscnt 0x0
	global_inv scope:SCOPE_DEV
	s_barrier_signal -1
	s_barrier_wait -1
.LBB2_1690:                             ;   in Loop: Header=BB2_1629 Depth=2
	s_or_b32 exec_lo, exec_lo, s40
.LBB2_1691:                             ;   in Loop: Header=BB2_1629 Depth=2
	s_delay_alu instid0(SALU_CYCLE_1) | instskip(SKIP_3) | instid1(VALU_DEP_1)
	s_or_b32 exec_lo, exec_lo, s13
	s_trap 2
	ds_load_b64 v[96:97], v0
	v_sub_nc_u32_e32 v2, v114, v8
	v_min_i32_e32 v115, v115, v2
	s_wait_dscnt 0x0
	v_cmp_eq_u64_e32 vcc_lo, 0, v[96:97]
	s_cbranch_vccnz .LBB2_1699
; %bb.1692:                             ;   in Loop: Header=BB2_1629 Depth=2
	s_trap 2
	ds_load_b64 v[98:99], v0
	s_wait_dscnt 0x0
	v_cmp_eq_u64_e32 vcc_lo, 0, v[98:99]
	s_cbranch_vccnz .LBB2_1699
; %bb.1693:                             ;   in Loop: Header=BB2_1629 Depth=2
	s_mov_b32 s13, -1
	s_and_saveexec_b32 s40, s10
	s_cbranch_execz .LBB2_1695
; %bb.1694:                             ;   in Loop: Header=BB2_1629 Depth=2
	ds_load_b32 v2, v0 offset:720
	s_wait_dscnt 0x0
	v_and_b32_e32 v2, 15, v2
	s_delay_alu instid0(VALU_DEP_1)
	v_cmp_eq_u32_e32 vcc_lo, 0, v2
	s_or_not1_b32 s13, vcc_lo, exec_lo
.LBB2_1695:                             ;   in Loop: Header=BB2_1629 Depth=2
	s_or_b32 exec_lo, exec_lo, s40
	s_and_saveexec_b32 s40, s7
	s_cbranch_execz .LBB2_1697
; %bb.1696:                             ;   in Loop: Header=BB2_1629 Depth=2
	ds_load_b32 v2, v0 offset:784
	s_wait_dscnt 0x0
	v_and_b32_e32 v2, 15, v2
	s_delay_alu instid0(VALU_DEP_1) | instskip(SKIP_3) | instid1(SALU_CYCLE_1)
	v_cmp_eq_u32_e32 vcc_lo, 0, v2
	s_and_b32 s41, s13, vcc_lo
	s_and_not1_b32 s13, s13, exec_lo
	s_and_b32 s41, s41, exec_lo
	s_or_b32 s13, s13, s41
.LBB2_1697:                             ;   in Loop: Header=BB2_1629 Depth=2
	s_or_b32 exec_lo, exec_lo, s40
	v_cmp_eq_u32_e32 vcc_lo, 0, v9
	s_xor_b32 s13, s13, -1
	s_mov_b32 s41, -1
	v_cndmask_b32_e64 v100, 0, 1, s13
	v_dual_mov_b32 v116, 0 :: v_dual_cndmask_b32 v2, 0, v115, vcc_lo
	s_delay_alu instid0(VALU_DEP_2) | instskip(NEXT) | instid1(VALU_DEP_2)
	v_cmp_ne_u32_e32 vcc_lo, 0, v100
	v_lshlrev_b32_e32 v9, 1, v2
	s_cbranch_vccz .LBB2_1704
; %bb.1698:                             ;   in Loop: Header=BB2_1629 Depth=2
	v_mov_b32_e32 v117, v0
	s_and_saveexec_b32 s13, s41
	s_cbranch_execnz .LBB2_1715
	s_branch .LBB2_1723
.LBB2_1699:                             ;   in Loop: Header=BB2_1629 Depth=2
	s_mov_b32 s13, 0
	s_and_saveexec_b32 s40, s2
	s_cbranch_execnz .LBB2_1724
.LBB2_1700:                             ;   in Loop: Header=BB2_1629 Depth=2
	s_or_b32 exec_lo, exec_lo, s40
	s_and_saveexec_b32 s40, s12
	s_delay_alu instid0(SALU_CYCLE_1)
	s_xor_b32 s40, exec_lo, s40
	s_cbranch_execz .LBB2_1742
.LBB2_1701:                             ;   in Loop: Header=BB2_1629 Depth=2
	v_and_b32_e32 v2, 16, v30
	s_delay_alu instid0(VALU_DEP_1) | instskip(SKIP_1) | instid1(SALU_CYCLE_1)
	v_cmp_ne_u32_e32 vcc_lo, 0, v2
	s_and_b32 s41, vcc_lo, s13
	s_and_saveexec_b32 s13, s41
	s_cbranch_execz .LBB2_1703
; %bb.1702:                             ;   in Loop: Header=BB2_1629 Depth=2
	global_wb scope:SCOPE_SYS
	s_wait_storecnt 0x0
	s_wait_loadcnt_dscnt 0x0
	global_inv scope:SCOPE_SYS
.LBB2_1703:                             ;   in Loop: Header=BB2_1629 Depth=2
	s_or_b32 exec_lo, exec_lo, s13
	s_and_not1_saveexec_b32 s13, s40
	s_cbranch_execz .LBB2_1761
	s_branch .LBB2_1743
.LBB2_1704:                             ;   in Loop: Header=BB2_1629 Depth=2
	s_delay_alu instid0(VALU_DEP_1) | instskip(SKIP_1) | instid1(VALU_DEP_1)
	v_ashrrev_i32_e32 v100, 31, v9
	s_mov_b32 s13, exec_lo
	v_lshrrev_b32_e32 v100, 22, v100
	s_delay_alu instid0(VALU_DEP_1) | instskip(NEXT) | instid1(VALU_DEP_1)
	v_add_nc_u32_e32 v100, v9, v100
	v_ashrrev_i32_e32 v102, 10, v100
	s_delay_alu instid0(VALU_DEP_1) | instskip(NEXT) | instid1(VALU_DEP_1)
	v_sub_nc_u32_e32 v103, v102, v58
	v_cmpx_lt_i32_e32 0, v103
	s_cbranch_execz .LBB2_1708
; %bb.1705:                             ;   in Loop: Header=BB2_1629 Depth=2
	v_mov_b64_e32 v[100:101], v[66:67]
	s_mov_b32 s40, 0
.LBB2_1706:                             ;   Parent Loop BB2_47 Depth=1
                                        ;     Parent Loop BB2_1629 Depth=2
                                        ; =>    This Inner Loop Header: Depth=3
	s_delay_alu instid0(VALU_DEP_1)
	v_add_nc_u64_e32 v[112:113], v[96:97], v[100:101]
	v_sub_nc_u32_e32 v103, v103, v32
	s_clause 0x1
	global_load_b128 v[116:119], v[112:113], off th:TH_LOAD_NT
	global_load_b128 v[40:43], v[112:113], off offset:512 th:TH_LOAD_NT
	s_wait_xcnt 0x0
	v_add_nc_u64_e32 v[112:113], v[98:99], v[100:101]
	v_cmp_gt_i32_e32 vcc_lo, 1, v103
	v_add_nc_u64_e32 v[100:101], v[100:101], v[50:51]
	s_wait_loadcnt 0x1
	global_store_b128 v[112:113], v[116:119], off th:TH_STORE_NT
	s_wait_loadcnt 0x0
	global_store_b128 v[112:113], v[40:43], off offset:512 th:TH_STORE_NT
	s_or_b32 s40, vcc_lo, s40
	s_wait_xcnt 0x0
	s_and_not1_b32 exec_lo, exec_lo, s40
	s_cbranch_execnz .LBB2_1706
; %bb.1707:                             ;   in Loop: Header=BB2_1629 Depth=2
	s_or_b32 exec_lo, exec_lo, s40
.LBB2_1708:                             ;   in Loop: Header=BB2_1629 Depth=2
	s_delay_alu instid0(SALU_CYCLE_1) | instskip(SKIP_3) | instid1(VALU_DEP_1)
	s_or_b32 exec_lo, exec_lo, s13
	v_dual_lshlrev_b32 v102, 10, v102 :: v_dual_mov_b32 v116, 0
	s_mov_b32 s41, 0
	s_mov_b32 s40, exec_lo
                                        ; implicit-def: $vgpr117
	v_cmpx_ne_u32_e64 v9, v102
	s_cbranch_execz .LBB2_1714
; %bb.1709:                             ;   in Loop: Header=BB2_1629 Depth=2
	v_dual_lshlrev_b32 v100, 5, v103 :: v_dual_sub_nc_u32 v116, v9, v102
	s_mov_b32 s41, exec_lo
	s_delay_alu instid0(VALU_DEP_1) | instskip(NEXT) | instid1(VALU_DEP_2)
	v_sub_nc_u32_e32 v100, v57, v100
	v_ashrrev_i32_e32 v103, 31, v116
	s_delay_alu instid0(VALU_DEP_1) | instskip(NEXT) | instid1(VALU_DEP_1)
	v_dual_ashrrev_i32 v101, 31, v100 :: v_dual_lshrrev_b32 v103, 23, v103
	v_lshrrev_b32_e32 v101, 27, v101
	s_delay_alu instid0(VALU_DEP_1) | instskip(NEXT) | instid1(VALU_DEP_3)
	v_add_nc_u32_e32 v101, v100, v101
	v_add_nc_u32_e32 v117, v116, v103
	s_delay_alu instid0(VALU_DEP_2) | instskip(NEXT) | instid1(VALU_DEP_1)
	v_and_b32_e32 v112, 0xffffffe0, v101
	v_dual_ashrrev_i32 v101, 5, v101 :: v_dual_sub_nc_u32 v103, v100, v112
	s_delay_alu instid0(VALU_DEP_3) | instskip(NEXT) | instid1(VALU_DEP_2)
	v_and_b32_e32 v112, 0xfffffe00, v117
	v_dual_ashrrev_i32 v117, 9, v117 :: v_dual_lshlrev_b32 v100, 4, v103
	s_delay_alu instid0(VALU_DEP_2) | instskip(NEXT) | instid1(VALU_DEP_2)
	v_sub_nc_u32_e32 v113, v116, v112
	v_lshl_add_u32 v100, v101, 9, v100
	s_delay_alu instid0(VALU_DEP_2) | instskip(NEXT) | instid1(VALU_DEP_4)
	v_cmp_lt_i32_e32 vcc_lo, 15, v113
	v_add_co_ci_u32_e64 v118, null, 0, v117, vcc_lo
	s_delay_alu instid0(VALU_DEP_1) | instskip(NEXT) | instid1(VALU_DEP_1)
	v_dual_sub_nc_u32 v117, v116, v100 :: v_dual_sub_nc_u32 v116, v118, v101
	v_cmpx_lt_i32_e32 15, v117
	s_cbranch_execz .LBB2_1713
; %bb.1710:                             ;   in Loop: Header=BB2_1629 Depth=2
	v_add_nc_u32_e32 v100, v100, v102
	s_mov_b32 s60, 0
	s_delay_alu instid0(VALU_DEP_1)
	v_ashrrev_i32_e32 v101, 31, v100
.LBB2_1711:                             ;   Parent Loop BB2_47 Depth=1
                                        ;     Parent Loop BB2_1629 Depth=2
                                        ; =>    This Inner Loop Header: Depth=3
	s_delay_alu instid0(VALU_DEP_1) | instskip(SKIP_2) | instid1(VALU_DEP_2)
	v_add_nc_u64_e32 v[118:119], v[96:97], v[100:101]
	v_sub_nc_u32_e32 v117, v117, v52
	v_sub_nc_u32_e32 v116, v116, v32
	v_cmp_gt_i32_e64 s13, 16, v117
	global_load_b128 v[40:43], v[118:119], off th:TH_LOAD_NT
	s_wait_xcnt 0x0
	v_add_nc_u64_e32 v[118:119], v[98:99], v[100:101]
	v_add_nc_u64_e32 v[100:101], v[100:101], v[52:53]
	s_or_b32 s60, s13, s60
	s_wait_loadcnt 0x0
	global_store_b128 v[118:119], v[40:43], off th:TH_STORE_NT
	s_wait_xcnt 0x0
	s_and_not1_b32 exec_lo, exec_lo, s60
	s_cbranch_execnz .LBB2_1711
; %bb.1712:                             ;   in Loop: Header=BB2_1629 Depth=2
	s_or_b32 exec_lo, exec_lo, s60
.LBB2_1713:                             ;   in Loop: Header=BB2_1629 Depth=2
	s_delay_alu instid0(SALU_CYCLE_1) | instskip(NEXT) | instid1(VALU_DEP_2)
	s_or_b32 exec_lo, exec_lo, s41
	v_cmp_lt_i32_e64 s13, 0, v116
	s_delay_alu instid0(VALU_DEP_1) | instskip(NEXT) | instid1(VALU_DEP_1)
	v_dual_cndmask_b32 v101, 0, v32, s13 :: v_dual_bitop2_b32 v9, 14, v9 bitop3:0x40
	v_dual_cndmask_b32 v9, v113, v9 :: v_dual_sub_nc_u32 v100, v113, v9
	s_delay_alu instid0(VALU_DEP_2) | instskip(NEXT) | instid1(VALU_DEP_2)
	v_sub_nc_u32_e32 v101, v101, v116
	v_cndmask_b32_e32 v100, 0, v100, vcc_lo
	s_delay_alu instid0(VALU_DEP_3) | instskip(NEXT) | instid1(VALU_DEP_3)
	v_cmp_ne_u32_e32 vcc_lo, 0, v9
	v_lshl_add_u32 v117, v101, 5, v103
	s_delay_alu instid0(VALU_DEP_3)
	v_add3_u32 v116, v112, v102, v100
	s_and_b32 s41, vcc_lo, exec_lo
.LBB2_1714:                             ;   in Loop: Header=BB2_1629 Depth=2
	s_or_b32 exec_lo, exec_lo, s40
	s_and_saveexec_b32 s13, s41
	s_cbranch_execz .LBB2_1723
.LBB2_1715:                             ;   in Loop: Header=BB2_1629 Depth=2
	v_ashrrev_i32_e32 v101, 31, v9
	s_mov_b32 s40, exec_lo
	s_delay_alu instid0(VALU_DEP_1) | instskip(NEXT) | instid1(VALU_DEP_1)
	v_lshrrev_b32_e32 v101, 24, v101
	v_add_nc_u32_e32 v101, v9, v101
	s_delay_alu instid0(VALU_DEP_1) | instskip(SKIP_1) | instid1(VALU_DEP_1)
	v_ashrrev_i32_e32 v40, 8, v101
	v_ashrrev_i32_e32 v100, 31, v117
	v_lshrrev_b32_e32 v100, 27, v100
	s_delay_alu instid0(VALU_DEP_1) | instskip(NEXT) | instid1(VALU_DEP_1)
	v_add_nc_u32_e32 v100, v117, v100
	v_ashrrev_i32_e32 v118, 5, v100
	s_delay_alu instid0(VALU_DEP_1) | instskip(NEXT) | instid1(VALU_DEP_1)
	v_sub_nc_u32_e32 v119, v40, v118
	v_cmpx_lt_i32_e32 0, v119
	s_cbranch_execz .LBB2_1719
; %bb.1716:                             ;   in Loop: Header=BB2_1629 Depth=2
	v_and_b32_e32 v100, 0x7fffffe0, v100
	v_mov_b64_e32 v[102:103], v[98:99]
	v_mov_b64_e32 v[112:113], v[96:97]
	s_mov_b32 s41, 0
	s_delay_alu instid0(VALU_DEP_3) | instskip(NEXT) | instid1(VALU_DEP_1)
	v_dual_lshlrev_b32 v101, 8, v118 :: v_dual_sub_nc_u32 v100, v117, v100
	v_lshlrev_b32_e32 v100, 1, v100
	s_delay_alu instid0(VALU_DEP_1) | instskip(NEXT) | instid1(VALU_DEP_1)
	v_add3_u32 v100, v100, v116, v101
	v_ashrrev_i32_e32 v101, 31, v100
.LBB2_1717:                             ;   Parent Loop BB2_47 Depth=1
                                        ;     Parent Loop BB2_1629 Depth=2
                                        ; =>    This Inner Loop Header: Depth=3
	s_delay_alu instid0(VALU_DEP_1)
	v_add_nc_u64_e32 v[42:43], v[100:101], v[112:113]
	v_sub_nc_u32_e32 v119, v119, v32
	v_add_nc_u64_e32 v[112:113], v[112:113], v[54:55]
	s_clause 0x3
	flat_load_u16 v41, v[42:43] th:TH_LOAD_NT
	flat_load_u16 v44, v[42:43] offset:64 th:TH_LOAD_NT
	flat_load_u16 v45, v[42:43] offset:128 th:TH_LOAD_NT
	;; [unrolled: 1-line block ×3, first 2 shown]
	s_wait_xcnt 0x0
	v_add_nc_u64_e32 v[42:43], v[100:101], v[102:103]
	v_cmp_gt_i32_e32 vcc_lo, 1, v119
	v_add_nc_u64_e32 v[102:103], v[102:103], v[54:55]
	s_wait_loadcnt_dscnt 0x303
	flat_store_b16 v[42:43], v41 th:TH_STORE_NT
	s_wait_loadcnt_dscnt 0x203
	flat_store_b16 v[42:43], v44 offset:64 th:TH_STORE_NT
	s_wait_loadcnt_dscnt 0x103
	flat_store_b16 v[42:43], v45 offset:128 th:TH_STORE_NT
	s_wait_loadcnt_dscnt 0x3
	flat_store_b16 v[42:43], v46 offset:192 th:TH_STORE_NT
	s_or_b32 s41, vcc_lo, s41
	s_wait_xcnt 0x0
	s_and_not1_b32 exec_lo, exec_lo, s41
	s_cbranch_execnz .LBB2_1717
; %bb.1718:                             ;   in Loop: Header=BB2_1629 Depth=2
	s_or_b32 exec_lo, exec_lo, s41
.LBB2_1719:                             ;   in Loop: Header=BB2_1629 Depth=2
	s_delay_alu instid0(SALU_CYCLE_1) | instskip(SKIP_1) | instid1(VALU_DEP_1)
	s_or_b32 exec_lo, exec_lo, s40
	v_lshlrev_b32_e32 v100, 8, v40
	v_cmp_ne_u32_e32 vcc_lo, v9, v100
	s_and_b32 exec_lo, exec_lo, vcc_lo
	s_cbranch_execz .LBB2_1723
; %bb.1720:                             ;   in Loop: Header=BB2_1629 Depth=2
	v_dual_lshlrev_b32 v101, 5, v118 :: v_dual_lshlrev_b32 v102, 5, v119
	s_delay_alu instid0(VALU_DEP_1) | instskip(NEXT) | instid1(VALU_DEP_1)
	v_sub_nc_u32_e32 v101, v117, v101
	v_sub_nc_u32_e32 v101, v101, v102
	s_delay_alu instid0(VALU_DEP_1) | instskip(NEXT) | instid1(VALU_DEP_1)
	v_ashrrev_i32_e32 v102, 31, v101
	v_lshrrev_b32_e32 v102, 27, v102
	s_delay_alu instid0(VALU_DEP_1) | instskip(NEXT) | instid1(VALU_DEP_1)
	v_add_nc_u32_e32 v102, v101, v102
	v_and_b32_e32 v103, 0x7fffffe0, v102
	s_delay_alu instid0(VALU_DEP_1) | instskip(NEXT) | instid1(VALU_DEP_1)
	v_dual_lshlrev_b32 v102, 1, v102 :: v_dual_sub_nc_u32 v101, v101, v103
	v_and_b32_e32 v102, 0xffffffc0, v102
	s_delay_alu instid0(VALU_DEP_2) | instskip(NEXT) | instid1(VALU_DEP_1)
	v_lshlrev_b32_e32 v101, 1, v101
	v_add3_u32 v100, v102, v101, v100
	s_delay_alu instid0(VALU_DEP_1) | instskip(NEXT) | instid1(VALU_DEP_1)
	v_sub_nc_u32_e32 v9, v9, v100
	v_cmp_lt_i32_e32 vcc_lo, 1, v9
	s_and_b32 exec_lo, exec_lo, vcc_lo
	s_cbranch_execz .LBB2_1723
; %bb.1721:                             ;   in Loop: Header=BB2_1629 Depth=2
	v_add_nc_u32_e32 v100, v100, v116
	s_mov_b32 s40, 0
	s_delay_alu instid0(VALU_DEP_1)
	v_ashrrev_i32_e32 v101, 31, v100
.LBB2_1722:                             ;   Parent Loop BB2_47 Depth=1
                                        ;     Parent Loop BB2_1629 Depth=2
                                        ; =>    This Inner Loop Header: Depth=3
	s_delay_alu instid0(VALU_DEP_1) | instskip(SKIP_1) | instid1(VALU_DEP_1)
	v_add_nc_u64_e32 v[102:103], v[96:97], v[100:101]
	v_sub_nc_u32_e32 v9, v9, v64
	v_cmp_gt_i32_e32 vcc_lo, 2, v9
	flat_load_u16 v112, v[102:103] th:TH_LOAD_NT
	s_wait_xcnt 0x0
	v_add_nc_u64_e32 v[102:103], v[98:99], v[100:101]
	v_add_nc_u64_e32 v[100:101], v[100:101], v[64:65]
	s_or_b32 s40, vcc_lo, s40
	s_wait_loadcnt_dscnt 0x0
	flat_store_b16 v[102:103], v112 th:TH_STORE_NT
	s_wait_xcnt 0x0
	s_and_not1_b32 exec_lo, exec_lo, s40
	s_cbranch_execnz .LBB2_1722
.LBB2_1723:                             ;   in Loop: Header=BB2_1629 Depth=2
	s_or_b32 exec_lo, exec_lo, s13
	v_cmp_lt_i32_e64 s13, 0, v2
	s_and_saveexec_b32 s40, s2
	s_cbranch_execz .LBB2_1700
.LBB2_1724:                             ;   in Loop: Header=BB2_1629 Depth=2
	s_and_saveexec_b32 s41, s3
	s_delay_alu instid0(SALU_CYCLE_1)
	s_xor_b32 s41, exec_lo, s41
	s_cbranch_execz .LBB2_1739
; %bb.1725:                             ;   in Loop: Header=BB2_1629 Depth=2
	s_and_saveexec_b32 s60, s6
	s_cbranch_execz .LBB2_1738
; %bb.1726:                             ;   in Loop: Header=BB2_1629 Depth=2
	s_mov_b32 s62, exec_lo
	s_mov_b32 s61, exec_lo
	v_mbcnt_lo_u32_b32 v2, s62, 0
	global_wb scope:SCOPE_DEV
	s_wait_storecnt 0x0
	s_wait_loadcnt_dscnt 0x0
	global_inv scope:SCOPE_DEV
	v_cmpx_eq_u32_e32 0, v2
	s_cbranch_execz .LBB2_1728
; %bb.1727:                             ;   in Loop: Header=BB2_1629 Depth=2
	s_bcnt1_i32_b32 s62, s62
	s_delay_alu instid0(SALU_CYCLE_1)
	v_mov_b32_e32 v2, s62
	s_wait_loadcnt 0x0
	ds_add_u64 v0, v[2:3]
	s_trap 2
.LBB2_1728:                             ;   in Loop: Header=BB2_1629 Depth=2
	s_or_b32 exec_lo, exec_lo, s61
	s_trap 2
	ds_load_b64 v[96:97], v0
	s_wait_dscnt 0x0
	v_add_nc_u64_e32 v[12:13], v[12:13], v[32:33]
	s_mov_b32 s61, exec_lo
	s_delay_alu instid0(VALU_DEP_1)
	v_cmpx_lt_u64_e64 v[96:97], v[12:13]
	s_cbranch_execz .LBB2_1737
; %bb.1729:                             ;   in Loop: Header=BB2_1629 Depth=2
	s_mov_b32 s62, 0
	s_mov_b32 s73, 0
                                        ; implicit-def: $sgpr63
                                        ; implicit-def: $sgpr72
	s_branch .LBB2_1731
.LBB2_1730:                             ;   in Loop: Header=BB2_1731 Depth=3
	s_or_b32 exec_lo, exec_lo, s75
	s_delay_alu instid0(SALU_CYCLE_1) | instskip(NEXT) | instid1(SALU_CYCLE_1)
	s_and_b32 s74, exec_lo, s76
	s_or_b32 s62, s74, s62
	s_and_not1_b32 s63, s63, exec_lo
	s_and_b32 s74, s72, exec_lo
	s_delay_alu instid0(SALU_CYCLE_1)
	s_or_b32 s63, s63, s74
	s_and_not1_b32 exec_lo, exec_lo, s62
	s_cbranch_execz .LBB2_1735
.LBB2_1731:                             ;   Parent Loop BB2_47 Depth=1
                                        ;     Parent Loop BB2_1629 Depth=2
                                        ; =>    This Inner Loop Header: Depth=3
	s_add_co_i32 s73, s73, 1
	s_delay_alu instid0(SALU_CYCLE_1) | instskip(SKIP_1) | instid1(SALU_CYCLE_1)
	s_cmp_lg_u32 s73, 0x2710
	s_cselect_b32 s74, -1, 0
	s_and_b32 vcc_lo, exec_lo, s74
	s_cbranch_vccz .LBB2_1733
; %bb.1732:                             ;   in Loop: Header=BB2_1731 Depth=3
	s_mov_b32 s76, -1
	s_or_b32 s72, s72, exec_lo
	s_and_saveexec_b32 s75, s74
	s_cbranch_execz .LBB2_1730
	s_branch .LBB2_1734
.LBB2_1733:                             ;   in Loop: Header=BB2_1731 Depth=3
	s_trap 2
	ds_load_b64 v[96:97], v0
	s_and_not1_b32 s74, s74, exec_lo
	s_mov_b32 s73, 0
	s_wait_loadcnt_dscnt 0x0
	flat_load_b32 v2, v[96:97] scope:SCOPE_SYS
	s_wait_loadcnt_dscnt 0x0
	global_inv scope:SCOPE_SYS
	v_cmp_eq_u32_e32 vcc_lo, 0, v2
	s_and_b32 s75, vcc_lo, exec_lo
	s_delay_alu instid0(SALU_CYCLE_1)
	s_or_b32 s74, s74, s75
	s_mov_b32 s76, -1
	s_or_b32 s72, s72, exec_lo
	s_and_saveexec_b32 s75, s74
	s_cbranch_execz .LBB2_1730
.LBB2_1734:                             ;   in Loop: Header=BB2_1731 Depth=3
	s_sleep 1
	s_trap 2
	ds_load_b64 v[96:97], v0
	s_wait_dscnt 0x0
	s_and_not1_b32 s72, s72, exec_lo
	v_cmp_ge_u64_e32 vcc_lo, v[96:97], v[12:13]
	s_or_not1_b32 s76, vcc_lo, exec_lo
	s_branch .LBB2_1730
.LBB2_1735:                             ;   in Loop: Header=BB2_1629 Depth=2
	s_or_b32 exec_lo, exec_lo, s62
	s_and_saveexec_b32 s62, s63
	s_delay_alu instid0(SALU_CYCLE_1)
	s_xor_b32 s62, exec_lo, s62
	s_cbranch_execz .LBB2_1737
; %bb.1736:                             ;   in Loop: Header=BB2_1629 Depth=2
	ds_store_b32 v0, v59
	s_trap 2
.LBB2_1737:                             ;   in Loop: Header=BB2_1629 Depth=2
	s_or_b32 exec_lo, exec_lo, s61
	;;#ASMSTART
	s_wakeup
	;;#ASMEND
.LBB2_1738:                             ;   in Loop: Header=BB2_1629 Depth=2
	s_or_b32 exec_lo, exec_lo, s60
.LBB2_1739:                             ;   in Loop: Header=BB2_1629 Depth=2
	s_and_not1_saveexec_b32 s41, s41
	s_cbranch_execz .LBB2_1741
; %bb.1740:                             ;   in Loop: Header=BB2_1629 Depth=2
	global_wb scope:SCOPE_DEV
	s_wait_storecnt 0x0
	s_wait_loadcnt_dscnt 0x0
	global_inv scope:SCOPE_DEV
	s_barrier_signal -1
	s_barrier_wait -1
.LBB2_1741:                             ;   in Loop: Header=BB2_1629 Depth=2
	s_or_b32 exec_lo, exec_lo, s41
	s_delay_alu instid0(SALU_CYCLE_1) | instskip(SKIP_1) | instid1(SALU_CYCLE_1)
	s_or_b32 exec_lo, exec_lo, s40
	s_and_saveexec_b32 s40, s12
	s_xor_b32 s40, exec_lo, s40
	s_cbranch_execnz .LBB2_1701
.LBB2_1742:                             ;   in Loop: Header=BB2_1629 Depth=2
	s_and_not1_saveexec_b32 s13, s40
	s_cbranch_execz .LBB2_1761
.LBB2_1743:                             ;   in Loop: Header=BB2_1629 Depth=2
	s_and_saveexec_b32 s40, s3
	s_delay_alu instid0(SALU_CYCLE_1)
	s_xor_b32 s40, exec_lo, s40
	s_cbranch_execz .LBB2_1758
; %bb.1744:                             ;   in Loop: Header=BB2_1629 Depth=2
	s_and_saveexec_b32 s41, s6
	s_cbranch_execz .LBB2_1757
; %bb.1745:                             ;   in Loop: Header=BB2_1629 Depth=2
	s_mov_b32 s61, exec_lo
	s_mov_b32 s60, exec_lo
	v_mbcnt_lo_u32_b32 v2, s61, 0
	;;#ASMSTART
	s_waitcnt lgkmcnt(0) vmcnt(0)
	;;#ASMEND
	s_delay_alu instid0(VALU_DEP_1)
	v_cmpx_eq_u32_e32 0, v2
	s_cbranch_execz .LBB2_1747
; %bb.1746:                             ;   in Loop: Header=BB2_1629 Depth=2
	s_bcnt1_i32_b32 s61, s61
	s_delay_alu instid0(SALU_CYCLE_1)
	v_mov_b32_e32 v2, s61
	s_wait_storecnt 0x0
	s_wait_loadcnt_dscnt 0x0
	ds_add_u64 v0, v[2:3]
	s_trap 2
.LBB2_1747:                             ;   in Loop: Header=BB2_1629 Depth=2
	s_or_b32 exec_lo, exec_lo, s60
	s_trap 2
	ds_load_b64 v[96:97], v0
	s_wait_dscnt 0x0
	v_add_nc_u64_e32 v[12:13], v[12:13], v[32:33]
	s_mov_b32 s60, exec_lo
	s_delay_alu instid0(VALU_DEP_1)
	v_cmpx_lt_u64_e64 v[96:97], v[12:13]
	s_cbranch_execz .LBB2_1756
; %bb.1748:                             ;   in Loop: Header=BB2_1629 Depth=2
	s_mov_b32 s61, 0
	s_mov_b32 s72, 0
                                        ; implicit-def: $sgpr62
                                        ; implicit-def: $sgpr63
	s_branch .LBB2_1750
.LBB2_1749:                             ;   in Loop: Header=BB2_1750 Depth=3
	s_or_b32 exec_lo, exec_lo, s74
	s_delay_alu instid0(SALU_CYCLE_1) | instskip(NEXT) | instid1(SALU_CYCLE_1)
	s_and_b32 s73, exec_lo, s75
	s_or_b32 s61, s73, s61
	s_and_not1_b32 s62, s62, exec_lo
	s_and_b32 s73, s63, exec_lo
	s_delay_alu instid0(SALU_CYCLE_1)
	s_or_b32 s62, s62, s73
	s_and_not1_b32 exec_lo, exec_lo, s61
	s_cbranch_execz .LBB2_1754
.LBB2_1750:                             ;   Parent Loop BB2_47 Depth=1
                                        ;     Parent Loop BB2_1629 Depth=2
                                        ; =>    This Inner Loop Header: Depth=3
	s_add_co_i32 s72, s72, 1
	s_delay_alu instid0(SALU_CYCLE_1) | instskip(SKIP_1) | instid1(SALU_CYCLE_1)
	s_cmp_lg_u32 s72, 0x2710
	s_cselect_b32 s73, -1, 0
	s_and_b32 vcc_lo, exec_lo, s73
	s_cbranch_vccz .LBB2_1752
; %bb.1751:                             ;   in Loop: Header=BB2_1750 Depth=3
	s_mov_b32 s75, -1
	s_or_b32 s63, s63, exec_lo
	s_and_saveexec_b32 s74, s73
	s_cbranch_execz .LBB2_1749
	s_branch .LBB2_1753
.LBB2_1752:                             ;   in Loop: Header=BB2_1750 Depth=3
	s_trap 2
	ds_load_b64 v[96:97], v0
	s_and_not1_b32 s73, s73, exec_lo
	s_mov_b32 s72, 0
	s_wait_storecnt 0x0
	s_wait_loadcnt_dscnt 0x0
	flat_load_b32 v2, v[96:97] scope:SCOPE_SYS
	s_wait_loadcnt_dscnt 0x0
	global_inv scope:SCOPE_SYS
	v_cmp_eq_u32_e32 vcc_lo, 0, v2
	s_and_b32 s74, vcc_lo, exec_lo
	s_delay_alu instid0(SALU_CYCLE_1)
	s_or_b32 s73, s73, s74
	s_mov_b32 s75, -1
	s_or_b32 s63, s63, exec_lo
	s_and_saveexec_b32 s74, s73
	s_cbranch_execz .LBB2_1749
.LBB2_1753:                             ;   in Loop: Header=BB2_1750 Depth=3
	s_sleep 1
	s_trap 2
	ds_load_b64 v[96:97], v0
	s_wait_dscnt 0x0
	s_and_not1_b32 s63, s63, exec_lo
	v_cmp_ge_u64_e32 vcc_lo, v[96:97], v[12:13]
	s_or_not1_b32 s75, vcc_lo, exec_lo
	s_branch .LBB2_1749
.LBB2_1754:                             ;   in Loop: Header=BB2_1629 Depth=2
	s_or_b32 exec_lo, exec_lo, s61
	s_and_saveexec_b32 s61, s62
	s_delay_alu instid0(SALU_CYCLE_1)
	s_xor_b32 s61, exec_lo, s61
	s_cbranch_execz .LBB2_1756
; %bb.1755:                             ;   in Loop: Header=BB2_1629 Depth=2
	ds_store_b32 v0, v59
	s_trap 2
.LBB2_1756:                             ;   in Loop: Header=BB2_1629 Depth=2
	s_or_b32 exec_lo, exec_lo, s60
	;;#ASMSTART
	s_wakeup
	;;#ASMEND
.LBB2_1757:                             ;   in Loop: Header=BB2_1629 Depth=2
	s_or_b32 exec_lo, exec_lo, s41
.LBB2_1758:                             ;   in Loop: Header=BB2_1629 Depth=2
	s_and_not1_saveexec_b32 s40, s40
	s_cbranch_execz .LBB2_1760
; %bb.1759:                             ;   in Loop: Header=BB2_1629 Depth=2
	;;#ASMSTART
	s_waitcnt lgkmcnt(0) vmcnt(0)
	;;#ASMEND
	s_barrier_signal -1
	s_barrier_wait -1
.LBB2_1760:                             ;   in Loop: Header=BB2_1629 Depth=2
	s_or_b32 exec_lo, exec_lo, s40
.LBB2_1761:                             ;   in Loop: Header=BB2_1629 Depth=2
	s_delay_alu instid0(SALU_CYCLE_1) | instskip(SKIP_2) | instid1(VALU_DEP_1)
	s_or_b32 exec_lo, exec_lo, s13
	v_and_b32_e32 v2, 32, v30
	s_mov_b32 s13, exec_lo
	v_cmpx_ne_u32_e32 0, v2
	s_cbranch_execz .LBB2_1628
; %bb.1762:                             ;   in Loop: Header=BB2_1629 Depth=2
	v_add_nc_u64_e32 v[86:87], 2, v[86:87]
	global_wb scope:SCOPE_SYS
	s_wait_storecnt 0x0
	s_wait_loadcnt_dscnt 0x0
	flat_store_b64 v[20:21], v[86:87] scope:SCOPE_SYS
	s_branch .LBB2_1628
.LBB2_1763:                             ;   in Loop: Header=BB2_47 Depth=1
	s_or_b32 exec_lo, exec_lo, s15
.LBB2_1764:                             ;   in Loop: Header=BB2_47 Depth=1
	s_delay_alu instid0(SALU_CYCLE_1) | instskip(NEXT) | instid1(SALU_CYCLE_1)
	s_or_b32 exec_lo, exec_lo, s14
	s_mov_b32 s14, exec_lo
	v_cmpx_gt_i32_e32 2, v2
	s_cbranch_execz .LBB2_46
; %bb.1765:                             ;   in Loop: Header=BB2_47 Depth=1
	v_cmp_eq_u32_e64 s18, 0, v2
	s_mov_b32 s15, 0
	s_branch .LBB2_1767
.LBB2_1766:                             ;   in Loop: Header=BB2_1767 Depth=2
	s_wait_xcnt 0x0
	s_or_b32 exec_lo, exec_lo, s13
	v_add_nc_u32_e32 v8, v115, v8
	s_mov_b32 s18, 0
	s_and_not1_b32 exec_lo, exec_lo, s15
	s_cbranch_execz .LBB2_45
.LBB2_1767:                             ;   Parent Loop BB2_47 Depth=1
                                        ; =>  This Loop Header: Depth=2
                                        ;       Child Loop BB2_1773 Depth 3
                                        ;       Child Loop BB2_1797 Depth 3
	;; [unrolled: 1-line block ×3, first 2 shown]
	v_and_b32_e32 v2, 4, v30
	s_mov_b32 s27, exec_lo
	s_delay_alu instid0(VALU_DEP_1)
	v_cmpx_ne_u32_e32 0, v2
	s_cbranch_execz .LBB2_1789
; %bb.1768:                             ;   in Loop: Header=BB2_1767 Depth=2
	v_add_nc_u64_e32 v[10:11], 2, v[86:87]
	s_mov_b32 s40, exec_lo
	s_wait_loadcnt_dscnt 0x1
	s_delay_alu instid0(VALU_DEP_1)
	v_cmpx_lt_u64_e64 v[28:29], v[10:11]
	s_cbranch_execz .LBB2_1780
; %bb.1769:                             ;   in Loop: Header=BB2_1767 Depth=2
	v_and_b32_e32 v2, 64, v30
	s_mov_b32 s41, 0
	s_mov_b32 s63, 0
                                        ; implicit-def: $sgpr60
                                        ; implicit-def: $sgpr61
                                        ; implicit-def: $sgpr62
	s_delay_alu instid0(VALU_DEP_1)
	v_cmp_eq_u32_e32 vcc_lo, 0, v2
	s_branch .LBB2_1773
.LBB2_1770:                             ;   in Loop: Header=BB2_1773 Depth=3
	s_wait_loadcnt_dscnt 0x0
	v_cmp_ge_u64_e64 s13, v[28:29], v[10:11]
	s_or_b32 s74, s74, exec_lo
	s_or_not1_b32 s73, s13, exec_lo
.LBB2_1771:                             ;   in Loop: Header=BB2_1773 Depth=3
	s_or_b32 exec_lo, exec_lo, s76
	s_delay_alu instid0(SALU_CYCLE_1)
	s_and_not1_b32 s13, s62, exec_lo
	s_and_b32 s62, s74, exec_lo
	s_and_not1_b32 s61, s61, exec_lo
	s_and_b32 s73, s73, exec_lo
	s_or_b32 s62, s13, s62
	s_or_b32 s61, s61, s73
.LBB2_1772:                             ;   in Loop: Header=BB2_1773 Depth=3
	s_or_b32 exec_lo, exec_lo, s72
	s_delay_alu instid0(SALU_CYCLE_1) | instskip(NEXT) | instid1(SALU_CYCLE_1)
	s_and_b32 s13, exec_lo, s61
	s_or_b32 s41, s13, s41
	s_and_not1_b32 s13, s60, exec_lo
	s_and_b32 s60, s62, exec_lo
	s_delay_alu instid0(SALU_CYCLE_1)
	s_or_b32 s60, s13, s60
	s_and_not1_b32 exec_lo, exec_lo, s41
	s_cbranch_execz .LBB2_1777
.LBB2_1773:                             ;   Parent Loop BB2_47 Depth=1
                                        ;     Parent Loop BB2_1767 Depth=2
                                        ; =>    This Inner Loop Header: Depth=3
	s_sleep 1
	s_wait_loadcnt_dscnt 0x0
	flat_load_b64 v[28:29], v[20:21] scope:SCOPE_SYS
	s_or_b32 s62, s62, exec_lo
	s_or_b32 s61, s61, exec_lo
                                        ; implicit-def: $vgpr2
	s_wait_xcnt 0x0
	s_and_saveexec_b32 s72, vcc_lo
	s_cbranch_execz .LBB2_1772
; %bb.1774:                             ;   in Loop: Header=BB2_1773 Depth=3
	s_cmp_lt_i32 s63, 0x270f
	s_mov_b32 s73, -1
	s_cselect_b32 s75, -1, 0
	s_cmp_gt_i32 s63, 0x270e
	s_cbranch_scc0 .LBB2_1776
; %bb.1775:                             ;   in Loop: Header=BB2_1773 Depth=3
	s_trap 2
	ds_load_b64 v[96:97], v0
	s_and_not1_b32 s63, s75, exec_lo
	s_mov_b32 s74, 0
	s_wait_storecnt 0x0
	s_wait_loadcnt_dscnt 0x0
	flat_load_b32 v2, v[96:97] scope:SCOPE_SYS
	s_wait_loadcnt_dscnt 0x0
	global_inv scope:SCOPE_SYS
	v_cmp_eq_u32_e64 s13, 0, v2
	s_and_b32 s13, s13, exec_lo
	s_delay_alu instid0(SALU_CYCLE_1)
	s_or_b32 s75, s63, s13
	s_mov_b32 s63, 0
	s_and_saveexec_b32 s76, s75
	s_cbranch_execz .LBB2_1771
	s_branch .LBB2_1770
.LBB2_1776:                             ;   in Loop: Header=BB2_1773 Depth=3
	s_add_co_i32 s63, s63, 1
	s_mov_b32 s74, -1
                                        ; implicit-def: $vgpr2
	s_and_saveexec_b32 s76, s75
	s_cbranch_execz .LBB2_1771
	s_branch .LBB2_1770
.LBB2_1777:                             ;   in Loop: Header=BB2_1767 Depth=2
	s_or_b32 exec_lo, exec_lo, s41
	s_xor_b32 s13, s60, -1
	s_delay_alu instid0(SALU_CYCLE_1) | instskip(NEXT) | instid1(SALU_CYCLE_1)
	s_and_saveexec_b32 s41, s13
	s_xor_b32 s13, exec_lo, s41
	s_cbranch_execz .LBB2_1779
; %bb.1778:                             ;   in Loop: Header=BB2_1767 Depth=2
	v_or_b32_e32 v30, 64, v30
	s_wait_storecnt 0x0
	s_wait_loadcnt_dscnt 0x0
	ds_store_b32 v0, v2
	s_trap 2
.LBB2_1779:                             ;   in Loop: Header=BB2_1767 Depth=2
	s_or_b32 exec_lo, exec_lo, s13
.LBB2_1780:                             ;   in Loop: Header=BB2_1767 Depth=2
	s_delay_alu instid0(SALU_CYCLE_1) | instskip(SKIP_3) | instid1(VALU_DEP_1)
	s_or_b32 exec_lo, exec_lo, s40
	v_and_b32_e32 v2, 0x100, v30
	s_mov_b32 s13, -1
	;;#ASMSTART
	s_wakeup
	;;#ASMEND
	v_cmp_ne_u32_e32 vcc_lo, 0, v2
	v_and_b32_e32 v2, 7, v86
                                        ; implicit-def: $vgpr86_vgpr87
	s_and_saveexec_b32 s40, vcc_lo
	s_cbranch_execz .LBB2_1784
; %bb.1781:                             ;   in Loop: Header=BB2_1767 Depth=2
	s_delay_alu instid0(VALU_DEP_1)
	v_mad_nc_u64_u32 v[96:97], v2, 24, v[6:7]
	s_mov_b32 s41, exec_lo
                                        ; implicit-def: $vgpr86_vgpr87
	flat_load_b32 v9, v[96:97]
	s_wait_loadcnt_dscnt 0x0
	v_cmp_ne_u32_e32 vcc_lo, 1, v9
	s_wait_xcnt 0x0
	v_cmpx_eq_u32_e32 1, v9
	s_cbranch_execz .LBB2_1783
; %bb.1782:                             ;   in Loop: Header=BB2_1767 Depth=2
	flat_load_b32 v86, v[96:97] offset:4 scope:SCOPE_SYS
	s_wait_loadcnt_dscnt 0x0
	v_ashrrev_i32_e32 v87, 31, v86
	s_delay_alu instid0(VALU_DEP_1)
	v_lshrrev_b64 v[86:87], 1, v[86:87]
.LBB2_1783:                             ;   in Loop: Header=BB2_1767 Depth=2
	s_wait_xcnt 0x0
	s_or_b32 exec_lo, exec_lo, s41
	s_delay_alu instid0(SALU_CYCLE_1)
	s_or_not1_b32 s13, vcc_lo, exec_lo
.LBB2_1784:                             ;   in Loop: Header=BB2_1767 Depth=2
	s_or_b32 exec_lo, exec_lo, s40
	s_and_saveexec_b32 s40, s13
; %bb.1785:                             ;   in Loop: Header=BB2_1767 Depth=2
	v_mul_u64_e32 v[86:87], v[2:3], v[22:23]
; %bb.1786:                             ;   in Loop: Header=BB2_1767 Depth=2
	s_or_b32 exec_lo, exec_lo, s40
	v_and_b32_e32 v2, 0x2000, v30
	s_delay_alu instid0(VALU_DEP_2)
	v_lshl_add_u64 v[86:87], v[86:87], 1, v[24:25]
	s_mov_b32 s13, exec_lo
	ds_store_b64 v0, v[86:87] offset:720
	v_cmpx_ne_u32_e32 0, v2
	s_cbranch_execz .LBB2_1788
; %bb.1787:                             ;   in Loop: Header=BB2_1767 Depth=2
	ds_load_b64 v[86:87], v0 offset:872
	s_wait_dscnt 0x0
	v_add_nc_u64_e32 v[86:87], 1, v[86:87]
	ds_store_b64 v0, v[86:87] offset:872
.LBB2_1788:                             ;   in Loop: Header=BB2_1767 Depth=2
	s_or_b32 exec_lo, exec_lo, s13
	v_mov_b64_e32 v[86:87], v[10:11]
.LBB2_1789:                             ;   in Loop: Header=BB2_1767 Depth=2
	s_or_b32 exec_lo, exec_lo, s27
	s_xor_b32 s13, s18, -1
	s_delay_alu instid0(SALU_CYCLE_1) | instskip(NEXT) | instid1(SALU_CYCLE_1)
	s_and_b32 s13, exec_lo, s13
	s_or_b32 s15, s13, s15
	s_and_saveexec_b32 s13, s2
	s_cbranch_execz .LBB2_1808
; %bb.1790:                             ;   in Loop: Header=BB2_1767 Depth=2
	s_and_saveexec_b32 s18, s3
	s_delay_alu instid0(SALU_CYCLE_1)
	s_xor_b32 s18, exec_lo, s18
	s_cbranch_execz .LBB2_1805
; %bb.1791:                             ;   in Loop: Header=BB2_1767 Depth=2
	s_and_saveexec_b32 s27, s6
	s_cbranch_execz .LBB2_1804
; %bb.1792:                             ;   in Loop: Header=BB2_1767 Depth=2
	s_mov_b32 s41, exec_lo
	s_mov_b32 s40, exec_lo
	v_mbcnt_lo_u32_b32 v2, s41, 0
	global_wb scope:SCOPE_DEV
	s_wait_storecnt 0x0
	s_wait_loadcnt_dscnt 0x0
	global_inv scope:SCOPE_DEV
	v_cmpx_eq_u32_e32 0, v2
	s_cbranch_execz .LBB2_1794
; %bb.1793:                             ;   in Loop: Header=BB2_1767 Depth=2
	s_bcnt1_i32_b32 s41, s41
	s_delay_alu instid0(SALU_CYCLE_1)
	v_mov_b32_e32 v2, s41
	s_wait_loadcnt 0x0
	ds_add_u64 v0, v[2:3]
	s_trap 2
.LBB2_1794:                             ;   in Loop: Header=BB2_1767 Depth=2
	s_or_b32 exec_lo, exec_lo, s40
	s_trap 2
	ds_load_b64 v[10:11], v0
	s_wait_dscnt 0x0
	v_add_nc_u64_e32 v[12:13], v[12:13], v[32:33]
	s_mov_b32 s40, exec_lo
	s_delay_alu instid0(VALU_DEP_1)
	v_cmpx_lt_u64_e64 v[10:11], v[12:13]
	s_cbranch_execz .LBB2_1803
; %bb.1795:                             ;   in Loop: Header=BB2_1767 Depth=2
	s_mov_b32 s41, 0
	s_mov_b32 s62, 0
                                        ; implicit-def: $sgpr60
                                        ; implicit-def: $sgpr61
	s_branch .LBB2_1797
.LBB2_1796:                             ;   in Loop: Header=BB2_1797 Depth=3
	s_or_b32 exec_lo, exec_lo, s72
	s_delay_alu instid0(SALU_CYCLE_1) | instskip(NEXT) | instid1(SALU_CYCLE_1)
	s_and_b32 s63, exec_lo, s73
	s_or_b32 s41, s63, s41
	s_and_not1_b32 s60, s60, exec_lo
	s_and_b32 s63, s61, exec_lo
	s_delay_alu instid0(SALU_CYCLE_1)
	s_or_b32 s60, s60, s63
	s_and_not1_b32 exec_lo, exec_lo, s41
	s_cbranch_execz .LBB2_1801
.LBB2_1797:                             ;   Parent Loop BB2_47 Depth=1
                                        ;     Parent Loop BB2_1767 Depth=2
                                        ; =>    This Inner Loop Header: Depth=3
	s_add_co_i32 s62, s62, 1
	s_delay_alu instid0(SALU_CYCLE_1) | instskip(SKIP_1) | instid1(SALU_CYCLE_1)
	s_cmp_lg_u32 s62, 0x2710
	s_cselect_b32 s63, -1, 0
	s_and_b32 vcc_lo, exec_lo, s63
	s_cbranch_vccz .LBB2_1799
; %bb.1798:                             ;   in Loop: Header=BB2_1797 Depth=3
	s_mov_b32 s73, -1
	s_or_b32 s61, s61, exec_lo
	s_and_saveexec_b32 s72, s63
	s_cbranch_execz .LBB2_1796
	s_branch .LBB2_1800
.LBB2_1799:                             ;   in Loop: Header=BB2_1797 Depth=3
	s_trap 2
	ds_load_b64 v[10:11], v0
	s_and_not1_b32 s63, s63, exec_lo
	s_mov_b32 s62, 0
	s_wait_loadcnt_dscnt 0x0
	flat_load_b32 v2, v[10:11] scope:SCOPE_SYS
	s_wait_loadcnt_dscnt 0x0
	global_inv scope:SCOPE_SYS
	v_cmp_eq_u32_e32 vcc_lo, 0, v2
	s_and_b32 s72, vcc_lo, exec_lo
	s_delay_alu instid0(SALU_CYCLE_1)
	s_or_b32 s63, s63, s72
	s_mov_b32 s73, -1
	s_or_b32 s61, s61, exec_lo
	s_and_saveexec_b32 s72, s63
	s_cbranch_execz .LBB2_1796
.LBB2_1800:                             ;   in Loop: Header=BB2_1797 Depth=3
	s_sleep 1
	s_trap 2
	ds_load_b64 v[10:11], v0
	s_wait_dscnt 0x0
	s_and_not1_b32 s61, s61, exec_lo
	v_cmp_ge_u64_e32 vcc_lo, v[10:11], v[12:13]
	s_or_not1_b32 s73, vcc_lo, exec_lo
	s_branch .LBB2_1796
.LBB2_1801:                             ;   in Loop: Header=BB2_1767 Depth=2
	s_or_b32 exec_lo, exec_lo, s41
	s_and_saveexec_b32 s41, s60
	s_delay_alu instid0(SALU_CYCLE_1)
	s_xor_b32 s41, exec_lo, s41
	s_cbranch_execz .LBB2_1803
; %bb.1802:                             ;   in Loop: Header=BB2_1767 Depth=2
	ds_store_b32 v0, v59
	s_trap 2
.LBB2_1803:                             ;   in Loop: Header=BB2_1767 Depth=2
	s_or_b32 exec_lo, exec_lo, s40
	;;#ASMSTART
	s_wakeup
	;;#ASMEND
.LBB2_1804:                             ;   in Loop: Header=BB2_1767 Depth=2
	s_or_b32 exec_lo, exec_lo, s27
.LBB2_1805:                             ;   in Loop: Header=BB2_1767 Depth=2
	s_and_not1_saveexec_b32 s18, s18
	s_cbranch_execz .LBB2_1807
; %bb.1806:                             ;   in Loop: Header=BB2_1767 Depth=2
	global_wb scope:SCOPE_DEV
	s_wait_storecnt 0x0
	s_wait_loadcnt_dscnt 0x0
	global_inv scope:SCOPE_DEV
	s_barrier_signal -1
	s_barrier_wait -1
.LBB2_1807:                             ;   in Loop: Header=BB2_1767 Depth=2
	s_or_b32 exec_lo, exec_lo, s18
.LBB2_1808:                             ;   in Loop: Header=BB2_1767 Depth=2
	s_delay_alu instid0(SALU_CYCLE_1) | instskip(SKIP_1) | instid1(VALU_DEP_1)
	s_or_b32 exec_lo, exec_lo, s13
	v_sub_nc_u32_e32 v2, v114, v8
	v_min_i32_e32 v115, v115, v2
	s_and_saveexec_b32 s13, s12
	s_delay_alu instid0(SALU_CYCLE_1)
	s_xor_b32 s18, exec_lo, s13
	s_cbranch_execz .LBB2_1812
; %bb.1809:                             ;   in Loop: Header=BB2_1767 Depth=2
	s_trap 2
	ds_load_b32 v2, v0
	v_cmp_lt_i32_e32 vcc_lo, 0, v115
	s_wait_dscnt 0x0
	v_readfirstlane_b32 s13, v2
	v_and_b32_e32 v2, 16, v30
	s_cmp_eq_u32 s13, 0
	s_delay_alu instid0(VALU_DEP_1) | instskip(SKIP_1) | instid1(SALU_CYCLE_1)
	v_cmp_ne_u32_e64 s13, 0, v2
	s_cselect_b32 s27, -1, 0
	s_and_b32 s27, vcc_lo, s27
	s_delay_alu instid0(SALU_CYCLE_1) | instskip(NEXT) | instid1(SALU_CYCLE_1)
	s_and_b32 s27, s13, s27
	s_and_saveexec_b32 s13, s27
	s_cbranch_execz .LBB2_1811
; %bb.1810:                             ;   in Loop: Header=BB2_1767 Depth=2
	global_wb scope:SCOPE_SYS
	s_wait_loadcnt 0x0
	s_wait_storecnt 0x0
	global_inv scope:SCOPE_SYS
.LBB2_1811:                             ;   in Loop: Header=BB2_1767 Depth=2
	s_or_b32 exec_lo, exec_lo, s13
.LBB2_1812:                             ;   in Loop: Header=BB2_1767 Depth=2
	s_and_not1_saveexec_b32 s13, s18
	s_cbranch_execz .LBB2_1831
; %bb.1813:                             ;   in Loop: Header=BB2_1767 Depth=2
	s_and_saveexec_b32 s18, s3
	s_delay_alu instid0(SALU_CYCLE_1)
	s_xor_b32 s18, exec_lo, s18
	s_cbranch_execz .LBB2_1828
; %bb.1814:                             ;   in Loop: Header=BB2_1767 Depth=2
	s_and_saveexec_b32 s27, s6
	s_cbranch_execz .LBB2_1827
; %bb.1815:                             ;   in Loop: Header=BB2_1767 Depth=2
	s_mov_b32 s41, exec_lo
	s_mov_b32 s40, exec_lo
	v_mbcnt_lo_u32_b32 v2, s41, 0
	;;#ASMSTART
	s_waitcnt lgkmcnt(0) vmcnt(0)
	;;#ASMEND
	s_delay_alu instid0(VALU_DEP_1)
	v_cmpx_eq_u32_e32 0, v2
	s_cbranch_execz .LBB2_1817
; %bb.1816:                             ;   in Loop: Header=BB2_1767 Depth=2
	s_bcnt1_i32_b32 s41, s41
	s_delay_alu instid0(SALU_CYCLE_1)
	v_mov_b32_e32 v2, s41
	s_wait_storecnt 0x0
	s_wait_loadcnt_dscnt 0x0
	ds_add_u64 v0, v[2:3]
	s_trap 2
.LBB2_1817:                             ;   in Loop: Header=BB2_1767 Depth=2
	s_or_b32 exec_lo, exec_lo, s40
	s_trap 2
	ds_load_b64 v[10:11], v0
	s_wait_dscnt 0x0
	v_add_nc_u64_e32 v[12:13], v[12:13], v[32:33]
	s_mov_b32 s40, exec_lo
	s_delay_alu instid0(VALU_DEP_1)
	v_cmpx_lt_u64_e64 v[10:11], v[12:13]
	s_cbranch_execz .LBB2_1826
; %bb.1818:                             ;   in Loop: Header=BB2_1767 Depth=2
	s_mov_b32 s41, 0
	s_mov_b32 s62, 0
                                        ; implicit-def: $sgpr60
                                        ; implicit-def: $sgpr61
	s_branch .LBB2_1820
.LBB2_1819:                             ;   in Loop: Header=BB2_1820 Depth=3
	s_or_b32 exec_lo, exec_lo, s72
	s_delay_alu instid0(SALU_CYCLE_1) | instskip(NEXT) | instid1(SALU_CYCLE_1)
	s_and_b32 s63, exec_lo, s73
	s_or_b32 s41, s63, s41
	s_and_not1_b32 s60, s60, exec_lo
	s_and_b32 s63, s61, exec_lo
	s_delay_alu instid0(SALU_CYCLE_1)
	s_or_b32 s60, s60, s63
	s_and_not1_b32 exec_lo, exec_lo, s41
	s_cbranch_execz .LBB2_1824
.LBB2_1820:                             ;   Parent Loop BB2_47 Depth=1
                                        ;     Parent Loop BB2_1767 Depth=2
                                        ; =>    This Inner Loop Header: Depth=3
	s_add_co_i32 s62, s62, 1
	s_delay_alu instid0(SALU_CYCLE_1) | instskip(SKIP_1) | instid1(SALU_CYCLE_1)
	s_cmp_lg_u32 s62, 0x2710
	s_cselect_b32 s63, -1, 0
	s_and_b32 vcc_lo, exec_lo, s63
	s_cbranch_vccz .LBB2_1822
; %bb.1821:                             ;   in Loop: Header=BB2_1820 Depth=3
	s_mov_b32 s73, -1
	s_or_b32 s61, s61, exec_lo
	s_and_saveexec_b32 s72, s63
	s_cbranch_execz .LBB2_1819
	s_branch .LBB2_1823
.LBB2_1822:                             ;   in Loop: Header=BB2_1820 Depth=3
	s_trap 2
	ds_load_b64 v[10:11], v0
	s_and_not1_b32 s63, s63, exec_lo
	s_mov_b32 s62, 0
	s_wait_storecnt 0x0
	s_wait_loadcnt_dscnt 0x0
	flat_load_b32 v2, v[10:11] scope:SCOPE_SYS
	s_wait_loadcnt_dscnt 0x0
	global_inv scope:SCOPE_SYS
	v_cmp_eq_u32_e32 vcc_lo, 0, v2
	s_and_b32 s72, vcc_lo, exec_lo
	s_delay_alu instid0(SALU_CYCLE_1)
	s_or_b32 s63, s63, s72
	s_mov_b32 s73, -1
	s_or_b32 s61, s61, exec_lo
	s_and_saveexec_b32 s72, s63
	s_cbranch_execz .LBB2_1819
.LBB2_1823:                             ;   in Loop: Header=BB2_1820 Depth=3
	s_sleep 1
	s_trap 2
	ds_load_b64 v[10:11], v0
	s_wait_dscnt 0x0
	s_and_not1_b32 s61, s61, exec_lo
	v_cmp_ge_u64_e32 vcc_lo, v[10:11], v[12:13]
	s_or_not1_b32 s73, vcc_lo, exec_lo
	s_branch .LBB2_1819
.LBB2_1824:                             ;   in Loop: Header=BB2_1767 Depth=2
	s_or_b32 exec_lo, exec_lo, s41
	s_and_saveexec_b32 s41, s60
	s_delay_alu instid0(SALU_CYCLE_1)
	s_xor_b32 s41, exec_lo, s41
	s_cbranch_execz .LBB2_1826
; %bb.1825:                             ;   in Loop: Header=BB2_1767 Depth=2
	ds_store_b32 v0, v59
	s_trap 2
.LBB2_1826:                             ;   in Loop: Header=BB2_1767 Depth=2
	s_or_b32 exec_lo, exec_lo, s40
	;;#ASMSTART
	s_wakeup
	;;#ASMEND
.LBB2_1827:                             ;   in Loop: Header=BB2_1767 Depth=2
	s_or_b32 exec_lo, exec_lo, s27
.LBB2_1828:                             ;   in Loop: Header=BB2_1767 Depth=2
	s_and_not1_saveexec_b32 s18, s18
	s_cbranch_execz .LBB2_1830
; %bb.1829:                             ;   in Loop: Header=BB2_1767 Depth=2
	;;#ASMSTART
	s_waitcnt lgkmcnt(0) vmcnt(0)
	;;#ASMEND
	s_barrier_signal -1
	s_barrier_wait -1
.LBB2_1830:                             ;   in Loop: Header=BB2_1767 Depth=2
	s_or_b32 exec_lo, exec_lo, s18
.LBB2_1831:                             ;   in Loop: Header=BB2_1767 Depth=2
	s_delay_alu instid0(SALU_CYCLE_1) | instskip(SKIP_2) | instid1(VALU_DEP_1)
	s_or_b32 exec_lo, exec_lo, s13
	v_and_b32_e32 v2, 32, v30
	s_mov_b32 s13, exec_lo
	v_cmpx_ne_u32_e32 0, v2
	s_cbranch_execz .LBB2_1766
; %bb.1832:                             ;   in Loop: Header=BB2_1767 Depth=2
	v_add_nc_u64_e32 v[86:87], 2, v[86:87]
	global_wb scope:SCOPE_SYS
	s_wait_storecnt 0x0
	s_wait_loadcnt_dscnt 0x0
	flat_store_b64 v[20:21], v[86:87] scope:SCOPE_SYS
	s_branch .LBB2_1766
.LBB2_1833:
	s_or_b32 exec_lo, exec_lo, s59
.LBB2_1834:
	s_delay_alu instid0(SALU_CYCLE_1) | instskip(SKIP_2) | instid1(VALU_DEP_1)
	s_or_b32 exec_lo, exec_lo, s43
	v_and_b32_e32 v0, 0x800, v30
	s_mov_b32 s1, exec_lo
	v_cmpx_eq_u32_e32 0, v0
	s_cbranch_execz .LBB2_1867
; %bb.1835:
	v_and_b32_e32 v0, 48, v30
	s_mov_b32 s0, exec_lo
	s_delay_alu instid0(VALU_DEP_1)
	v_cmpx_ne_u32_e32 0, v0
	s_cbranch_execz .LBB2_1837
; %bb.1836:
	flat_store_b64 v[18:19], v[86:87] offset:104
.LBB2_1837:
	s_wait_xcnt 0x0
	s_or_b32 exec_lo, exec_lo, s0
	v_and_b32_e32 v0, 0x88, v30
	s_mov_b32 s2, exec_lo
	s_delay_alu instid0(VALU_DEP_1)
	v_cmpx_eq_u32_e32 0x88, v0
	s_cbranch_execz .LBB2_1847
; %bb.1838:
	v_add_nc_u32_e32 v0, 6, v86
	s_mov_b32 s3, 0
	s_delay_alu instid0(VALU_DEP_1) | instskip(NEXT) | instid1(VALU_DEP_1)
	v_and_b32_e32 v0, 7, v0
	v_mad_nc_u64_u32 v[2:3], v0, 24, v[6:7]
	v_and_b32_e32 v0, 64, v30
	s_delay_alu instid0(VALU_DEP_1)
	v_cmp_eq_u32_e64 s0, 0, v0
	flat_load_b64 v[4:5], v[2:3] offset:8 scope:SCOPE_SYS
	s_wait_loadcnt_dscnt 0x0
	v_cmp_ne_u64_e32 vcc_lo, -1, v[4:5]
	s_and_b32 s0, vcc_lo, s0
	s_wait_xcnt 0x0
	s_and_b32 exec_lo, exec_lo, s0
	s_cbranch_execz .LBB2_1847
; %bb.1839:
	s_mov_b32 s5, 0
                                        ; implicit-def: $sgpr0
                                        ; implicit-def: $sgpr4
	s_branch .LBB2_1842
.LBB2_1840:                             ;   in Loop: Header=BB2_1842 Depth=1
	flat_load_b64 v[4:5], v[2:3] offset:8 scope:SCOPE_SYS
	s_wait_loadcnt 0x0
	s_and_not1_b32 s4, s4, exec_lo
	s_wait_dscnt 0x0
	v_cmp_eq_u64_e32 vcc_lo, -1, v[4:5]
	s_or_not1_b32 s7, vcc_lo, exec_lo
.LBB2_1841:                             ;   in Loop: Header=BB2_1842 Depth=1
	s_wait_xcnt 0x0
	s_or_b32 exec_lo, exec_lo, s10
	s_delay_alu instid0(SALU_CYCLE_1) | instskip(NEXT) | instid1(SALU_CYCLE_1)
	s_and_b32 s6, exec_lo, s7
	s_or_b32 s3, s6, s3
	s_and_not1_b32 s0, s0, exec_lo
	s_and_b32 s6, s4, exec_lo
	s_delay_alu instid0(SALU_CYCLE_1)
	s_or_b32 s0, s0, s6
	s_and_not1_b32 exec_lo, exec_lo, s3
	s_cbranch_execz .LBB2_1845
.LBB2_1842:                             ; =>This Inner Loop Header: Depth=1
	s_cmp_lt_i32 s5, 0x270f
	s_cselect_b32 s6, -1, 0
	s_delay_alu instid0(SALU_CYCLE_1)
	s_and_b32 vcc_lo, exec_lo, s6
	s_cbranch_vccnz .LBB2_1844
; %bb.1843:                             ;   in Loop: Header=BB2_1842 Depth=1
	s_trap 2
	ds_load_b64 v[4:5], v0
	s_and_not1_b32 s6, s6, exec_lo
	s_mov_b32 s5, 0
	s_wait_storecnt_dscnt 0x0
	flat_load_b32 v0, v[4:5] scope:SCOPE_SYS
	s_wait_loadcnt_dscnt 0x0
	global_inv scope:SCOPE_SYS
	v_cmp_eq_u32_e32 vcc_lo, 0, v0
	s_and_b32 s7, vcc_lo, exec_lo
	s_delay_alu instid0(SALU_CYCLE_1)
	s_or_b32 s6, s6, s7
	s_mov_b32 s7, -1
	s_or_b32 s4, s4, exec_lo
	s_wait_xcnt 0x0
	s_and_saveexec_b32 s10, s6
	s_cbranch_execz .LBB2_1841
	s_branch .LBB2_1840
.LBB2_1844:                             ;   in Loop: Header=BB2_1842 Depth=1
	s_add_co_i32 s5, s5, 1
                                        ; implicit-def: $vgpr0
	s_mov_b32 s7, -1
	s_or_b32 s4, s4, exec_lo
	s_and_saveexec_b32 s10, s6
	s_cbranch_execz .LBB2_1841
	s_branch .LBB2_1840
.LBB2_1845:
	s_or_b32 exec_lo, exec_lo, s3
	s_and_saveexec_b32 s3, s0
	s_delay_alu instid0(SALU_CYCLE_1)
	s_xor_b32 s3, exec_lo, s3
	s_cbranch_execz .LBB2_1847
; %bb.1846:
	s_wait_loadcnt 0x0
	s_wait_storecnt 0x0
	ds_store_b32 v0, v0
	s_trap 2
.LBB2_1847:
	s_or_b32 exec_lo, exec_lo, s2
	v_and_b32_e32 v0, 0x2000, v30
	s_mov_b32 s0, exec_lo
	s_delay_alu instid0(VALU_DEP_1)
	v_cmpx_ne_u32_e32 0, v0
	s_cbranch_execz .LBB2_1849
; %bb.1848:
	s_trap 2
	ds_load_b64 v[2:3], v0
	s_wait_dscnt 0x0
	flat_store_b64 v[16:17], v[2:3] offset:16
.LBB2_1849:
	s_wait_xcnt 0x0
	s_or_b32 exec_lo, exec_lo, s0
	v_cmp_ne_u32_e32 vcc_lo, 32, v1
	s_and_b32 exec_lo, exec_lo, vcc_lo
	s_cbranch_execz .LBB2_1867
; %bb.1850:
	s_mov_b32 s0, exec_lo
	v_cmpx_ne_u32_e64 v1, v56
	s_xor_b32 s0, exec_lo, s0
	s_cbranch_execz .LBB2_1865
; %bb.1851:
	v_and_b32_e32 v0, 31, v31
	s_mov_b32 s2, exec_lo
	s_delay_alu instid0(VALU_DEP_1)
	v_cmpx_eq_u32_e32 0, v0
	s_cbranch_execz .LBB2_1864
; %bb.1852:
	s_mov_b32 s4, exec_lo
	s_mov_b32 s3, exec_lo
	v_mbcnt_lo_u32_b32 v0, s4, 0
	global_wb scope:SCOPE_DEV
	s_wait_storecnt 0x0
	s_wait_loadcnt_dscnt 0x0
	global_inv scope:SCOPE_DEV
	v_cmpx_eq_u32_e32 0, v0
	s_cbranch_execz .LBB2_1854
; %bb.1853:
	s_bcnt1_i32_b32 s4, s4
	s_delay_alu instid0(SALU_CYCLE_1)
	v_dual_mov_b32 v3, 0 :: v_dual_mov_b32 v2, s4
	s_wait_loadcnt 0x0
	ds_add_u64 v0, v[2:3]
	s_trap 2
.LBB2_1854:
	s_or_b32 exec_lo, exec_lo, s3
	s_trap 2
	ds_load_b64 v[2:3], v0
	s_wait_dscnt 0x0
	v_dual_mov_b32 v1, 0 :: v_dual_lshrrev_b32 v0, 5, v1
	s_mov_b32 s3, exec_lo
	s_delay_alu instid0(VALU_DEP_1) | instskip(NEXT) | instid1(VALU_DEP_1)
	v_add_nc_u64_e32 v[0:1], v[12:13], v[0:1]
	v_cmpx_lt_u64_e64 v[2:3], v[0:1]
	s_cbranch_execz .LBB2_1863
; %bb.1855:
	s_mov_b32 s4, 0
	s_mov_b32 s7, 0
                                        ; implicit-def: $sgpr5
                                        ; implicit-def: $sgpr6
	s_branch .LBB2_1857
.LBB2_1856:                             ;   in Loop: Header=BB2_1857 Depth=1
	s_or_b32 exec_lo, exec_lo, s11
	s_delay_alu instid0(SALU_CYCLE_1) | instskip(NEXT) | instid1(SALU_CYCLE_1)
	s_and_b32 s10, exec_lo, s12
	s_or_b32 s4, s10, s4
	s_and_not1_b32 s5, s5, exec_lo
	s_and_b32 s10, s6, exec_lo
	s_delay_alu instid0(SALU_CYCLE_1)
	s_or_b32 s5, s5, s10
	s_and_not1_b32 exec_lo, exec_lo, s4
	s_cbranch_execz .LBB2_1861
.LBB2_1857:                             ; =>This Inner Loop Header: Depth=1
	s_add_co_i32 s7, s7, 1
	s_delay_alu instid0(SALU_CYCLE_1) | instskip(SKIP_1) | instid1(SALU_CYCLE_1)
	s_cmp_lg_u32 s7, 0x2710
	s_cselect_b32 s10, -1, 0
	s_and_b32 vcc_lo, exec_lo, s10
	s_cbranch_vccz .LBB2_1859
; %bb.1858:                             ;   in Loop: Header=BB2_1857 Depth=1
	s_mov_b32 s12, -1
	s_or_b32 s6, s6, exec_lo
	s_and_saveexec_b32 s11, s10
	s_cbranch_execz .LBB2_1856
	s_branch .LBB2_1860
.LBB2_1859:                             ;   in Loop: Header=BB2_1857 Depth=1
	s_trap 2
	ds_load_b64 v[2:3], v0
	s_and_not1_b32 s10, s10, exec_lo
	s_mov_b32 s7, 0
	s_wait_loadcnt_dscnt 0x0
	flat_load_b32 v2, v[2:3] scope:SCOPE_SYS
	s_wait_loadcnt_dscnt 0x0
	global_inv scope:SCOPE_SYS
	v_cmp_eq_u32_e32 vcc_lo, 0, v2
	s_and_b32 s11, vcc_lo, exec_lo
	s_delay_alu instid0(SALU_CYCLE_1)
	s_or_b32 s10, s10, s11
	s_mov_b32 s12, -1
	s_or_b32 s6, s6, exec_lo
	s_and_saveexec_b32 s11, s10
	s_cbranch_execz .LBB2_1856
.LBB2_1860:                             ;   in Loop: Header=BB2_1857 Depth=1
	s_sleep 1
	s_trap 2
	ds_load_b64 v[2:3], v0
	s_wait_dscnt 0x0
	s_and_not1_b32 s6, s6, exec_lo
	v_cmp_ge_u64_e32 vcc_lo, v[2:3], v[0:1]
	s_or_not1_b32 s12, vcc_lo, exec_lo
	s_branch .LBB2_1856
.LBB2_1861:
	s_or_b32 exec_lo, exec_lo, s4
	s_and_saveexec_b32 s4, s5
	s_delay_alu instid0(SALU_CYCLE_1)
	s_xor_b32 s4, exec_lo, s4
	s_cbranch_execz .LBB2_1863
; %bb.1862:
	v_mov_b32_e32 v0, 1
	ds_store_b32 v0, v0
	s_trap 2
.LBB2_1863:
	s_or_b32 exec_lo, exec_lo, s3
	;;#ASMSTART
	s_wakeup
	;;#ASMEND
.LBB2_1864:
	s_or_b32 exec_lo, exec_lo, s2
.LBB2_1865:
	s_and_not1_saveexec_b32 s0, s0
	s_cbranch_execz .LBB2_1867
; %bb.1866:
	global_wb scope:SCOPE_DEV
	s_wait_storecnt 0x0
	s_wait_loadcnt_dscnt 0x0
	global_inv scope:SCOPE_DEV
	s_barrier_signal -1
	s_barrier_wait -1
.LBB2_1867:
	s_or_b32 exec_lo, exec_lo, s1
.LBB2_1868:
	s_and_not1_saveexec_b32 s21, s42
	s_cbranch_execz .LBB2_1870
; %bb.1869:
	s_get_pc_i64 s[0:1]
	s_add_nc_u64 s[0:1], s[0:1], __PRETTY_FUNCTION__._ZN10PrimitivesI12hip_bfloat1613FuncPreMulSumIS0_E12FanSymmetricILi1EELi0E11ProtoSimpleILi2ELi2ELi0ELi1ELi0ELi0EELi0ELb0ELi0ELi0ELi0EEC2EiiPKiS9_PKvPvmhhhP15ncclDevWorkCollP14ncclDevWorkP2pii@rel64+4
	s_get_pc_i64 s[2:3]
	s_add_nc_u64 s[2:3], s[2:3], __assert_fail@rel64+4
	v_dual_mov_b32 v0, s0 :: v_dual_mov_b32 v1, s1
	s_swap_pc_i64 s[30:31], s[2:3]
	; divergent unreachable
.LBB2_1870:
	s_or_b32 exec_lo, exec_lo, s21
	s_clause 0x1f
	scratch_load_b32 v95, off, s33
	scratch_load_b32 v94, off, s33 offset:4
	scratch_load_b32 v93, off, s33 offset:8
	scratch_load_b32 v92, off, s33 offset:12
	scratch_load_b32 v91, off, s33 offset:16
	scratch_load_b32 v90, off, s33 offset:20
	scratch_load_b32 v89, off, s33 offset:24
	scratch_load_b32 v88, off, s33 offset:28
	scratch_load_b32 v79, off, s33 offset:32
	scratch_load_b32 v78, off, s33 offset:36
	scratch_load_b32 v77, off, s33 offset:40
	scratch_load_b32 v76, off, s33 offset:44
	scratch_load_b32 v75, off, s33 offset:48
	scratch_load_b32 v74, off, s33 offset:52
	scratch_load_b32 v73, off, s33 offset:56
	scratch_load_b32 v72, off, s33 offset:60
	scratch_load_b32 v63, off, s33 offset:64
	scratch_load_b32 v62, off, s33 offset:68
	scratch_load_b32 v61, off, s33 offset:72
	scratch_load_b32 v60, off, s33 offset:76
	scratch_load_b32 v59, off, s33 offset:80
	scratch_load_b32 v58, off, s33 offset:84
	scratch_load_b32 v57, off, s33 offset:88
	scratch_load_b32 v56, off, s33 offset:92
	scratch_load_b32 v47, off, s33 offset:96
	scratch_load_b32 v46, off, s33 offset:100
	scratch_load_b32 v45, off, s33 offset:104
	scratch_load_b32 v44, off, s33 offset:108
	scratch_load_b32 v43, off, s33 offset:112
	scratch_load_b32 v42, off, s33 offset:116
	scratch_load_b32 v41, off, s33 offset:120
	scratch_load_b32 v40, off, s33 offset:124
	v_readlane_b32 s30, v104, 0
	v_readlane_b32 s31, v104, 1
	s_mov_b32 s32, s33
	s_wait_xcnt 0x0
	s_or_saveexec_b32 s0, -1
	scratch_load_b32 v104, off, s33 offset:128 ; 4-byte Folded Reload
	s_wait_xcnt 0x0
	s_mov_b32 exec_lo, s0
	s_mov_b32 s33, s79
	s_wait_loadcnt_dscnt 0x0
	s_set_pc_i64 s[30:31]
.Lfunc_end2:
	.size	_ZN12_GLOBAL__N_17runRingI12hip_bfloat1613FuncPreMulSumIS1_E11ProtoSimpleILi2ELi2ELi0ELi1ELi0ELi0EELi0ELi0ELi1ELi0EEEviiP15ncclDevWorkColl, .Lfunc_end2-_ZN12_GLOBAL__N_17runRingI12hip_bfloat1613FuncPreMulSumIS1_E11ProtoSimpleILi2ELi2ELi0ELi1ELi0ELi0EELi0ELi0ELi1ELi0EEEviiP15ncclDevWorkColl
                                        ; -- End function
	.set .L_ZN12_GLOBAL__N_17runRingI12hip_bfloat1613FuncPreMulSumIS1_E11ProtoSimpleILi2ELi2ELi0ELi1ELi0ELi0EELi0ELi0ELi1ELi0EEEviiP15ncclDevWorkColl.num_vgpr, max(120, .L__assert_fail.num_vgpr)
	.set .L_ZN12_GLOBAL__N_17runRingI12hip_bfloat1613FuncPreMulSumIS1_E11ProtoSimpleILi2ELi2ELi0ELi1ELi0ELi0EELi0ELi0ELi1ELi0EEEviiP15ncclDevWorkColl.num_agpr, max(0, .L__assert_fail.num_agpr)
	.set .L_ZN12_GLOBAL__N_17runRingI12hip_bfloat1613FuncPreMulSumIS1_E11ProtoSimpleILi2ELi2ELi0ELi1ELi0ELi0EELi0ELi0ELi1ELi0EEEviiP15ncclDevWorkColl.numbered_sgpr, max(80, .L__assert_fail.numbered_sgpr)
	.set .L_ZN12_GLOBAL__N_17runRingI12hip_bfloat1613FuncPreMulSumIS1_E11ProtoSimpleILi2ELi2ELi0ELi1ELi0ELi0EELi0ELi0ELi1ELi0EEEviiP15ncclDevWorkColl.num_named_barrier, max(0, .L__assert_fail.num_named_barrier)
	.set .L_ZN12_GLOBAL__N_17runRingI12hip_bfloat1613FuncPreMulSumIS1_E11ProtoSimpleILi2ELi2ELi0ELi1ELi0ELi0EELi0ELi0ELi1ELi0EEEviiP15ncclDevWorkColl.private_seg_size, 144+max(.L__assert_fail.private_seg_size)
	.set .L_ZN12_GLOBAL__N_17runRingI12hip_bfloat1613FuncPreMulSumIS1_E11ProtoSimpleILi2ELi2ELi0ELi1ELi0ELi0EELi0ELi0ELi1ELi0EEEviiP15ncclDevWorkColl.uses_vcc, or(1, .L__assert_fail.uses_vcc)
	.set .L_ZN12_GLOBAL__N_17runRingI12hip_bfloat1613FuncPreMulSumIS1_E11ProtoSimpleILi2ELi2ELi0ELi1ELi0ELi0EELi0ELi0ELi1ELi0EEEviiP15ncclDevWorkColl.uses_flat_scratch, or(1, .L__assert_fail.uses_flat_scratch)
	.set .L_ZN12_GLOBAL__N_17runRingI12hip_bfloat1613FuncPreMulSumIS1_E11ProtoSimpleILi2ELi2ELi0ELi1ELi0ELi0EELi0ELi0ELi1ELi0EEEviiP15ncclDevWorkColl.has_dyn_sized_stack, or(0, .L__assert_fail.has_dyn_sized_stack)
	.set .L_ZN12_GLOBAL__N_17runRingI12hip_bfloat1613FuncPreMulSumIS1_E11ProtoSimpleILi2ELi2ELi0ELi1ELi0ELi0EELi0ELi0ELi1ELi0EEEviiP15ncclDevWorkColl.has_recursion, or(1, .L__assert_fail.has_recursion)
	.set .L_ZN12_GLOBAL__N_17runRingI12hip_bfloat1613FuncPreMulSumIS1_E11ProtoSimpleILi2ELi2ELi0ELi1ELi0ELi0EELi0ELi0ELi1ELi0EEEviiP15ncclDevWorkColl.has_indirect_call, or(0, .L__assert_fail.has_indirect_call)
	.section	.AMDGPU.csdata,"",@progbits
; Function info:
; codeLenInByte = 60308
; TotalNumSgprs: 82
; NumVgprs: 120
; ScratchSize: 208
; MemoryBound: 1
	.text
	.p2align	2                               ; -- Begin function _Z54ncclDevFunc_AllReduce_RING_SIMPLE_PreMulSum_bf16_0_0_1v
	.type	_Z54ncclDevFunc_AllReduce_RING_SIMPLE_PreMulSum_bf16_0_0_1v,@function
_Z54ncclDevFunc_AllReduce_RING_SIMPLE_PreMulSum_bf16_0_0_1v: ; @_Z54ncclDevFunc_AllReduce_RING_SIMPLE_PreMulSum_bf16_0_0_1v
; %bb.0:
	s_wait_loadcnt_dscnt 0x0
	s_wait_kmcnt 0x0
	s_mov_b32 s95, s33
	s_mov_b32 s33, s32
	s_or_saveexec_b32 s0, -1
	scratch_store_b32 off, v42, s33 offset:12 ; 4-byte Folded Spill
	s_wait_xcnt 0x0
	s_mov_b32 exec_lo, s0
	s_add_co_i32 s32, s32, 32
	s_clause 0x2
	scratch_store_b32 off, v40, s33 offset:8
	; meta instruction
	scratch_store_b32 off, v41, s33 offset:4
	; meta instruction
	scratch_store_b32 off, v104, s33
	v_writelane_b32 v42, s30, 0
	v_writelane_b32 v42, s31, 1
	s_trap 2
	ds_load_b32 v0, v0
	s_wait_xcnt 0x2
	v_mov_b32_e32 v40, v31
	s_mov_b32 s90, s12
	s_mov_b64 s[88:89], s[8:9]
	s_mov_b32 s2, exec_lo
	s_wait_xcnt 0x1
	v_and_b32_e32 v41, 0x3ff, v40
	s_wait_dscnt 0x0
	s_wait_xcnt 0x0
	s_delay_alu instid0(VALU_DEP_1)
	v_cmpx_lt_i32_e64 v41, v0
	s_cbranch_execz .LBB3_5
; %bb.1:
	s_load_b32 s0, s[88:89], 0x0
	s_bfe_u32 s1, ttmp6, 0x4000c
	s_and_b32 s3, ttmp6, 15
	s_add_co_i32 s1, s1, 1
	s_getreg_b32 s4, hwreg(HW_REG_IB_STS2, 6, 4)
	s_mul_i32 s1, ttmp9, s1
	v_mov_b32_e32 v2, v41
	s_add_co_i32 s3, s3, s1
	s_cmp_eq_u32 s4, 0
                                        ; implicit-def: $vgpr3
	s_cselect_b32 s1, ttmp9, s3
	s_mov_b32 s3, 0
	s_wait_kmcnt 0x0
	s_cmp_lt_u32 s1, s0
	s_mov_b32 s1, 0
	s_cselect_b32 s0, 12, 18
	s_delay_alu instid0(SALU_CYCLE_1)
	s_add_nc_u64 s[4:5], s[88:89], s[0:1]
	s_load_u16 s0, s[4:5], 0x0
	s_trap 2
	ds_load_b32 v1, v0
	s_wait_dscnt 0x0
	s_wait_kmcnt 0x0
	v_mul_lo_u32 v1, v1, s0
	s_branch .LBB3_3
.LBB3_2:                                ;   in Loop: Header=BB3_3 Depth=1
	s_or_b32 exec_lo, exec_lo, s4
	v_dual_add_nc_u32 v2, s0, v2 :: v_dual_add_nc_u32 v3, v3, v1
	s_delay_alu instid0(VALU_DEP_1) | instskip(SKIP_1) | instid1(SALU_CYCLE_1)
	v_cmp_ge_i32_e32 vcc_lo, v2, v0
	s_or_b32 s3, vcc_lo, s3
	s_and_not1_b32 exec_lo, exec_lo, s3
	s_cbranch_execz .LBB3_5
.LBB3_3:                                ; =>This Inner Loop Header: Depth=1
	ds_load_b32 v4, v3
	s_mov_b32 s4, exec_lo
	s_wait_dscnt 0x0
	v_and_b32_e32 v4, 0x1000000, v4
	s_delay_alu instid0(VALU_DEP_1)
	v_cmpx_ne_u32_e32 0, v4
	s_cbranch_execz .LBB3_2
; %bb.4:                                ;   in Loop: Header=BB3_3 Depth=1
	ds_load_b64 v[4:5], v3 offset:104
	s_wait_dscnt 0x0
	flat_load_u16 v4, v[4:5]
	s_wait_xcnt 0x0
	v_mov_b32_e32 v5, s1
	s_wait_loadcnt_dscnt 0x0
	v_and_b32_e32 v4, 0xffff, v4
	ds_store_b64 v3, v[4:5] offset:104
	s_branch .LBB3_2
.LBB3_5:
	s_or_b32 exec_lo, exec_lo, s2
	s_wait_storecnt_dscnt 0x0
	s_barrier_signal -1
	s_barrier_wait -1
	s_trap 2
	ds_load_b32 v0, v0
	s_wait_dscnt 0x0
	v_cmp_gt_i32_e32 vcc_lo, 1, v0
	s_cbranch_vccnz .LBB3_13
; %bb.6:
	s_mov_b32 s91, 0
	s_get_pc_i64 s[92:93]
	s_add_nc_u64 s[92:93], s[92:93], _ZN12_GLOBAL__N_17runRingI12hip_bfloat1613FuncPreMulSumIS1_E11ProtoSimpleILi2ELi2ELi0ELi1ELi0ELi0EELi0ELi0ELi1ELi0EEEviiP15ncclDevWorkColl@rel64+4
	s_branch .LBB3_8
.LBB3_7:                                ;   in Loop: Header=BB3_8 Depth=1
	s_or_b32 exec_lo, exec_lo, s94
	s_trap 2
	ds_load_b32 v0, v0
	s_add_co_i32 s91, s91, 1
	s_wait_dscnt 0x0
	v_cmp_lt_i32_e32 vcc_lo, s91, v0
	s_cbranch_vccz .LBB3_13
.LBB3_8:                                ; =>This Inner Loop Header: Depth=1
	s_trap 2
	ds_load_b32 v0, v0
	s_cmp_eq_u32 s91, 0
	s_cbranch_scc1 .LBB3_11
; %bb.9:                                ;   in Loop: Header=BB3_8 Depth=1
	s_trap 2
	s_wait_dscnt 0x0
	ds_load_b32 v1, v0
	s_wait_dscnt 0x0
	v_xor_b32_e32 v1, v1, v0
	s_delay_alu instid0(VALU_DEP_1) | instskip(NEXT) | instid1(VALU_DEP_1)
	v_and_b32_e32 v1, 0xff0000, v1
	v_cmp_eq_u32_e32 vcc_lo, 0, v1
	s_cbranch_vccnz .LBB3_11
; %bb.10:                               ;   in Loop: Header=BB3_8 Depth=1
	s_barrier_signal -1
	s_barrier_wait -1
	ds_load_b32 v0, v0
.LBB3_11:                               ;   in Loop: Header=BB3_8 Depth=1
	s_wait_dscnt 0x0
	v_lshrrev_b32_e32 v0, 11, v0
	s_mov_b32 s94, exec_lo
	s_delay_alu instid0(VALU_DEP_1) | instskip(NEXT) | instid1(VALU_DEP_1)
	v_and_b32_e32 v1, 0x1fe0, v0
	v_cmpx_lt_u32_e64 v41, v1
	s_cbranch_execz .LBB3_7
; %bb.12:                               ;   in Loop: Header=BB3_8 Depth=1
	s_mov_b64 s[0:1], src_shared_base
	v_dual_mov_b32 v31, v40 :: v_dual_mov_b32 v0, v41
	v_mov_b32_e32 v3, s1
	s_mov_b64 s[8:9], s[88:89]
	s_mov_b32 s12, s90
	s_swap_pc_i64 s[30:31], s[92:93]
	s_branch .LBB3_7
.LBB3_13:
	s_clause 0x2
	scratch_load_b32 v104, off, s33
	scratch_load_b32 v41, off, s33 offset:4
	scratch_load_b32 v40, off, s33 offset:8
	v_readlane_b32 s30, v42, 0
	v_readlane_b32 s31, v42, 1
	s_mov_b32 s32, s33
	s_wait_xcnt 0x0
	s_or_saveexec_b32 s0, -1
	scratch_load_b32 v42, off, s33 offset:12 ; 4-byte Folded Reload
	s_wait_xcnt 0x0
	s_mov_b32 exec_lo, s0
	s_mov_b32 s33, s95
	s_wait_loadcnt 0x0
	s_set_pc_i64 s[30:31]
.Lfunc_end3:
	.size	_Z54ncclDevFunc_AllReduce_RING_SIMPLE_PreMulSum_bf16_0_0_1v, .Lfunc_end3-_Z54ncclDevFunc_AllReduce_RING_SIMPLE_PreMulSum_bf16_0_0_1v
                                        ; -- End function
	.set .L_Z54ncclDevFunc_AllReduce_RING_SIMPLE_PreMulSum_bf16_0_0_1v.num_vgpr, max(105, .L_ZN12_GLOBAL__N_17runRingI12hip_bfloat1613FuncPreMulSumIS1_E11ProtoSimpleILi2ELi2ELi0ELi1ELi0ELi0EELi0ELi0ELi1ELi0EEEviiP15ncclDevWorkColl.num_vgpr)
	.set .L_Z54ncclDevFunc_AllReduce_RING_SIMPLE_PreMulSum_bf16_0_0_1v.num_agpr, max(0, .L_ZN12_GLOBAL__N_17runRingI12hip_bfloat1613FuncPreMulSumIS1_E11ProtoSimpleILi2ELi2ELi0ELi1ELi0ELi0EELi0ELi0ELi1ELi0EEEviiP15ncclDevWorkColl.num_agpr)
	.set .L_Z54ncclDevFunc_AllReduce_RING_SIMPLE_PreMulSum_bf16_0_0_1v.numbered_sgpr, max(96, .L_ZN12_GLOBAL__N_17runRingI12hip_bfloat1613FuncPreMulSumIS1_E11ProtoSimpleILi2ELi2ELi0ELi1ELi0ELi0EELi0ELi0ELi1ELi0EEEviiP15ncclDevWorkColl.numbered_sgpr)
	.set .L_Z54ncclDevFunc_AllReduce_RING_SIMPLE_PreMulSum_bf16_0_0_1v.num_named_barrier, max(0, .L_ZN12_GLOBAL__N_17runRingI12hip_bfloat1613FuncPreMulSumIS1_E11ProtoSimpleILi2ELi2ELi0ELi1ELi0ELi0EELi0ELi0ELi1ELi0EEEviiP15ncclDevWorkColl.num_named_barrier)
	.set .L_Z54ncclDevFunc_AllReduce_RING_SIMPLE_PreMulSum_bf16_0_0_1v.private_seg_size, 32+max(.L_ZN12_GLOBAL__N_17runRingI12hip_bfloat1613FuncPreMulSumIS1_E11ProtoSimpleILi2ELi2ELi0ELi1ELi0ELi0EELi0ELi0ELi1ELi0EEEviiP15ncclDevWorkColl.private_seg_size)
	.set .L_Z54ncclDevFunc_AllReduce_RING_SIMPLE_PreMulSum_bf16_0_0_1v.uses_vcc, or(1, .L_ZN12_GLOBAL__N_17runRingI12hip_bfloat1613FuncPreMulSumIS1_E11ProtoSimpleILi2ELi2ELi0ELi1ELi0ELi0EELi0ELi0ELi1ELi0EEEviiP15ncclDevWorkColl.uses_vcc)
	.set .L_Z54ncclDevFunc_AllReduce_RING_SIMPLE_PreMulSum_bf16_0_0_1v.uses_flat_scratch, or(1, .L_ZN12_GLOBAL__N_17runRingI12hip_bfloat1613FuncPreMulSumIS1_E11ProtoSimpleILi2ELi2ELi0ELi1ELi0ELi0EELi0ELi0ELi1ELi0EEEviiP15ncclDevWorkColl.uses_flat_scratch)
	.set .L_Z54ncclDevFunc_AllReduce_RING_SIMPLE_PreMulSum_bf16_0_0_1v.has_dyn_sized_stack, or(0, .L_ZN12_GLOBAL__N_17runRingI12hip_bfloat1613FuncPreMulSumIS1_E11ProtoSimpleILi2ELi2ELi0ELi1ELi0ELi0EELi0ELi0ELi1ELi0EEEviiP15ncclDevWorkColl.has_dyn_sized_stack)
	.set .L_Z54ncclDevFunc_AllReduce_RING_SIMPLE_PreMulSum_bf16_0_0_1v.has_recursion, or(1, .L_ZN12_GLOBAL__N_17runRingI12hip_bfloat1613FuncPreMulSumIS1_E11ProtoSimpleILi2ELi2ELi0ELi1ELi0ELi0EELi0ELi0ELi1ELi0EEEviiP15ncclDevWorkColl.has_recursion)
	.set .L_Z54ncclDevFunc_AllReduce_RING_SIMPLE_PreMulSum_bf16_0_0_1v.has_indirect_call, or(0, .L_ZN12_GLOBAL__N_17runRingI12hip_bfloat1613FuncPreMulSumIS1_E11ProtoSimpleILi2ELi2ELi0ELi1ELi0ELi0EELi0ELi0ELi1ELi0EEEviiP15ncclDevWorkColl.has_indirect_call)
	.section	.AMDGPU.csdata,"",@progbits
; Function info:
; codeLenInByte = 756
; TotalNumSgprs: 98
; NumVgprs: 120
; ScratchSize: 240
; MemoryBound: 0
	.text
	.p2align	2                               ; -- Begin function _ZN12_GLOBAL__N_17runRingI12hip_bfloat1613FuncPreMulSumIS1_E11ProtoSimpleILi2ELi2ELi0ELi1ELi0ELi0EELi0ELi0ELi1ELi1EEEviiP15ncclDevWorkColl
	.type	_ZN12_GLOBAL__N_17runRingI12hip_bfloat1613FuncPreMulSumIS1_E11ProtoSimpleILi2ELi2ELi0ELi1ELi0ELi0EELi0ELi0ELi1ELi1EEEviiP15ncclDevWorkColl,@function
_ZN12_GLOBAL__N_17runRingI12hip_bfloat1613FuncPreMulSumIS1_E11ProtoSimpleILi2ELi2ELi0ELi1ELi0ELi0EELi0ELi0ELi1ELi1EEEviiP15ncclDevWorkColl: ; @_ZN12_GLOBAL__N_17runRingI12hip_bfloat1613FuncPreMulSumIS1_E11ProtoSimpleILi2ELi2ELi0ELi1ELi0ELi0EELi0ELi0ELi1ELi1EEEviiP15ncclDevWorkColl
; %bb.0:
	s_wait_loadcnt_dscnt 0x0
	s_wait_kmcnt 0x0
	s_mov_b32 s0, s33
	s_mov_b32 s33, s32
	s_or_saveexec_b32 s1, -1
	scratch_store_b32 off, v109, s33 offset:224 ; 4-byte Folded Spill
	s_wait_xcnt 0x0
	s_mov_b32 exec_lo, s1
	v_writelane_b32 v109, s0, 3
	s_addk_co_i32 s32, 0xf0
	s_clause 0x24
	scratch_store_b32 off, v40, s33 offset:144
	; meta instruction
	scratch_store_b32 off, v41, s33 offset:140
	; meta instruction
	;; [unrolled: 2-line block ×36, first 2 shown]
	scratch_store_b32 off, v108, s33
	v_writelane_b32 v109, s34, 0
	v_writelane_b32 v109, s30, 1
	;; [unrolled: 1-line block ×3, first 2 shown]
	s_trap 2
	flat_load_b32 v7, v[2:3]
	ds_load_b32 v6, v0
	s_mov_b32 s0, exec_lo
                                        ; implicit-def: $vgpr14_vgpr15
                                        ; implicit-def: $vgpr24_vgpr25
                                        ; implicit-def: $vgpr4_vgpr5
	s_wait_dscnt 0x0
	v_readfirstlane_b32 s16, v6
	s_wait_loadcnt 0x0
	v_and_b32_e32 v8, 0xff, v7
	s_wait_xcnt 0x0
	s_delay_alu instid0(VALU_DEP_1)
	v_cmpx_ne_u32_e64 v6, v8
	s_xor_b32 s0, exec_lo, s0
	s_cbranch_execz .LBB4_6
; %bb.1:
	v_bfe_u32 v9, v7, 8, 8
	v_not_b32_e32 v8, v8
	s_mov_b32 s1, exec_lo
                                        ; implicit-def: $vgpr14_vgpr15
                                        ; implicit-def: $vgpr24_vgpr25
                                        ; implicit-def: $vgpr4_vgpr5
	s_delay_alu instid0(VALU_DEP_2)
	v_cmpx_ne_u32_e64 v6, v9
	s_xor_b32 s1, exec_lo, s1
	s_cbranch_execz .LBB4_3
; %bb.2:
	s_clause 0x1
	flat_load_b128 v[10:13], v[2:3] offset:72
	flat_load_b64 v[4:5], v[2:3] offset:96
	v_add_nc_u32_e32 v6, v6, v8
                                        ; implicit-def: $vgpr9
                                        ; implicit-def: $vgpr8
	s_wait_loadcnt_dscnt 0x101
	s_delay_alu instid0(VALU_DEP_1) | instskip(SKIP_3) | instid1(VALU_DEP_3)
	v_mad_nc_u64_u32 v[24:25], v12, v6, v[10:11]
	s_wait_loadcnt_dscnt 0x0
	v_lshrrev_b64 v[14:15], 13, v[4:5]
	v_mov_b64_e32 v[4:5], v[12:13]
	v_mad_u32 v7, v13, v6, v25
	v_ashrrev_i32_e32 v6, 31, v6
	s_delay_alu instid0(VALU_DEP_1)
	v_mad_u32 v25, v12, v6, v7
.LBB4_3:
	s_wait_xcnt 0x0
	s_and_not1_saveexec_b32 s1, s1
	s_cbranch_execz .LBB4_5
; %bb.4:
	s_clause 0x1
	flat_load_b128 v[10:13], v[2:3] offset:72
	flat_load_b128 v[4:7], v[2:3] offset:88
	s_wait_loadcnt_dscnt 0x0
	v_dual_add_nc_u32 v6, v9, v8 :: v_dual_lshrrev_b32 v14, 2, v7
	s_delay_alu instid0(VALU_DEP_1) | instskip(NEXT) | instid1(VALU_DEP_1)
	v_mad_nc_u64_u32 v[24:25], v12, v6, v[10:11]
	v_mad_u32 v8, v13, v6, v25
	v_ashrrev_i32_e32 v6, 31, v6
	s_delay_alu instid0(VALU_DEP_1)
	v_mad_u32 v25, v12, v6, v8
.LBB4_5:
	s_wait_xcnt 0x0
	s_or_b32 exec_lo, exec_lo, s1
.LBB4_6:
	s_and_not1_saveexec_b32 s0, s0
	s_cbranch_execz .LBB4_8
; %bb.7:
	s_clause 0x1
	flat_load_b64 v[6:7], v[2:3] offset:96
	flat_load_b64 v[4:5], v[2:3] offset:72
	v_mov_b64_e32 v[24:25], 0
	s_wait_loadcnt_dscnt 0x101
	v_lshlrev_b64_e32 v[14:15], 8, v[6:7]
.LBB4_8:
	s_wait_xcnt 0x0
	s_or_b32 exec_lo, exec_lo, s0
	s_trap 2
	ds_load_b64 v[6:7], v0
	s_mov_b32 s1, 0
	s_mov_b32 s2, exec_lo
	s_wait_dscnt 0x0
	v_cmp_ne_u32_e32 vcc_lo, -1, v6
	v_cndmask_b32_e64 v15, 0, 1, vcc_lo
	v_cmp_ne_u32_e32 vcc_lo, -1, v7
	s_delay_alu instid0(VALU_DEP_2) | instskip(NEXT) | instid1(VALU_DEP_1)
	v_add_co_ci_u32_e64 v8, null, 0, v15, vcc_lo
	v_lshlrev_b32_e32 v6, 1, v8
	s_delay_alu instid0(VALU_DEP_1)
	v_cmpx_le_u32_e64 v6, v1
	s_xor_b32 s42, exec_lo, s2
	s_cbranch_execz .LBB4_3378
; %bb.9:
	s_clause 0x3
	flat_load_b128 v[10:13], v[2:3] offset:16
	flat_load_b64 v[16:17], v[2:3] offset:104
	flat_load_u16 v7, v[2:3] offset:8
	flat_load_b32 v6, v[2:3] offset:4
	s_trap 2
	s_load_b32 s0, s[8:9], 0x0
	s_bfe_u32 s2, ttmp6, 0x4000c
	s_and_b32 s3, ttmp6, 15
	s_add_co_i32 s2, s2, 1
	s_getreg_b32 s4, hwreg(HW_REG_IB_STS2, 6, 4)
	s_mul_i32 s2, ttmp9, s2
	v_dual_mov_b32 v9, 0 :: v_dual_mov_b32 v30, 4
	s_add_co_i32 s3, s3, s2
	s_cmp_eq_u32 s4, 0
	s_cselect_b32 s2, ttmp9, s3
	s_wait_kmcnt 0x0
	s_cmp_lt_u32 s2, s0
	s_cselect_b32 s0, 12, 18
	s_delay_alu instid0(SALU_CYCLE_1)
	s_add_nc_u64 s[0:1], s[8:9], s[0:1]
	global_load_u16 v18, v9, s[0:1]
	s_wait_xcnt 0x0
	ds_load_b32 v9, v0
	s_mov_b32 s1, exec_lo
	s_wait_dscnt 0x0
	v_readfirstlane_b32 s6, v9
	v_cmpx_ge_u32_e64 v0, v15
	s_cbranch_execz .LBB4_19
; %bb.10:
	v_cmp_ge_u32_e64 s0, v0, v8
                                        ; implicit-def: $vgpr30
	s_and_saveexec_b32 s2, s0
	s_delay_alu instid0(SALU_CYCLE_1)
	s_xor_b32 s0, exec_lo, s2
	s_cbranch_execz .LBB4_16
; %bb.11:
	v_cndmask_b32_e64 v9, 0, 1, vcc_lo
	s_mov_b32 s2, exec_lo
	s_delay_alu instid0(VALU_DEP_1) | instskip(NEXT) | instid1(VALU_DEP_1)
	v_sub_nc_u32_e32 v9, v1, v9
	v_cmpx_ge_u32_e64 v0, v9
	s_xor_b32 s2, exec_lo, s2
; %bb.12:
                                        ; implicit-def: $vgpr8
; %bb.13:
	s_delay_alu instid0(SALU_CYCLE_1)
	s_or_saveexec_b32 s2, s2
	v_mov_b32_e32 v30, 16
	s_xor_b32 exec_lo, exec_lo, s2
; %bb.14:
	v_sub_nc_u32_e32 v8, v1, v8
	s_delay_alu instid0(VALU_DEP_1)
	v_cmp_lt_i32_e32 vcc_lo, v0, v8
	v_cndmask_b32_e64 v30, 32, 0, vcc_lo
; %bb.15:
	s_or_b32 exec_lo, exec_lo, s2
.LBB4_16:
	s_and_not1_saveexec_b32 s0, s0
; %bb.17:
	v_mov_b32_e32 v30, 8
; %bb.18:
	s_or_b32 exec_lo, exec_lo, s0
.LBB4_19:
	s_delay_alu instid0(SALU_CYCLE_1) | instskip(NEXT) | instid1(VALU_DEP_1)
	s_or_b32 exec_lo, exec_lo, s1
	v_dual_mov_b32 v19, -1 :: v_dual_bitop2_b32 v8, 36, v30 bitop3:0x40
	s_delay_alu instid0(VALU_DEP_1)
	v_cmp_ne_u32_e32 vcc_lo, 0, v8
	s_and_saveexec_b32 s0, vcc_lo
	s_cbranch_execz .LBB4_21
; %bb.20:
	s_trap 2
	ds_load_b32 v19, v0
.LBB4_21:
	s_or_b32 exec_lo, exec_lo, s0
	v_and_b32_e32 v8, 24, v30
	s_mov_b32 s1, exec_lo
	s_delay_alu instid0(VALU_DEP_1)
	v_cmpx_ne_u32_e32 0, v8
	s_cbranch_execz .LBB4_23
; %bb.22:
	s_trap 2
	s_wait_dscnt 0x0
	ds_load_b32 v19, v0
.LBB4_23:
	s_or_b32 exec_lo, exec_lo, s1
	s_wait_loadcnt 0x1
	v_lshrrev_b64 v[8:9], 31, v[6:7]
	v_mov_b64_e32 v[28:29], 0
	v_mov_b64_e32 v[6:7], 0
                                        ; implicit-def: $vgpr26_vgpr27
                                        ; implicit-def: $vgpr34
                                        ; implicit-def: $vgpr114_vgpr115
                                        ; implicit-def: $vgpr36_vgpr37
                                        ; implicit-def: $vgpr50_vgpr51
                                        ; implicit-def: $vgpr32_vgpr33
	s_delay_alu instid0(VALU_DEP_3)
	v_and_b32_e32 v20, 3, v8
	s_and_saveexec_b32 s0, vcc_lo
	s_cbranch_execz .LBB4_33
; %bb.24:
	s_trap 2
	ds_load_b64 v[6:7], v0
	v_and_b32_e32 v8, 0xffff, v20
	s_mov_b32 s1, exec_lo
                                        ; implicit-def: $vgpr26_vgpr27
	s_wait_dscnt 0x0
	v_readfirstlane_b32 s2, v6
	v_readfirstlane_b32 s3, v7
	flat_load_b64 v[6:7], v19, s[2:3] scale_offset
	s_wait_loadcnt_dscnt 0x0
	v_mad_nc_u64_u32 v[8:9], 0xa8, v8, v[6:7]
	flat_load_b32 v6, v[8:9] offset:640
	s_wait_loadcnt_dscnt 0x0
	v_cmpx_eq_u32_e32 1, v6
	s_cbranch_execz .LBB4_26
; %bb.25:
	flat_load_b64 v[26:27], v[8:9] offset:648
	v_or_b32_e32 v30, 0x2000, v30
	s_wait_loadcnt_dscnt 0x0
	flat_load_b64 v[6:7], v[26:27]
	s_trap 2
	s_wait_loadcnt_dscnt 0x0
	ds_store_b64 v0, v[6:7]
	flat_load_b64 v[6:7], v[26:27] offset:8
	s_wait_loadcnt_dscnt 0x0
	ds_store_b64 v0, v[6:7]
	flat_load_b64 v[6:7], v[26:27] offset:16
	s_wait_loadcnt_dscnt 0x0
	ds_store_b64 v0, v[6:7]
.LBB4_26:
	s_wait_xcnt 0x0
	s_or_b32 exec_lo, exec_lo, s1
	flat_load_b64 v[6:7], v[8:9] offset:608
	s_mov_b32 s1, exec_lo
                                        ; implicit-def: $vgpr32_vgpr33
	s_wait_loadcnt_dscnt 0x0
	v_add_nc_u64_e32 v[114:115], 3, v[6:7]
	v_and_b32_e32 v6, 32, v30
	s_delay_alu instid0(VALU_DEP_2) | instskip(SKIP_1) | instid1(VALU_DEP_2)
	v_and_b32_e32 v114, -4, v114
	s_wait_xcnt 0x0
	v_cmpx_ne_u32_e32 0, v6
	s_cbranch_execz .LBB4_28
; %bb.27:
	flat_load_b64 v[32:33], v[8:9] offset:560
	global_wb scope:SCOPE_SYS
	s_wait_storecnt 0x0
	s_wait_xcnt 0x0
	s_wait_loadcnt_dscnt 0x0
	flat_store_b64 v[32:33], v[114:115] scope:SCOPE_SYS
.LBB4_28:
	s_wait_xcnt 0x0
	s_or_b32 exec_lo, exec_lo, s1
	v_add_nc_u64_e32 v[28:29], 0x1f8, v[8:9]
	v_mov_b64_e32 v[6:7], 0
	v_and_b32_e32 v21, 4, v30
	s_mov_b32 s1, exec_lo
                                        ; implicit-def: $vgpr34
                                        ; implicit-def: $vgpr36_vgpr37
                                        ; implicit-def: $vgpr50_vgpr51
	s_delay_alu instid0(VALU_DEP_1)
	v_cmpx_ne_u32_e32 0, v21
	s_cbranch_execz .LBB4_32
; %bb.29:
	v_and_b32_e32 v6, 0x800, v30
	s_mov_b32 s2, exec_lo
	s_delay_alu instid0(VALU_DEP_1)
	v_cmpx_eq_u32_e32 0, v6
	s_cbranch_execz .LBB4_31
; %bb.30:
	s_trap 2
	ds_store_b64 v0, v[28:29]
.LBB4_31:
	s_or_b32 exec_lo, exec_lo, s2
	flat_load_b64 v[32:33], v[8:9] offset:552
	s_wait_loadcnt_dscnt 0x0
	flat_load_b64 v[50:51], v[32:33] scope:SCOPE_SYS
	s_clause 0x2
	flat_load_b32 v21, v[8:9] offset:576
	flat_load_b64 v[6:7], v[8:9] offset:600
	flat_load_b64 v[36:37], v[8:9] offset:520
	s_wait_xcnt 0x0
	v_or_b32_e32 v8, 0x100, v30
	s_wait_loadcnt_dscnt 0x101
	v_cmp_eq_u64_e32 vcc_lo, 0, v[6:7]
	s_delay_alu instid0(VALU_DEP_2)
	v_dual_ashrrev_i32 v34, 1, v21 :: v_dual_cndmask_b32 v30, v8, v30, vcc_lo
.LBB4_32:
	s_or_b32 exec_lo, exec_lo, s1
.LBB4_33:
	s_delay_alu instid0(SALU_CYCLE_1) | instskip(NEXT) | instid1(VALU_DEP_1)
	s_or_b32 exec_lo, exec_lo, s0
	v_and_b32_e32 v8, 24, v30
	s_mov_b32 s0, exec_lo
                                        ; implicit-def: $vgpr38_vgpr39
	s_delay_alu instid0(VALU_DEP_1)
	v_cmpx_ne_u32_e32 0, v8
	s_cbranch_execz .LBB4_41
; %bb.34:
	s_trap 2
	ds_load_b64 v[6:7], v0
	v_and_b32_e32 v8, 0xffff, v20
	s_mov_b32 s1, exec_lo
                                        ; implicit-def: $vgpr38_vgpr39
	s_wait_dscnt 0x0
	v_readfirstlane_b32 s2, v6
	v_readfirstlane_b32 s3, v7
	flat_load_b64 v[6:7], v19, s[2:3] scale_offset
	s_wait_xcnt 0x0
	v_or_b32_e32 v19, 0x100, v30
	s_wait_loadcnt_dscnt 0x0
	v_mad_nc_u64_u32 v[28:29], 0xa8, v8, v[6:7]
	flat_load_b128 v[6:9], v[28:29] offset:96
	s_wait_loadcnt_dscnt 0x0
	v_cmp_eq_u64_e32 vcc_lo, 0, v[6:7]
	v_cndmask_b32_e32 v30, v19, v30, vcc_lo
	s_delay_alu instid0(VALU_DEP_1) | instskip(SKIP_1) | instid1(VALU_DEP_1)
	v_and_b32_e32 v19, 16, v30
	s_wait_xcnt 0x0
	v_cmpx_ne_u32_e32 0, v19
	s_cbranch_execz .LBB4_36
; %bb.35:
	s_clause 0x2
	flat_load_b64 v[32:33], v[28:29] offset:48
	flat_load_b64 v[38:39], v[28:29] offset:120
	flat_load_b64 v[36:37], v[28:29] offset:16
.LBB4_36:
	s_wait_xcnt 0x0
	s_or_b32 exec_lo, exec_lo, s1
	v_add_nc_u64_e32 v[114:115], 3, v[8:9]
	v_and_b32_e32 v8, 8, v30
	s_mov_b32 s1, exec_lo
	s_delay_alu instid0(VALU_DEP_2) | instskip(NEXT) | instid1(VALU_DEP_2)
	v_and_b32_e32 v114, -4, v114
	v_cmpx_ne_u32_e32 0, v8
	s_cbranch_execz .LBB4_40
; %bb.37:
	v_and_b32_e32 v8, 0x800, v30
	s_mov_b32 s2, exec_lo
	s_delay_alu instid0(VALU_DEP_1)
	v_cmpx_eq_u32_e32 0, v8
	s_cbranch_execz .LBB4_39
; %bb.38:
	s_trap 2
	ds_store_b64 v0, v[28:29]
.LBB4_39:
	s_or_b32 exec_lo, exec_lo, s2
	s_wait_loadcnt_dscnt 0x202
	flat_load_b64 v[32:33], v[28:29] offset:56
	s_wait_loadcnt_dscnt 0x0
	flat_load_b64 v[50:51], v[32:33] scope:SCOPE_SYS
	s_clause 0x1
	flat_load_b32 v8, v[28:29] offset:72
	flat_load_b64 v[36:37], v[28:29] offset:16
	s_wait_loadcnt_dscnt 0x101
	v_ashrrev_i32_e32 v34, 1, v8
.LBB4_40:
	s_wait_xcnt 0x0
	s_or_b32 exec_lo, exec_lo, s1
.LBB4_41:
	s_delay_alu instid0(SALU_CYCLE_1)
	s_or_b32 exec_lo, exec_lo, s0
	v_cmp_eq_u32_e64 s0, 0, v0
	s_and_saveexec_b32 s1, s0
	s_cbranch_execz .LBB4_43
; %bb.42:
	flat_load_b64 v[8:9], v[2:3] offset:32
	ds_store_2addr_b64 v0, v[12:13], v[10:11] offset1:1
	s_trap 2
	s_wait_loadcnt_dscnt 0x1
	ds_store_b64 v0, v[8:9]
	ds_store_b64 v0, v[16:17]
.LBB4_43:
	s_wait_xcnt 0x0
	s_or_b32 exec_lo, exec_lo, s1
	v_mov_b64_e32 v[48:49], 0
	s_wait_loadcnt 0x0
	v_and_b32_e32 v72, 0xffff, v18
	s_mov_b32 s43, exec_lo
	v_cmpx_lt_i64_e32 0, v[4:5]
	s_cbranch_execz .LBB4_3344
; %bb.44:
	flat_load_b32 v8, v[2:3] offset:4
	s_wait_xcnt 0x0
	v_and_b32_e32 v2, 0x1fffff00, v14
	v_dual_mov_b32 v3, 0 :: v_dual_bitop2_b32 v9, 31, v31 bitop3:0x40
	s_ashr_i32 s17, s16, 31
	s_ashr_i32 s7, s6, 31
	v_dual_ashrrev_i32 v35, 31, v34 :: v_dual_lshrrev_b32 v52, 5, v1
	s_delay_alu instid0(VALU_DEP_2)
	v_mul_u64_e32 v[68:69], s[16:17], v[2:3]
	s_lshr_b32 s7, s7, 29
	s_add_co_i32 s44, s16, s16
	s_add_co_i32 s13, s6, s7
	s_not_b32 s12, s16
	v_dual_mov_b32 v77, 0x88 :: v_dual_lshlrev_b32 v78, 9, v52
	v_dual_lshlrev_b32 v79, 6, v52 :: v_dual_mov_b32 v65, v3
	s_ashr_i32 s14, s13, 4
	s_cmp_gt_i32 s16, 0
	v_mov_b64_e32 v[112:113], v[2:3]
	s_cselect_b32 s12, s12, -1
	s_ashr_i32 s13, s13, 31
	v_lshl_add_u32 v80, v52, 10, 0xfffffc00
	v_lshl_add_u32 v82, v52, 8, 0xffffff00
	v_add_nc_u32_e32 v84, 0xfffffe00, v78
	v_subrev_nc_u32_e32 v86, 64, v79
	s_lshr_b32 s13, s13, 28
	v_dual_lshrrev_b32 v74, 5, v0 :: v_dual_bitop2_b32 v73, 31, v0 bitop3:0x40
	s_add_co_i32 s24, s12, s44
	s_add_co_i32 s14, s14, s13
	s_ashr_i32 s25, s24, 31
	s_ashr_i32 s45, s14, 4
	v_dual_ashrrev_i32 v81, 31, v80 :: v_dual_ashrrev_i32 v83, 31, v82
	v_dual_ashrrev_i32 v85, 31, v84 :: v_dual_ashrrev_i32 v87, 31, v86
	s_cmp_gt_i32 s16, 2
	v_cmp_eq_u32_e64 s6, 0, v9
	v_dual_lshlrev_b32 v9, 4, v73 :: v_dual_mov_b32 v71, v3
	s_cselect_b32 s46, -1, 0
	s_add_co_i32 s13, s16, 1
	s_add_co_i32 s47, s33, 0xd0
	;; [unrolled: 1-line block ×13, first 2 shown]
	v_cmp_ge_u32_e32 vcc_lo, v0, v1
	v_mov_b64_e32 v[54:55], 0
	s_wait_dscnt 0x2
	v_cmp_eq_u64_e64 s4, 0, v[38:39]
	v_cmp_ne_u64_e64 s5, 0, v[38:39]
	v_mov_b64_e32 v[66:67], 0
	v_mov_b64_e32 v[48:49], 0
	v_add_nc_u64_e32 v[96:97], 0x400, v[80:81]
	v_add_nc_u64_e32 v[98:99], 0x100, v[82:83]
	v_add_nc_u64_e32 v[100:101], 0x200, v[84:85]
	v_add_nc_u64_e32 v[102:103], 64, v[86:87]
	v_cmp_eq_u32_e64 s1, 32, v1
	v_cmp_ne_u32_e64 s2, 32, v1
	v_cmp_ne_u32_e64 s3, v1, v72
	v_dual_mov_b32 v75, 1 :: v_dual_lshlrev_b32 v64, 4, v0
	v_dual_mov_b32 v76, 0x90 :: v_dual_mov_b32 v53, v3
	v_cmp_eq_u32_e64 s7, 0, v73
	v_cmp_lt_u32_e64 s10, v73, v15
	v_cmp_le_u32_e64 s11, v73, v15
	v_lshl_or_b32 v70, v74, 10, v9
	s_mov_b32 s19, 0
	s_mov_b64 s[20:21], 0xffffffff
	s_add_nc_u64 s[22:23], s[16:17], -1
	s_mov_b32 s79, 0
	s_trap 2
	s_wait_loadcnt_dscnt 0x0
	v_and_b32_e32 v2, 1, v8
	s_delay_alu instid0(VALU_DEP_1)
	v_cmp_eq_u32_e64 s12, 1, v2
	s_xor_b32 s75, s12, -1
	s_cmp_ge_i32 s13, s16
	s_cselect_b32 s14, s16, 0
	s_add_co_i32 s76, s16, -2
	s_sub_co_i32 s28, s13, s14
	s_xor_b32 s77, vcc_lo, -1
	s_ashr_i32 s26, s17, 31
	s_sub_co_i32 s78, 0, s16
	s_ashr_i32 s29, s28, 31
	s_branch .LBB4_47
.LBB4_45:                               ;   in Loop: Header=BB4_47 Depth=1
	s_or_b32 exec_lo, exec_lo, s15
.LBB4_46:                               ;   in Loop: Header=BB4_47 Depth=1
	s_delay_alu instid0(SALU_CYCLE_1) | instskip(SKIP_1) | instid1(VALU_DEP_1)
	s_or_b32 exec_lo, exec_lo, s14
	v_add_nc_u64_e32 v[66:67], v[66:67], v[68:69]
	v_cmp_ge_i64_e32 vcc_lo, v[66:67], v[4:5]
	s_or_b32 s79, vcc_lo, s79
	s_delay_alu instid0(SALU_CYCLE_1)
	s_and_not1_b32 exec_lo, exec_lo, s79
	s_cbranch_execz .LBB4_3343
.LBB4_47:                               ; =>This Loop Header: Depth=1
                                        ;     Child Loop BB4_57 Depth 2
                                        ;       Child Loop BB4_65 Depth 3
                                        ;       Child Loop BB4_89 Depth 3
	;; [unrolled: 1-line block ×9, first 2 shown]
                                        ;     Child Loop BB4_578 Depth 2
                                        ;       Child Loop BB4_584 Depth 3
                                        ;       Child Loop BB4_608 Depth 3
                                        ;       Child Loop BB4_633 Depth 3
                                        ;     Child Loop BB4_652 Depth 2
                                        ;       Child Loop BB4_655 Depth 3
                                        ;         Child Loop BB4_663 Depth 4
                                        ;         Child Loop BB4_691 Depth 4
                                        ;         Child Loop BB4_710 Depth 4
                                        ;         Child Loop BB4_739 Depth 4
                                        ;           Child Loop BB4_740 Depth 5
                                        ;           Child Loop BB4_809 Depth 5
                                        ;         Child Loop BB4_948 Depth 4
                                        ;           Child Loop BB4_949 Depth 5
                                        ;           Child Loop BB4_1018 Depth 5
                                        ;         Child Loop BB4_1159 Depth 4
                                        ;         Child Loop BB4_1266 Depth 4
                                        ;           Child Loop BB4_1267 Depth 5
                                        ;           Child Loop BB4_1280 Depth 5
                                        ;         Child Loop BB4_1307 Depth 4
                                        ;         Child Loop BB4_1326 Depth 4
                                        ;       Child Loop BB4_1345 Depth 3
                                        ;         Child Loop BB4_1351 Depth 4
                                        ;         Child Loop BB4_1379 Depth 4
	;; [unrolled: 1-line block ×3, first 2 shown]
                                        ;     Child Loop BB4_1420 Depth 2
                                        ;       Child Loop BB4_1428 Depth 3
                                        ;       Child Loop BB4_1456 Depth 3
	;; [unrolled: 1-line block ×4, first 2 shown]
                                        ;         Child Loop BB4_1499 Depth 4
                                        ;         Child Loop BB4_1566 Depth 4
	;; [unrolled: 1-line block ×4, first 2 shown]
                                        ;       Child Loop BB4_1709 Depth 3
                                        ;       Child Loop BB4_1714 Depth 3
                                        ;         Child Loop BB4_1715 Depth 4
                                        ;         Child Loop BB4_1782 Depth 4
                                        ;         Child Loop BB4_1786 Depth 4
                                        ;         Child Loop BB4_1852 Depth 4
                                        ;       Child Loop BB4_1922 Depth 3
                                        ;       Child Loop BB4_1930 Depth 3
	;; [unrolled: 1-line block ×3, first 2 shown]
                                        ;         Child Loop BB4_2040 Depth 4
                                        ;         Child Loop BB4_2051 Depth 4
	;; [unrolled: 1-line block ×4, first 2 shown]
                                        ;       Child Loop BB4_2078 Depth 3
                                        ;       Child Loop BB4_2090 Depth 3
                                        ;         Child Loop BB4_2091 Depth 4
                                        ;         Child Loop BB4_2160 Depth 4
                                        ;       Child Loop BB4_2301 Depth 3
                                        ;         Child Loop BB4_2302 Depth 4
                                        ;         Child Loop BB4_2371 Depth 4
                                        ;       Child Loop BB4_2512 Depth 3
                                        ;       Child Loop BB4_2619 Depth 3
                                        ;         Child Loop BB4_2620 Depth 4
                                        ;         Child Loop BB4_2633 Depth 4
                                        ;       Child Loop BB4_2660 Depth 3
                                        ;       Child Loop BB4_2683 Depth 3
                                        ;     Child Loop BB4_2702 Depth 2
                                        ;       Child Loop BB4_2708 Depth 3
                                        ;       Child Loop BB4_2736 Depth 3
	;; [unrolled: 1-line block ×3, first 2 shown]
                                        ;     Child Loop BB4_2777 Depth 2
                                        ;       Child Loop BB4_2780 Depth 3
                                        ;         Child Loop BB4_2788 Depth 4
                                        ;         Child Loop BB4_2816 Depth 4
	;; [unrolled: 1-line block ×4, first 2 shown]
                                        ;           Child Loop BB4_2860 Depth 5
                                        ;           Child Loop BB4_2865 Depth 5
                                        ;         Child Loop BB4_2878 Depth 4
                                        ;         Child Loop BB4_2883 Depth 4
                                        ;           Child Loop BB4_2885 Depth 5
                                        ;           Child Loop BB4_2890 Depth 5
                                        ;         Child Loop BB4_2896 Depth 4
                                        ;         Child Loop BB4_2904 Depth 4
	;; [unrolled: 1-line block ×3, first 2 shown]
                                        ;           Child Loop BB4_2916 Depth 5
                                        ;           Child Loop BB4_2921 Depth 5
                                        ;         Child Loop BB4_2925 Depth 4
                                        ;         Child Loop BB4_2937 Depth 4
	;; [unrolled: 1-line block ×7, first 2 shown]
                                        ;       Child Loop BB4_3030 Depth 3
                                        ;         Child Loop BB4_3036 Depth 4
                                        ;         Child Loop BB4_3064 Depth 4
	;; [unrolled: 1-line block ×3, first 2 shown]
                                        ;     Child Loop BB4_3108 Depth 2
                                        ;       Child Loop BB4_3116 Depth 3
                                        ;       Child Loop BB4_3140 Depth 3
	;; [unrolled: 1-line block ×9, first 2 shown]
                                        ;     Child Loop BB4_3277 Depth 2
                                        ;       Child Loop BB4_3283 Depth 3
                                        ;       Child Loop BB4_3307 Depth 3
	;; [unrolled: 1-line block ×3, first 2 shown]
	v_sub_nc_u64_e32 v[116:117], v[4:5], v[66:67]
	s_mov_b32 s40, exec_lo
	s_delay_alu instid0(VALU_DEP_1)
	v_cmpx_lt_i64_e64 v[116:117], v[68:69]
	s_cbranch_execz .LBB4_53
; %bb.48:                               ;   in Loop: Header=BB4_47 Depth=1
	v_add_nc_u64_e32 v[8:9], s[22:23], v[116:117]
	s_delay_alu instid0(VALU_DEP_1) | instskip(NEXT) | instid1(VALU_DEP_1)
	v_dual_mov_b32 v10, v3 :: v_dual_bitop2_b32 v11, s17, v9 bitop3:0x54
	v_cmp_ne_u64_e32 vcc_lo, 0, v[10:11]
                                        ; implicit-def: $vgpr10_vgpr11
	s_and_saveexec_b32 s13, vcc_lo
	s_delay_alu instid0(SALU_CYCLE_1)
	s_xor_b32 s41, exec_lo, s13
	s_cbranch_execz .LBB4_50
; %bb.49:                               ;   in Loop: Header=BB4_47 Depth=1
	s_mov_b32 s27, s26
	v_dual_mov_b32 v15, v3 :: v_dual_ashrrev_i32 v10, 31, v9
	s_add_nc_u64 s[14:15], s[16:17], s[26:27]
	v_mov_b32_e32 v19, v3
	s_xor_b64 s[14:15], s[14:15], s[26:27]
	s_delay_alu instid0(VALU_DEP_2) | instskip(SKIP_3) | instid1(VALU_DEP_1)
	v_mov_b32_e32 v11, v10
	s_cvt_f32_u32 s13, s14
	s_cvt_f32_u32 s18, s15
	s_sub_nc_u64 s[90:91], 0, s[14:15]
	v_add_nc_u64_e32 v[8:9], v[8:9], v[10:11]
	s_delay_alu instid0(SALU_CYCLE_1) | instskip(NEXT) | instid1(SALU_CYCLE_3)
	s_fmamk_f32 s13, s18, 0x4f800000, s13
	v_s_rcp_f32 s13, s13
	s_delay_alu instid0(VALU_DEP_1) | instskip(NEXT) | instid1(VALU_DEP_2)
	v_xor_b32_e32 v2, v8, v10
	v_xor_b32_e32 v14, v9, v10
	;; [unrolled: 1-line block ×3, first 2 shown]
	s_delay_alu instid0(TRANS32_DEP_1) | instskip(NEXT) | instid1(SALU_CYCLE_3)
	s_mul_f32 s13, s13, 0x5f7ffffc
	s_mul_f32 s18, s13, 0x2f800000
	s_delay_alu instid0(SALU_CYCLE_3) | instskip(NEXT) | instid1(SALU_CYCLE_3)
	s_trunc_f32 s18, s18
	s_fmamk_f32 s13, s18, 0xcf800000, s13
	s_cvt_u32_f32 s89, s18
	s_delay_alu instid0(SALU_CYCLE_2) | instskip(NEXT) | instid1(SALU_CYCLE_3)
	s_cvt_u32_f32 s88, s13
	s_mul_u64 s[92:93], s[90:91], s[88:89]
	s_delay_alu instid0(SALU_CYCLE_1)
	s_mul_hi_u32 s95, s88, s93
	s_mul_i32 s94, s88, s93
	s_mul_hi_u32 s18, s88, s92
	s_mul_i32 s27, s89, s92
	s_add_nc_u64 s[94:95], s[18:19], s[94:95]
	s_mul_hi_u32 s13, s89, s92
	s_mul_hi_u32 vcc_lo, s89, s93
	s_add_co_u32 s18, s94, s27
	s_add_co_ci_u32 s18, s95, s13
	s_mul_i32 s92, s89, s93
	s_add_co_ci_u32 s93, vcc_lo, 0
	s_delay_alu instid0(SALU_CYCLE_1) | instskip(NEXT) | instid1(SALU_CYCLE_1)
	s_add_nc_u64 s[92:93], s[18:19], s[92:93]
	s_add_co_u32 s88, s88, s92
	s_cselect_b32 s13, -1, 0
	s_delay_alu instid0(SALU_CYCLE_1) | instskip(SKIP_1) | instid1(SALU_CYCLE_1)
	s_cmp_lg_u32 s13, 0
	s_add_co_ci_u32 s89, s89, s93
	s_mul_u64 s[90:91], s[90:91], s[88:89]
	s_delay_alu instid0(SALU_CYCLE_1)
	s_mul_hi_u32 s93, s88, s91
	s_mul_i32 s92, s88, s91
	s_mul_hi_u32 s18, s88, s90
	s_mul_i32 s27, s89, s90
	s_add_nc_u64 s[92:93], s[18:19], s[92:93]
	s_mul_hi_u32 s13, s89, s90
	s_mul_hi_u32 s94, s89, s91
	s_add_co_u32 s18, s92, s27
	s_add_co_ci_u32 s18, s93, s13
	s_mul_i32 s90, s89, s91
	s_add_co_ci_u32 s91, s94, 0
	s_delay_alu instid0(SALU_CYCLE_1) | instskip(NEXT) | instid1(SALU_CYCLE_1)
	s_add_nc_u64 s[90:91], s[18:19], s[90:91]
	s_add_co_u32 s88, s88, s90
	s_cselect_b32 s13, -1, 0
	v_mul_hi_u32 v18, v2, s88
	s_cmp_lg_u32 s13, 0
	s_add_co_ci_u32 s18, s89, s91
	s_and_b64 s[90:91], s[88:89], s[20:21]
	v_mul_u64_e32 v[12:13], s[18:19], v[2:3]
	v_mul_u64_e32 v[8:9], s[90:91], v[14:15]
	;; [unrolled: 1-line block ×3, first 2 shown]
	s_delay_alu instid0(VALU_DEP_3) | instskip(NEXT) | instid1(VALU_DEP_1)
	v_add_nc_u64_e32 v[12:13], v[18:19], v[12:13]
	v_add_co_u32 v8, vcc_lo, v12, v8
	s_delay_alu instid0(VALU_DEP_2) | instskip(NEXT) | instid1(VALU_DEP_4)
	v_add_co_ci_u32_e32 v18, vcc_lo, v13, v9, vcc_lo
	v_add_co_ci_u32_e32 v17, vcc_lo, 0, v17, vcc_lo
	s_delay_alu instid0(VALU_DEP_1) | instskip(NEXT) | instid1(VALU_DEP_1)
	v_add_nc_u64_e32 v[8:9], v[18:19], v[16:17]
	v_mul_u64_e32 v[12:13], s[14:15], v[8:9]
	s_delay_alu instid0(VALU_DEP_1) | instskip(NEXT) | instid1(VALU_DEP_2)
	v_sub_nc_u32_e32 v11, v14, v13
	v_sub_co_u32 v2, vcc_lo, v2, v12
	s_delay_alu instid0(VALU_DEP_1) | instskip(NEXT) | instid1(VALU_DEP_3)
	v_sub_co_ci_u32_e64 v16, null, v14, v13, vcc_lo
	v_subrev_co_ci_u32_e64 v11, null, s15, v11, vcc_lo
	s_delay_alu instid0(VALU_DEP_3) | instskip(SKIP_1) | instid1(VALU_DEP_3)
	v_sub_co_u32 v12, s13, v2, s14
	v_add_nc_u64_e32 v[14:15], 1, v[8:9]
	v_subrev_co_ci_u32_e64 v11, null, 0, v11, s13
	s_delay_alu instid0(VALU_DEP_3) | instskip(SKIP_1) | instid1(VALU_DEP_3)
	v_cmp_le_u32_e32 vcc_lo, s14, v12
	v_cndmask_b32_e64 v12, 0, -1, vcc_lo
	v_cmp_le_u32_e32 vcc_lo, s15, v11
	v_cndmask_b32_e64 v13, 0, -1, vcc_lo
	v_cmp_le_u32_e32 vcc_lo, s14, v2
	v_cndmask_b32_e64 v2, 0, -1, vcc_lo
	v_cmp_le_u32_e32 vcc_lo, s15, v16
	v_cndmask_b32_e64 v17, 0, -1, vcc_lo
	v_cmp_eq_u32_e32 vcc_lo, s15, v11
	v_cndmask_b32_e32 v11, v13, v12, vcc_lo
	v_cmp_eq_u32_e32 vcc_lo, s15, v16
	v_add_nc_u64_e32 v[12:13], 2, v[8:9]
	v_cndmask_b32_e32 v2, v17, v2, vcc_lo
	s_delay_alu instid0(VALU_DEP_4) | instskip(NEXT) | instid1(VALU_DEP_2)
	v_cmp_ne_u32_e32 vcc_lo, 0, v11
	v_cmp_ne_u32_e64 s13, 0, v2
	s_delay_alu instid0(VALU_DEP_4) | instskip(NEXT) | instid1(VALU_DEP_1)
	v_dual_cndmask_b32 v11, v15, v13 :: v_dual_cndmask_b32 v2, v14, v12
	v_dual_cndmask_b32 v9, v9, v11, s13 :: v_dual_cndmask_b32 v2, v8, v2, s13
	s_delay_alu instid0(VALU_DEP_1) | instskip(NEXT) | instid1(VALU_DEP_2)
	v_dual_mov_b32 v11, v10 :: v_dual_bitop2_b32 v9, v9, v10 bitop3:0x14
	v_xor_b32_e32 v8, v2, v10
	s_delay_alu instid0(VALU_DEP_1)
	v_sub_nc_u64_e32 v[10:11], v[8:9], v[10:11]
                                        ; implicit-def: $vgpr8_vgpr9
.LBB4_50:                               ;   in Loop: Header=BB4_47 Depth=1
	s_and_not1_saveexec_b32 s13, s41
	s_cbranch_execz .LBB4_52
; %bb.51:                               ;   in Loop: Header=BB4_47 Depth=1
	v_cvt_f32_u32_e32 v2, s16
	s_delay_alu instid0(VALU_DEP_1) | instskip(SKIP_1) | instid1(TRANS32_DEP_1)
	v_rcp_iflag_f32_e32 v2, v2
	v_nop
	v_mul_f32_e32 v2, 0x4f7ffffe, v2
	s_delay_alu instid0(VALU_DEP_1) | instskip(NEXT) | instid1(VALU_DEP_1)
	v_cvt_u32_f32_e32 v2, v2
	v_mul_lo_u32 v9, s78, v2
	s_delay_alu instid0(VALU_DEP_1) | instskip(NEXT) | instid1(VALU_DEP_1)
	v_mul_hi_u32 v9, v2, v9
	v_add_nc_u32_e32 v2, v2, v9
	s_delay_alu instid0(VALU_DEP_1) | instskip(NEXT) | instid1(VALU_DEP_1)
	v_mul_hi_u32 v2, v8, v2
	v_mul_lo_u32 v9, v2, s16
	s_delay_alu instid0(VALU_DEP_1) | instskip(NEXT) | instid1(VALU_DEP_1)
	v_dual_sub_nc_u32 v8, v8, v9 :: v_dual_add_nc_u32 v9, 1, v2
	v_subrev_nc_u32_e32 v10, s16, v8
	v_cmp_le_u32_e32 vcc_lo, s16, v8
	s_delay_alu instid0(VALU_DEP_2) | instskip(NEXT) | instid1(VALU_DEP_1)
	v_dual_cndmask_b32 v8, v8, v10, vcc_lo :: v_dual_cndmask_b32 v2, v2, v9, vcc_lo
	v_cmp_le_u32_e32 vcc_lo, s16, v8
	s_delay_alu instid0(VALU_DEP_2) | instskip(NEXT) | instid1(VALU_DEP_1)
	v_add_nc_u32_e32 v9, 1, v2
	v_cndmask_b32_e32 v2, v2, v9, vcc_lo
	s_delay_alu instid0(VALU_DEP_1)
	v_mov_b64_e32 v[10:11], v[2:3]
.LBB4_52:                               ;   in Loop: Header=BB4_47 Depth=1
	s_or_b32 exec_lo, exec_lo, s13
	s_delay_alu instid0(VALU_DEP_1) | instskip(NEXT) | instid1(VALU_DEP_1)
	v_add_nc_u64_e32 v[112:113], 7, v[10:11]
	v_and_b32_e32 v112, -8, v112
.LBB4_53:                               ;   in Loop: Header=BB4_47 Depth=1
	s_or_b32 exec_lo, exec_lo, s40
	s_delay_alu instid0(VALU_DEP_1) | instskip(SKIP_2) | instid1(VALU_DEP_3)
	v_mul_u64_e32 v[44:45], s[24:25], v[112:113]
	v_add_nc_u64_e32 v[118:119], v[66:67], v[24:25]
	v_mov_b32_e32 v42, 0
	v_sub_nc_u64_e32 v[8:9], v[116:117], v[44:45]
	s_delay_alu instid0(VALU_DEP_1) | instskip(NEXT) | instid1(VALU_DEP_1)
	v_min_i64 v[8:9], v[112:113], v[8:9]
	v_max_i32_e32 v62, 0, v8
	v_cmp_lt_i32_e32 vcc_lo, 0, v8
	s_delay_alu instid0(VALU_DEP_2) | instskip(SKIP_1) | instid1(VALU_DEP_1)
	v_add_nc_u32_e32 v2, 31, v62
	s_and_b32 s13, s77, vcc_lo
	v_lshrrev_b32_e32 v2, 1, v2
	s_delay_alu instid0(VALU_DEP_1) | instskip(SKIP_1) | instid1(VALU_DEP_1)
	v_and_b32_e32 v9, 0x3ffffff0, v2
	s_wait_dscnt 0x0
	v_dual_mov_b32 v2, 0 :: v_dual_max_i32 v40, s45, v9
	s_and_saveexec_b32 s14, s13
	s_cbranch_execz .LBB4_574
; %bb.54:                               ;   in Loop: Header=BB4_47 Depth=1
	v_mov_b32_e32 v42, 0
	s_mov_b32 s27, 1
	s_mov_b32 s18, -1
	s_mov_b32 s15, 0
	s_branch .LBB4_57
.LBB4_55:                               ;   in Loop: Header=BB4_57 Depth=2
	s_wait_xcnt 0x0
	s_or_b32 exec_lo, exec_lo, s40
	v_add_nc_u64_e32 v[114:115], 2, v[114:115]
	global_wb scope:SCOPE_SYS
	s_wait_storecnt 0x0
	s_wait_loadcnt_dscnt 0x0
	flat_store_b64 v[32:33], v[114:115] scope:SCOPE_SYS
.LBB4_56:                               ;   in Loop: Header=BB4_57 Depth=2
	s_wait_xcnt 0x0
	s_or_b32 exec_lo, exec_lo, s13
	v_dual_add_nc_u32 v42, v40, v42 :: v_dual_mov_b32 v2, s27
	s_xor_b32 s13, s18, -1
	s_mov_b32 s18, 0
	s_mov_b32 s27, 2
	s_delay_alu instid0(VALU_DEP_1) | instskip(SKIP_1) | instid1(SALU_CYCLE_1)
	v_cmp_ge_i32_e32 vcc_lo, v42, v62
	s_or_b32 s13, s13, vcc_lo
	s_and_b32 s13, exec_lo, s13
	s_delay_alu instid0(SALU_CYCLE_1) | instskip(NEXT) | instid1(SALU_CYCLE_1)
	s_or_b32 s15, s13, s15
	s_and_not1_b32 exec_lo, exec_lo, s15
	s_cbranch_execz .LBB4_573
.LBB4_57:                               ;   Parent Loop BB4_47 Depth=1
                                        ; =>  This Loop Header: Depth=2
                                        ;       Child Loop BB4_65 Depth 3
                                        ;       Child Loop BB4_89 Depth 3
	;; [unrolled: 1-line block ×9, first 2 shown]
	s_and_saveexec_b32 s13, s0
	s_cbranch_execz .LBB4_59
; %bb.58:                               ;   in Loop: Header=BB4_57 Depth=2
	s_trap 2
	ds_load_b64 v[8:9], v0
	v_ashrrev_i32_e32 v43, 31, v42
	s_wait_dscnt 0x0
	v_lshl_add_u64 v[8:9], v[118:119], 1, v[8:9]
	s_delay_alu instid0(VALU_DEP_1) | instskip(NEXT) | instid1(VALU_DEP_1)
	v_lshl_add_u64 v[8:9], v[44:45], 1, v[8:9]
	v_lshl_add_u64 v[8:9], v[42:43], 1, v[8:9]
	ds_store_b64 v0, v[8:9]
	ds_store_b64 v0, v[54:55]
.LBB4_59:                               ;   in Loop: Header=BB4_57 Depth=2
	s_or_b32 exec_lo, exec_lo, s13
	v_sub_nc_u32_e32 v2, v62, v42
	v_and_b32_e32 v8, 8, v30
	s_mov_b32 s40, exec_lo
	s_delay_alu instid0(VALU_DEP_2) | instskip(NEXT) | instid1(VALU_DEP_2)
	v_min_i32_e32 v40, v40, v2
	v_cmpx_ne_u32_e32 0, v8
	s_cbranch_execz .LBB4_81
; %bb.60:                               ;   in Loop: Header=BB4_57 Depth=2
	s_wait_loadcnt 0x0
	v_add_nc_u64_e32 v[10:11], 8, v[50:51]
	v_add_nc_u64_e32 v[8:9], 2, v[114:115]
	s_mov_b32 s41, exec_lo
	s_delay_alu instid0(VALU_DEP_1)
	v_cmpx_lt_u64_e64 v[10:11], v[8:9]
	s_cbranch_execz .LBB4_72
; %bb.61:                               ;   in Loop: Header=BB4_57 Depth=2
	v_and_b32_e32 v2, 64, v30
	s_mov_b32 s88, 0
	s_mov_b32 s92, 0
                                        ; implicit-def: $sgpr89
                                        ; implicit-def: $sgpr90
                                        ; implicit-def: $sgpr91
	s_delay_alu instid0(VALU_DEP_1)
	v_cmp_eq_u32_e32 vcc_lo, 0, v2
	s_branch .LBB4_65
.LBB4_62:                               ;   in Loop: Header=BB4_65 Depth=3
	s_wait_loadcnt_dscnt 0x0
	v_add_nc_u64_e32 v[10:11], 8, v[50:51]
	s_or_b32 s95, s95, exec_lo
	s_delay_alu instid0(VALU_DEP_1)
	v_cmp_ge_u64_e64 s13, v[10:11], v[8:9]
	s_or_not1_b32 s94, s13, exec_lo
.LBB4_63:                               ;   in Loop: Header=BB4_65 Depth=3
	s_or_b32 exec_lo, exec_lo, s30
	s_delay_alu instid0(SALU_CYCLE_1)
	s_and_not1_b32 s13, s91, exec_lo
	s_and_b32 s91, s95, exec_lo
	s_and_not1_b32 s90, s90, exec_lo
	s_and_b32 s94, s94, exec_lo
	s_or_b32 s91, s13, s91
	s_or_b32 s90, s90, s94
.LBB4_64:                               ;   in Loop: Header=BB4_65 Depth=3
	s_or_b32 exec_lo, exec_lo, s93
	s_delay_alu instid0(SALU_CYCLE_1) | instskip(NEXT) | instid1(SALU_CYCLE_1)
	s_and_b32 s13, exec_lo, s90
	s_or_b32 s88, s13, s88
	s_and_not1_b32 s13, s89, exec_lo
	s_and_b32 s89, s91, exec_lo
	s_delay_alu instid0(SALU_CYCLE_1)
	s_or_b32 s89, s13, s89
	s_and_not1_b32 exec_lo, exec_lo, s88
	s_cbranch_execz .LBB4_69
.LBB4_65:                               ;   Parent Loop BB4_47 Depth=1
                                        ;     Parent Loop BB4_57 Depth=2
                                        ; =>    This Inner Loop Header: Depth=3
	s_sleep 1
	s_wait_loadcnt_dscnt 0x0
	flat_load_b64 v[50:51], v[32:33] scope:SCOPE_SYS
	s_or_b32 s91, s91, exec_lo
	s_or_b32 s90, s90, exec_lo
                                        ; implicit-def: $vgpr2
	s_wait_xcnt 0x0
	s_and_saveexec_b32 s93, vcc_lo
	s_cbranch_execz .LBB4_64
; %bb.66:                               ;   in Loop: Header=BB4_65 Depth=3
	s_cmp_lt_i32 s92, 0x270f
	s_mov_b32 s94, -1
	s_cselect_b32 vcc_hi, -1, 0
	s_cmp_gt_i32 s92, 0x270e
	s_cbranch_scc0 .LBB4_68
; %bb.67:                               ;   in Loop: Header=BB4_65 Depth=3
	s_trap 2
	ds_load_b64 v[10:11], v0
	s_and_not1_b32 s92, vcc_hi, exec_lo
	s_mov_b32 s95, 0
	s_wait_storecnt 0x0
	s_wait_loadcnt_dscnt 0x0
	flat_load_b32 v2, v[10:11] scope:SCOPE_SYS
	s_wait_loadcnt_dscnt 0x0
	global_inv scope:SCOPE_SYS
	v_cmp_eq_u32_e64 s13, 0, v2
	s_and_b32 s13, s13, exec_lo
	s_delay_alu instid0(SALU_CYCLE_1)
	s_or_b32 vcc_hi, s92, s13
	s_mov_b32 s92, 0
	s_wait_xcnt 0x0
	s_and_saveexec_b32 s30, vcc_hi
	s_cbranch_execz .LBB4_63
	s_branch .LBB4_62
.LBB4_68:                               ;   in Loop: Header=BB4_65 Depth=3
	s_add_co_i32 s92, s92, 1
	s_mov_b32 s95, -1
                                        ; implicit-def: $vgpr2
	s_and_saveexec_b32 s30, vcc_hi
	s_cbranch_execz .LBB4_63
	s_branch .LBB4_62
.LBB4_69:                               ;   in Loop: Header=BB4_57 Depth=2
	s_or_b32 exec_lo, exec_lo, s88
	s_xor_b32 s13, s89, -1
	s_delay_alu instid0(SALU_CYCLE_1) | instskip(NEXT) | instid1(SALU_CYCLE_1)
	s_and_saveexec_b32 s88, s13
	s_xor_b32 s13, exec_lo, s88
	s_cbranch_execz .LBB4_71
; %bb.70:                               ;   in Loop: Header=BB4_57 Depth=2
	v_or_b32_e32 v30, 64, v30
	s_wait_storecnt 0x0
	s_wait_loadcnt_dscnt 0x0
	ds_store_b32 v0, v2
	s_trap 2
.LBB4_71:                               ;   in Loop: Header=BB4_57 Depth=2
	s_or_b32 exec_lo, exec_lo, s13
.LBB4_72:                               ;   in Loop: Header=BB4_57 Depth=2
	s_delay_alu instid0(SALU_CYCLE_1) | instskip(SKIP_4) | instid1(VALU_DEP_1)
	s_or_b32 exec_lo, exec_lo, s41
	v_and_b32_e32 v2, 0x100, v30
	s_mov_b32 s41, 0
	s_mov_b32 s13, exec_lo
	;;#ASMSTART
	s_wakeup
	;;#ASMEND
                                        ; implicit-def: $vgpr10_vgpr11
	v_cmpx_ne_u32_e32 0, v2
	s_xor_b32 s13, exec_lo, s13
	s_cbranch_execz .LBB4_93
; %bb.73:                               ;   in Loop: Header=BB4_57 Depth=2
	v_dual_ashrrev_i32 v41, 31, v40 :: v_dual_bitop2_b32 v2, 7, v114 bitop3:0x40
	s_mov_b32 s41, -1
	s_mov_b32 s88, exec_lo
	s_delay_alu instid0(VALU_DEP_1) | instskip(NEXT) | instid1(VALU_DEP_2)
	v_mad_nc_u64_u32 v[12:13], v2, 24, v[6:7]
	v_lshlrev_b64_e32 v[10:11], 1, v[40:41]
	s_clause 0x1
	flat_load_b32 v14, v[12:13]
	flat_store_b64 v[12:13], v[10:11] offset:8
                                        ; implicit-def: $vgpr10_vgpr11
	s_wait_loadcnt_dscnt 0x1
	s_wait_xcnt 0x0
	v_cmpx_eq_u32_e32 1, v14
	s_cbranch_execz .LBB4_75
; %bb.74:                               ;   in Loop: Header=BB4_57 Depth=2
	flat_load_b32 v10, v[12:13] offset:4 scope:SCOPE_SYS
	s_xor_b32 s41, exec_lo, -1
	s_wait_loadcnt_dscnt 0x0
	v_ashrrev_i32_e32 v11, 31, v10
	s_delay_alu instid0(VALU_DEP_1)
	v_lshrrev_b64 v[10:11], 1, v[10:11]
.LBB4_75:                               ;   in Loop: Header=BB4_57 Depth=2
	s_wait_xcnt 0x0
	s_or_b32 exec_lo, exec_lo, s88
	s_delay_alu instid0(SALU_CYCLE_1)
	s_and_b32 s41, s41, exec_lo
                                        ; implicit-def: $vgpr114_vgpr115
	s_and_not1_saveexec_b32 s13, s13
	s_cbranch_execnz .LBB4_94
.LBB4_76:                               ;   in Loop: Header=BB4_57 Depth=2
	s_or_b32 exec_lo, exec_lo, s13
	s_and_saveexec_b32 s13, s41
.LBB4_77:                               ;   in Loop: Header=BB4_57 Depth=2
	v_mul_u64_e32 v[10:11], v[2:3], v[34:35]
.LBB4_78:                               ;   in Loop: Header=BB4_57 Depth=2
	s_or_b32 exec_lo, exec_lo, s13
	v_and_b32_e32 v2, 0x2000, v30
	s_delay_alu instid0(VALU_DEP_2)
	v_lshl_add_u64 v[10:11], v[10:11], 1, v[36:37]
	s_mov_b32 s13, exec_lo
	ds_store_b64 v0, v[10:11] offset:784
	v_cmpx_ne_u32_e32 0, v2
	s_cbranch_execz .LBB4_80
; %bb.79:                               ;   in Loop: Header=BB4_57 Depth=2
	ds_load_b64 v[10:11], v0 offset:872
	s_wait_dscnt 0x0
	v_add_nc_u64_e32 v[10:11], 1, v[10:11]
	ds_store_b64 v0, v[10:11] offset:872
.LBB4_80:                               ;   in Loop: Header=BB4_57 Depth=2
	s_or_b32 exec_lo, exec_lo, s13
	v_mov_b64_e32 v[114:115], v[8:9]
.LBB4_81:                               ;   in Loop: Header=BB4_57 Depth=2
	s_or_b32 exec_lo, exec_lo, s40
	s_and_saveexec_b32 s13, s2
	s_cbranch_execz .LBB4_102
; %bb.82:                               ;   in Loop: Header=BB4_57 Depth=2
	s_and_saveexec_b32 s40, s3
	s_delay_alu instid0(SALU_CYCLE_1)
	s_xor_b32 s40, exec_lo, s40
	s_cbranch_execz .LBB4_99
; %bb.83:                               ;   in Loop: Header=BB4_57 Depth=2
	s_and_saveexec_b32 s41, s6
	s_cbranch_execz .LBB4_98
; %bb.84:                               ;   in Loop: Header=BB4_57 Depth=2
	s_mov_b32 s89, exec_lo
	s_mov_b32 s88, exec_lo
	v_mbcnt_lo_u32_b32 v2, s89, 0
	global_wb scope:SCOPE_DEV
	s_wait_storecnt 0x0
	s_wait_loadcnt_dscnt 0x0
	global_inv scope:SCOPE_DEV
	v_cmpx_eq_u32_e32 0, v2
	s_cbranch_execz .LBB4_86
; %bb.85:                               ;   in Loop: Header=BB4_57 Depth=2
	s_bcnt1_i32_b32 s89, s89
	s_delay_alu instid0(SALU_CYCLE_1)
	v_mov_b32_e32 v2, s89
	s_wait_loadcnt 0x0
	ds_add_u64 v0, v[2:3]
	s_trap 2
.LBB4_86:                               ;   in Loop: Header=BB4_57 Depth=2
	s_or_b32 exec_lo, exec_lo, s88
	s_trap 2
	ds_load_b64 v[8:9], v0
	s_wait_dscnt 0x0
	v_add_nc_u64_e32 v[48:49], v[48:49], v[52:53]
	s_mov_b32 s88, exec_lo
	s_delay_alu instid0(VALU_DEP_1)
	v_cmpx_lt_u64_e64 v[8:9], v[48:49]
	s_cbranch_execz .LBB4_97
; %bb.87:                               ;   in Loop: Header=BB4_57 Depth=2
	s_mov_b32 s89, 0
	s_mov_b32 s92, 0
                                        ; implicit-def: $sgpr90
                                        ; implicit-def: $sgpr91
	s_branch .LBB4_89
.LBB4_88:                               ;   in Loop: Header=BB4_89 Depth=3
	s_or_b32 exec_lo, exec_lo, s94
	s_delay_alu instid0(SALU_CYCLE_1) | instskip(NEXT) | instid1(SALU_CYCLE_1)
	s_and_b32 s93, exec_lo, s95
	s_or_b32 s89, s93, s89
	s_and_not1_b32 s90, s90, exec_lo
	s_and_b32 s93, s91, exec_lo
	s_delay_alu instid0(SALU_CYCLE_1)
	s_or_b32 s90, s90, s93
	s_and_not1_b32 exec_lo, exec_lo, s89
	s_cbranch_execz .LBB4_95
.LBB4_89:                               ;   Parent Loop BB4_47 Depth=1
                                        ;     Parent Loop BB4_57 Depth=2
                                        ; =>    This Inner Loop Header: Depth=3
	s_add_co_i32 s92, s92, 1
	s_delay_alu instid0(SALU_CYCLE_1) | instskip(SKIP_1) | instid1(SALU_CYCLE_1)
	s_cmp_lg_u32 s92, 0x2710
	s_cselect_b32 s93, -1, 0
	s_and_b32 vcc_lo, exec_lo, s93
	s_cbranch_vccz .LBB4_91
; %bb.90:                               ;   in Loop: Header=BB4_89 Depth=3
	s_mov_b32 s95, -1
	s_or_b32 s91, s91, exec_lo
	s_and_saveexec_b32 s94, s93
	s_cbranch_execz .LBB4_88
	s_branch .LBB4_92
.LBB4_91:                               ;   in Loop: Header=BB4_89 Depth=3
	s_trap 2
	ds_load_b64 v[8:9], v0
	s_and_not1_b32 s93, s93, exec_lo
	s_mov_b32 s92, 0
	s_wait_loadcnt_dscnt 0x0
	flat_load_b32 v2, v[8:9] scope:SCOPE_SYS
	s_wait_loadcnt_dscnt 0x0
	global_inv scope:SCOPE_SYS
	v_cmp_eq_u32_e32 vcc_lo, 0, v2
	s_and_b32 s94, vcc_lo, exec_lo
	s_delay_alu instid0(SALU_CYCLE_1)
	s_or_b32 s93, s93, s94
	s_mov_b32 s95, -1
	s_or_b32 s91, s91, exec_lo
	s_wait_xcnt 0x0
	s_and_saveexec_b32 s94, s93
	s_cbranch_execz .LBB4_88
.LBB4_92:                               ;   in Loop: Header=BB4_89 Depth=3
	s_sleep 1
	s_trap 2
	ds_load_b64 v[8:9], v0
	s_wait_dscnt 0x0
	s_and_not1_b32 s91, s91, exec_lo
	v_cmp_ge_u64_e32 vcc_lo, v[8:9], v[48:49]
	s_or_not1_b32 s95, vcc_lo, exec_lo
	s_branch .LBB4_88
.LBB4_93:                               ;   in Loop: Header=BB4_57 Depth=2
	s_and_not1_saveexec_b32 s13, s13
	s_cbranch_execz .LBB4_76
.LBB4_94:                               ;   in Loop: Header=BB4_57 Depth=2
	v_and_b32_e32 v2, 7, v114
	s_or_b32 s41, s41, exec_lo
	s_or_b32 exec_lo, exec_lo, s13
	s_and_saveexec_b32 s13, s41
	s_cbranch_execnz .LBB4_77
	s_branch .LBB4_78
.LBB4_95:                               ;   in Loop: Header=BB4_57 Depth=2
	s_or_b32 exec_lo, exec_lo, s89
	s_and_saveexec_b32 s89, s90
	s_delay_alu instid0(SALU_CYCLE_1)
	s_xor_b32 s89, exec_lo, s89
	s_cbranch_execz .LBB4_97
; %bb.96:                               ;   in Loop: Header=BB4_57 Depth=2
	ds_store_b32 v0, v75
	s_trap 2
.LBB4_97:                               ;   in Loop: Header=BB4_57 Depth=2
	s_or_b32 exec_lo, exec_lo, s88
	;;#ASMSTART
	s_wakeup
	;;#ASMEND
.LBB4_98:                               ;   in Loop: Header=BB4_57 Depth=2
	s_or_b32 exec_lo, exec_lo, s41
.LBB4_99:                               ;   in Loop: Header=BB4_57 Depth=2
	s_and_not1_saveexec_b32 s40, s40
	s_cbranch_execz .LBB4_101
; %bb.100:                              ;   in Loop: Header=BB4_57 Depth=2
	global_wb scope:SCOPE_DEV
	s_wait_storecnt 0x0
	s_wait_loadcnt_dscnt 0x0
	global_inv scope:SCOPE_DEV
	s_barrier_signal -1
	s_barrier_wait -1
.LBB4_101:                              ;   in Loop: Header=BB4_57 Depth=2
	s_or_b32 exec_lo, exec_lo, s40
.LBB4_102:                              ;   in Loop: Header=BB4_57 Depth=2
	s_delay_alu instid0(SALU_CYCLE_1) | instskip(SKIP_4) | instid1(VALU_DEP_1)
	s_or_b32 exec_lo, exec_lo, s13
	s_trap 2
	ds_load_b32 v8, v0
	v_and_b32_e32 v2, 0x4000, v30
	s_xor_b32 s13, s1, -1
	v_cmp_ne_u32_e32 vcc_lo, 0, v2
	s_and_b32 s40, s13, vcc_lo
	s_delay_alu instid0(SALU_CYCLE_1)
	s_and_saveexec_b32 s13, s40
	s_cbranch_execz .LBB4_121
; %bb.103:                              ;   in Loop: Header=BB4_57 Depth=2
	s_and_saveexec_b32 s40, s3
	s_delay_alu instid0(SALU_CYCLE_1)
	s_xor_b32 s40, exec_lo, s40
	s_cbranch_execz .LBB4_118
; %bb.104:                              ;   in Loop: Header=BB4_57 Depth=2
	s_and_saveexec_b32 s41, s6
	s_cbranch_execz .LBB4_117
; %bb.105:                              ;   in Loop: Header=BB4_57 Depth=2
	s_mov_b32 s89, exec_lo
	s_mov_b32 s88, exec_lo
	v_mbcnt_lo_u32_b32 v2, s89, 0
	global_wb scope:SCOPE_DEV
	s_wait_storecnt 0x0
	s_wait_loadcnt_dscnt 0x0
	global_inv scope:SCOPE_DEV
	v_cmpx_eq_u32_e32 0, v2
	s_cbranch_execz .LBB4_107
; %bb.106:                              ;   in Loop: Header=BB4_57 Depth=2
	s_bcnt1_i32_b32 s89, s89
	s_delay_alu instid0(SALU_CYCLE_1)
	v_mov_b32_e32 v2, s89
	s_wait_loadcnt 0x0
	ds_add_u64 v0, v[2:3]
	s_trap 2
.LBB4_107:                              ;   in Loop: Header=BB4_57 Depth=2
	s_or_b32 exec_lo, exec_lo, s88
	s_trap 2
	ds_load_b64 v[10:11], v0
	s_wait_dscnt 0x0
	v_add_nc_u64_e32 v[48:49], v[48:49], v[52:53]
	s_mov_b32 s88, exec_lo
	s_delay_alu instid0(VALU_DEP_1)
	v_cmpx_lt_u64_e64 v[10:11], v[48:49]
	s_cbranch_execz .LBB4_116
; %bb.108:                              ;   in Loop: Header=BB4_57 Depth=2
	s_mov_b32 s89, 0
	s_mov_b32 s92, 0
                                        ; implicit-def: $sgpr90
                                        ; implicit-def: $sgpr91
	s_branch .LBB4_110
.LBB4_109:                              ;   in Loop: Header=BB4_110 Depth=3
	s_or_b32 exec_lo, exec_lo, s94
	s_delay_alu instid0(SALU_CYCLE_1) | instskip(NEXT) | instid1(SALU_CYCLE_1)
	s_and_b32 s93, exec_lo, s95
	s_or_b32 s89, s93, s89
	s_and_not1_b32 s90, s90, exec_lo
	s_and_b32 s93, s91, exec_lo
	s_delay_alu instid0(SALU_CYCLE_1)
	s_or_b32 s90, s90, s93
	s_and_not1_b32 exec_lo, exec_lo, s89
	s_cbranch_execz .LBB4_114
.LBB4_110:                              ;   Parent Loop BB4_47 Depth=1
                                        ;     Parent Loop BB4_57 Depth=2
                                        ; =>    This Inner Loop Header: Depth=3
	s_add_co_i32 s92, s92, 1
	s_delay_alu instid0(SALU_CYCLE_1) | instskip(SKIP_1) | instid1(SALU_CYCLE_1)
	s_cmp_lg_u32 s92, 0x2710
	s_cselect_b32 s93, -1, 0
	s_and_b32 vcc_lo, exec_lo, s93
	s_cbranch_vccz .LBB4_112
; %bb.111:                              ;   in Loop: Header=BB4_110 Depth=3
	s_mov_b32 s95, -1
	s_or_b32 s91, s91, exec_lo
	s_and_saveexec_b32 s94, s93
	s_cbranch_execz .LBB4_109
	s_branch .LBB4_113
.LBB4_112:                              ;   in Loop: Header=BB4_110 Depth=3
	s_trap 2
	ds_load_b64 v[10:11], v0
	s_and_not1_b32 s93, s93, exec_lo
	s_mov_b32 s92, 0
	s_wait_loadcnt_dscnt 0x0
	flat_load_b32 v2, v[10:11] scope:SCOPE_SYS
	s_wait_loadcnt_dscnt 0x0
	global_inv scope:SCOPE_SYS
	v_cmp_eq_u32_e32 vcc_lo, 0, v2
	s_and_b32 s94, vcc_lo, exec_lo
	s_delay_alu instid0(SALU_CYCLE_1)
	s_or_b32 s93, s93, s94
	s_mov_b32 s95, -1
	s_or_b32 s91, s91, exec_lo
	s_wait_xcnt 0x0
	s_and_saveexec_b32 s94, s93
	s_cbranch_execz .LBB4_109
.LBB4_113:                              ;   in Loop: Header=BB4_110 Depth=3
	s_sleep 1
	s_trap 2
	ds_load_b64 v[10:11], v0
	s_wait_dscnt 0x0
	s_and_not1_b32 s91, s91, exec_lo
	v_cmp_ge_u64_e32 vcc_lo, v[10:11], v[48:49]
	s_or_not1_b32 s95, vcc_lo, exec_lo
	s_branch .LBB4_109
.LBB4_114:                              ;   in Loop: Header=BB4_57 Depth=2
	s_or_b32 exec_lo, exec_lo, s89
	s_and_saveexec_b32 s89, s90
	s_delay_alu instid0(SALU_CYCLE_1)
	s_xor_b32 s89, exec_lo, s89
	s_cbranch_execz .LBB4_116
; %bb.115:                              ;   in Loop: Header=BB4_57 Depth=2
	ds_store_b32 v0, v75
	s_trap 2
.LBB4_116:                              ;   in Loop: Header=BB4_57 Depth=2
	s_or_b32 exec_lo, exec_lo, s88
	;;#ASMSTART
	s_wakeup
	;;#ASMEND
.LBB4_117:                              ;   in Loop: Header=BB4_57 Depth=2
	s_or_b32 exec_lo, exec_lo, s41
.LBB4_118:                              ;   in Loop: Header=BB4_57 Depth=2
	s_and_not1_saveexec_b32 s40, s40
	s_cbranch_execz .LBB4_120
; %bb.119:                              ;   in Loop: Header=BB4_57 Depth=2
	global_wb scope:SCOPE_DEV
	s_wait_storecnt 0x0
	s_wait_loadcnt_dscnt 0x0
	global_inv scope:SCOPE_DEV
	s_barrier_signal -1
	s_barrier_wait -1
.LBB4_120:                              ;   in Loop: Header=BB4_57 Depth=2
	s_or_b32 exec_lo, exec_lo, s40
.LBB4_121:                              ;   in Loop: Header=BB4_57 Depth=2
	s_delay_alu instid0(SALU_CYCLE_1)
	s_or_b32 exec_lo, exec_lo, s13
	s_trap 2
	ds_load_b64 v[46:47], v0
	s_wait_dscnt 0x0
	v_cmp_eq_u64_e32 vcc_lo, 0, v[46:47]
	s_cbranch_vccnz .LBB4_129
; %bb.122:                              ;   in Loop: Header=BB4_57 Depth=2
	s_trap 2
	ds_load_b64 v[56:57], v0
	s_wait_dscnt 0x0
	v_cmp_eq_u64_e32 vcc_lo, 0, v[56:57]
	s_cbranch_vccnz .LBB4_129
; %bb.123:                              ;   in Loop: Header=BB4_57 Depth=2
	s_mov_b32 s13, -1
	s_and_saveexec_b32 s40, s7
	s_cbranch_execz .LBB4_125
; %bb.124:                              ;   in Loop: Header=BB4_57 Depth=2
	ds_load_b32 v2, v0 offset:720
	s_wait_dscnt 0x0
	v_and_b32_e32 v2, 15, v2
	s_delay_alu instid0(VALU_DEP_1)
	v_cmp_eq_u32_e32 vcc_lo, 0, v2
	s_or_not1_b32 s13, vcc_lo, exec_lo
.LBB4_125:                              ;   in Loop: Header=BB4_57 Depth=2
	s_or_b32 exec_lo, exec_lo, s40
	s_and_saveexec_b32 s40, s10
	s_cbranch_execz .LBB4_127
; %bb.126:                              ;   in Loop: Header=BB4_57 Depth=2
	ds_load_b32 v2, v0 offset:784
	s_wait_dscnt 0x0
	v_and_b32_e32 v2, 15, v2
	s_delay_alu instid0(VALU_DEP_1) | instskip(SKIP_3) | instid1(SALU_CYCLE_1)
	v_cmp_eq_u32_e32 vcc_lo, 0, v2
	s_and_b32 s41, s13, vcc_lo
	s_and_not1_b32 s13, s13, exec_lo
	s_and_b32 s41, s41, exec_lo
	s_or_b32 s13, s13, s41
.LBB4_127:                              ;   in Loop: Header=BB4_57 Depth=2
	s_or_b32 exec_lo, exec_lo, s40
	s_xor_b32 s13, s13, -1
	s_mov_b32 s41, -1
	v_cndmask_b32_e64 v2, 0, 1, s13
	v_cmp_eq_u32_e64 s13, 0, v8
	s_delay_alu instid0(VALU_DEP_2)
	v_cmp_ne_u32_e32 vcc_lo, 0, v2
	s_cbranch_vccz .LBB4_130
; %bb.128:                              ;   in Loop: Header=BB4_57 Depth=2
	s_mov_b32 s41, 0
	s_mov_b32 s40, -1
	s_branch .LBB4_131
.LBB4_129:                              ;   in Loop: Header=BB4_57 Depth=2
	s_mov_b32 s13, 0
	s_and_saveexec_b32 s40, s2
	s_cbranch_execnz .LBB4_529
	s_branch .LBB4_547
.LBB4_130:                              ;   in Loop: Header=BB4_57 Depth=2
	s_mov_b32 s40, 0
.LBB4_131:                              ;   in Loop: Header=BB4_57 Depth=2
	v_dual_cndmask_b32 v2, 0, v40, s13 :: v_dual_mov_b32 v12, 0
	s_and_not1_b32 vcc_lo, exec_lo, s41
	s_delay_alu instid0(VALU_DEP_1)
	v_lshlrev_b32_e32 v41, 1, v2
	s_cbranch_vccnz .LBB4_267
; %bb.132:                              ;   in Loop: Header=BB4_57 Depth=2
	s_delay_alu instid0(VALU_DEP_1) | instskip(SKIP_3) | instid1(VALU_DEP_2)
	v_ashrrev_i32_e32 v8, 31, v41
	v_add_nc_u64_e32 v[58:59], v[56:57], v[70:71]
	s_mov_b32 s41, 0
	s_mov_b32 s13, exec_lo
                                        ; implicit-def: $vgpr12_vgpr13
	v_lshrrev_b32_e32 v8, 22, v8
	s_delay_alu instid0(VALU_DEP_1) | instskip(NEXT) | instid1(VALU_DEP_1)
	v_add_nc_u32_e32 v8, v41, v8
	v_ashrrev_i32_e32 v43, 10, v8
                                        ; implicit-def: $vgpr8_vgpr9
	s_delay_alu instid0(VALU_DEP_1) | instskip(NEXT) | instid1(VALU_DEP_1)
	v_sub_nc_u32_e32 v63, v43, v74
	v_cmpx_lt_i32_e32 0, v63
	s_cbranch_execz .LBB4_269
; %bb.133:                              ;   in Loop: Header=BB4_57 Depth=2
	s_trap 2
	ds_load_b32 v8, v0
	v_add_nc_u64_e32 v[60:61], v[46:47], v[70:71]
	s_mov_b32 s89, 0
                                        ; implicit-def: $sgpr88
                                        ; implicit-def: $vgpr12_vgpr13
	s_wait_dscnt 0x0
	v_lshlrev_b32_e32 v88, 16, v8
                                        ; implicit-def: $vgpr8_vgpr9
	s_branch .LBB4_135
.LBB4_134:                              ;   in Loop: Header=BB4_135 Depth=3
	s_or_b32 exec_lo, exec_lo, s90
	v_dual_lshrrev_b32 v90, 16, v90 :: v_dual_lshrrev_b32 v89, 16, v89
	v_dual_lshrrev_b32 v91, 16, v91 :: v_dual_lshrrev_b32 v92, 16, v92
	s_delay_alu instid0(VALU_DEP_2) | instskip(NEXT) | instid1(VALU_DEP_3)
	v_and_or_b32 v21, 0xffff0000, v21, v90
	v_and_or_b32 v20, 0xffff0000, v20, v89
	s_delay_alu instid0(VALU_DEP_3) | instskip(SKIP_4) | instid1(VALU_DEP_4)
	v_and_or_b32 v22, 0xffff0000, v22, v91
	v_dual_lshrrev_b32 v89, 16, v94 :: v_dual_lshrrev_b32 v90, 16, v93
	v_dual_lshrrev_b32 v91, 16, v95 :: v_dual_cndmask_b32 v93, 0, v52, s89
	v_and_or_b32 v23, 0xffff0000, v23, v92
	v_lshrrev_b32_e32 v92, 16, v104
	v_and_or_b32 v16, 0xffff0000, v16, v90
	s_delay_alu instid0(VALU_DEP_4)
	v_and_or_b32 v18, 0xffff0000, v18, v91
	v_cndmask_b32_e64 v91, 0, v81, s89
	v_dual_sub_nc_u32 v63, v63, v93 :: v_dual_cndmask_b32 v90, 0, v80, s89
	v_and_or_b32 v19, 0xffff0000, v19, v92
	v_cndmask_b32_e64 v93, 0, v97, s89
	v_cndmask_b32_e64 v92, 0x400, v96, s89
	v_and_or_b32 v17, 0xffff0000, v17, v89
	v_cmp_gt_i32_e32 vcc_lo, 1, v63
	s_clause 0x1
	global_store_b128 v[58:59], v[20:23], off th:TH_STORE_NT
	global_store_b128 v[58:59], v[16:19], off offset:512 th:TH_STORE_NT
	v_add_nc_u64_e32 v[60:61], v[60:61], v[90:91]
	s_wait_xcnt 0x0
	v_add_nc_u64_e32 v[58:59], v[58:59], v[92:93]
	s_or_b32 s41, vcc_lo, s41
	s_and_not1_b32 s88, s88, exec_lo
	s_and_b32 s90, s89, exec_lo
	s_delay_alu instid0(SALU_CYCLE_1)
	s_or_b32 s88, s88, s90
	s_and_not1_b32 exec_lo, exec_lo, s41
	s_cbranch_execz .LBB4_268
.LBB4_135:                              ;   Parent Loop BB4_47 Depth=1
                                        ;     Parent Loop BB4_57 Depth=2
                                        ; =>    This Inner Loop Header: Depth=3
	s_clause 0x1
	global_load_b128 v[20:23], v[60:61], off th:TH_LOAD_NT
	global_load_b128 v[16:19], v[60:61], off offset:512 th:TH_LOAD_NT
	s_wait_xcnt 0x0
	s_and_saveexec_b32 s90, s89
	s_cbranch_execz .LBB4_201
; %bb.136:                              ;   in Loop: Header=BB4_135 Depth=3
	v_lshlrev_b32_e32 v89, 16, v12
	s_delay_alu instid0(VALU_DEP_1) | instskip(NEXT) | instid1(VALU_DEP_1)
	v_mul_f32_e32 v90, v88, v89
	v_and_b32_e32 v89, 0x7f800000, v90
	s_delay_alu instid0(VALU_DEP_1) | instskip(SKIP_1) | instid1(SALU_CYCLE_1)
	v_cmp_ne_u32_e32 vcc_lo, 0x7f800000, v89
                                        ; implicit-def: $vgpr89
	s_and_saveexec_b32 s89, vcc_lo
	s_xor_b32 s89, exec_lo, s89
; %bb.137:                              ;   in Loop: Header=BB4_135 Depth=3
	v_bfe_u32 v89, v90, 16, 1
	s_delay_alu instid0(VALU_DEP_1)
	v_add3_u32 v89, v90, v89, 0x7fff
                                        ; implicit-def: $vgpr90
; %bb.138:                              ;   in Loop: Header=BB4_135 Depth=3
	s_and_not1_saveexec_b32 s89, s89
; %bb.139:                              ;   in Loop: Header=BB4_135 Depth=3
	v_and_b32_e32 v89, 0xffff, v90
	v_or_b32_e32 v91, 0x10000, v90
	s_delay_alu instid0(VALU_DEP_2) | instskip(NEXT) | instid1(VALU_DEP_2)
	v_cmp_eq_u32_e32 vcc_lo, 0, v89
	v_cndmask_b32_e32 v89, v91, v90, vcc_lo
; %bb.140:                              ;   in Loop: Header=BB4_135 Depth=3
	s_or_b32 exec_lo, exec_lo, s89
	v_and_b32_e32 v12, 0xffff0000, v12
	s_delay_alu instid0(VALU_DEP_1) | instskip(NEXT) | instid1(VALU_DEP_1)
	v_mul_f32_e32 v90, v88, v12
	v_and_b32_e32 v12, 0x7f800000, v90
	s_delay_alu instid0(VALU_DEP_1) | instskip(SKIP_1) | instid1(SALU_CYCLE_1)
	v_cmp_ne_u32_e32 vcc_lo, 0x7f800000, v12
                                        ; implicit-def: $vgpr12
	s_and_saveexec_b32 s89, vcc_lo
	s_xor_b32 s89, exec_lo, s89
; %bb.141:                              ;   in Loop: Header=BB4_135 Depth=3
	v_bfe_u32 v12, v90, 16, 1
	s_delay_alu instid0(VALU_DEP_1)
	v_add3_u32 v12, v90, v12, 0x7fff
                                        ; implicit-def: $vgpr90
; %bb.142:                              ;   in Loop: Header=BB4_135 Depth=3
	s_and_not1_saveexec_b32 s89, s89
; %bb.143:                              ;   in Loop: Header=BB4_135 Depth=3
	v_and_b32_e32 v12, 0xffff, v90
	v_or_b32_e32 v91, 0x10000, v90
	s_delay_alu instid0(VALU_DEP_2) | instskip(NEXT) | instid1(VALU_DEP_2)
	v_cmp_eq_u32_e32 vcc_lo, 0, v12
	v_cndmask_b32_e32 v12, v91, v90, vcc_lo
; %bb.144:                              ;   in Loop: Header=BB4_135 Depth=3
	s_or_b32 exec_lo, exec_lo, s89
	v_lshlrev_b32_e32 v90, 16, v13
	s_delay_alu instid0(VALU_DEP_1) | instskip(NEXT) | instid1(VALU_DEP_1)
	v_mul_f32_e32 v91, v88, v90
	v_and_b32_e32 v90, 0x7f800000, v91
	s_delay_alu instid0(VALU_DEP_1) | instskip(SKIP_1) | instid1(SALU_CYCLE_1)
	v_cmp_ne_u32_e32 vcc_lo, 0x7f800000, v90
                                        ; implicit-def: $vgpr90
	s_and_saveexec_b32 s89, vcc_lo
	s_xor_b32 s89, exec_lo, s89
; %bb.145:                              ;   in Loop: Header=BB4_135 Depth=3
	v_bfe_u32 v90, v91, 16, 1
	s_delay_alu instid0(VALU_DEP_1)
	v_add3_u32 v90, v91, v90, 0x7fff
                                        ; implicit-def: $vgpr91
; %bb.146:                              ;   in Loop: Header=BB4_135 Depth=3
	s_and_not1_saveexec_b32 s89, s89
; %bb.147:                              ;   in Loop: Header=BB4_135 Depth=3
	v_and_b32_e32 v90, 0xffff, v91
	v_or_b32_e32 v92, 0x10000, v91
	s_delay_alu instid0(VALU_DEP_2) | instskip(NEXT) | instid1(VALU_DEP_2)
	v_cmp_eq_u32_e32 vcc_lo, 0, v90
	v_cndmask_b32_e32 v90, v92, v91, vcc_lo
; %bb.148:                              ;   in Loop: Header=BB4_135 Depth=3
	s_or_b32 exec_lo, exec_lo, s89
	v_and_b32_e32 v13, 0xffff0000, v13
	s_delay_alu instid0(VALU_DEP_1) | instskip(NEXT) | instid1(VALU_DEP_1)
	v_mul_f32_e32 v91, v88, v13
	v_and_b32_e32 v13, 0x7f800000, v91
	s_delay_alu instid0(VALU_DEP_1) | instskip(SKIP_1) | instid1(SALU_CYCLE_1)
	v_cmp_ne_u32_e32 vcc_lo, 0x7f800000, v13
                                        ; implicit-def: $vgpr13
	s_and_saveexec_b32 s89, vcc_lo
	s_xor_b32 s89, exec_lo, s89
; %bb.149:                              ;   in Loop: Header=BB4_135 Depth=3
	v_bfe_u32 v13, v91, 16, 1
	s_delay_alu instid0(VALU_DEP_1)
	v_add3_u32 v13, v91, v13, 0x7fff
                                        ; implicit-def: $vgpr91
; %bb.150:                              ;   in Loop: Header=BB4_135 Depth=3
	s_and_not1_saveexec_b32 s89, s89
; %bb.151:                              ;   in Loop: Header=BB4_135 Depth=3
	v_and_b32_e32 v13, 0xffff, v91
	v_or_b32_e32 v92, 0x10000, v91
	s_delay_alu instid0(VALU_DEP_2) | instskip(NEXT) | instid1(VALU_DEP_2)
	v_cmp_eq_u32_e32 vcc_lo, 0, v13
	v_cndmask_b32_e32 v13, v92, v91, vcc_lo
; %bb.152:                              ;   in Loop: Header=BB4_135 Depth=3
	s_or_b32 exec_lo, exec_lo, s89
	v_lshlrev_b32_e32 v91, 16, v14
	s_delay_alu instid0(VALU_DEP_1) | instskip(NEXT) | instid1(VALU_DEP_1)
	v_mul_f32_e32 v92, v88, v91
	v_and_b32_e32 v91, 0x7f800000, v92
	s_delay_alu instid0(VALU_DEP_1) | instskip(SKIP_1) | instid1(SALU_CYCLE_1)
	v_cmp_ne_u32_e32 vcc_lo, 0x7f800000, v91
                                        ; implicit-def: $vgpr91
	s_and_saveexec_b32 s89, vcc_lo
	s_xor_b32 s89, exec_lo, s89
; %bb.153:                              ;   in Loop: Header=BB4_135 Depth=3
	v_bfe_u32 v91, v92, 16, 1
	s_delay_alu instid0(VALU_DEP_1)
	v_add3_u32 v91, v92, v91, 0x7fff
                                        ; implicit-def: $vgpr92
; %bb.154:                              ;   in Loop: Header=BB4_135 Depth=3
	s_and_not1_saveexec_b32 s89, s89
; %bb.155:                              ;   in Loop: Header=BB4_135 Depth=3
	v_and_b32_e32 v91, 0xffff, v92
	v_or_b32_e32 v93, 0x10000, v92
	s_delay_alu instid0(VALU_DEP_2) | instskip(NEXT) | instid1(VALU_DEP_2)
	v_cmp_eq_u32_e32 vcc_lo, 0, v91
	v_cndmask_b32_e32 v91, v93, v92, vcc_lo
; %bb.156:                              ;   in Loop: Header=BB4_135 Depth=3
	s_or_b32 exec_lo, exec_lo, s89
	v_and_b32_e32 v14, 0xffff0000, v14
	s_delay_alu instid0(VALU_DEP_1) | instskip(NEXT) | instid1(VALU_DEP_1)
	v_mul_f32_e32 v92, v88, v14
	v_and_b32_e32 v14, 0x7f800000, v92
	s_delay_alu instid0(VALU_DEP_1) | instskip(SKIP_1) | instid1(SALU_CYCLE_1)
	v_cmp_ne_u32_e32 vcc_lo, 0x7f800000, v14
                                        ; implicit-def: $vgpr14
	s_and_saveexec_b32 s89, vcc_lo
	s_xor_b32 s89, exec_lo, s89
; %bb.157:                              ;   in Loop: Header=BB4_135 Depth=3
	v_bfe_u32 v14, v92, 16, 1
	s_delay_alu instid0(VALU_DEP_1)
	v_add3_u32 v14, v92, v14, 0x7fff
                                        ; implicit-def: $vgpr92
; %bb.158:                              ;   in Loop: Header=BB4_135 Depth=3
	s_and_not1_saveexec_b32 s89, s89
; %bb.159:                              ;   in Loop: Header=BB4_135 Depth=3
	v_and_b32_e32 v14, 0xffff, v92
	v_or_b32_e32 v93, 0x10000, v92
	s_delay_alu instid0(VALU_DEP_2) | instskip(NEXT) | instid1(VALU_DEP_2)
	v_cmp_eq_u32_e32 vcc_lo, 0, v14
	v_cndmask_b32_e32 v14, v93, v92, vcc_lo
; %bb.160:                              ;   in Loop: Header=BB4_135 Depth=3
	s_or_b32 exec_lo, exec_lo, s89
	v_lshlrev_b32_e32 v92, 16, v15
	s_delay_alu instid0(VALU_DEP_1) | instskip(NEXT) | instid1(VALU_DEP_1)
	v_mul_f32_e32 v93, v88, v92
	v_and_b32_e32 v92, 0x7f800000, v93
	s_delay_alu instid0(VALU_DEP_1) | instskip(SKIP_1) | instid1(SALU_CYCLE_1)
	v_cmp_ne_u32_e32 vcc_lo, 0x7f800000, v92
                                        ; implicit-def: $vgpr92
	s_and_saveexec_b32 s89, vcc_lo
	s_xor_b32 s89, exec_lo, s89
; %bb.161:                              ;   in Loop: Header=BB4_135 Depth=3
	v_bfe_u32 v92, v93, 16, 1
	s_delay_alu instid0(VALU_DEP_1)
	v_add3_u32 v92, v93, v92, 0x7fff
                                        ; implicit-def: $vgpr93
; %bb.162:                              ;   in Loop: Header=BB4_135 Depth=3
	s_and_not1_saveexec_b32 s89, s89
; %bb.163:                              ;   in Loop: Header=BB4_135 Depth=3
	v_and_b32_e32 v92, 0xffff, v93
	v_or_b32_e32 v94, 0x10000, v93
	s_delay_alu instid0(VALU_DEP_2) | instskip(NEXT) | instid1(VALU_DEP_2)
	v_cmp_eq_u32_e32 vcc_lo, 0, v92
	v_cndmask_b32_e32 v92, v94, v93, vcc_lo
; %bb.164:                              ;   in Loop: Header=BB4_135 Depth=3
	s_or_b32 exec_lo, exec_lo, s89
	v_and_b32_e32 v15, 0xffff0000, v15
	s_delay_alu instid0(VALU_DEP_1) | instskip(NEXT) | instid1(VALU_DEP_1)
	v_mul_f32_e32 v93, v88, v15
	v_and_b32_e32 v15, 0x7f800000, v93
	s_delay_alu instid0(VALU_DEP_1) | instskip(SKIP_1) | instid1(SALU_CYCLE_1)
	v_cmp_ne_u32_e32 vcc_lo, 0x7f800000, v15
                                        ; implicit-def: $vgpr15
	s_and_saveexec_b32 s89, vcc_lo
	s_xor_b32 s89, exec_lo, s89
; %bb.165:                              ;   in Loop: Header=BB4_135 Depth=3
	v_bfe_u32 v15, v93, 16, 1
	s_delay_alu instid0(VALU_DEP_1)
	v_add3_u32 v15, v93, v15, 0x7fff
                                        ; implicit-def: $vgpr93
; %bb.166:                              ;   in Loop: Header=BB4_135 Depth=3
	s_and_not1_saveexec_b32 s89, s89
; %bb.167:                              ;   in Loop: Header=BB4_135 Depth=3
	v_and_b32_e32 v15, 0xffff, v93
	v_or_b32_e32 v94, 0x10000, v93
	s_delay_alu instid0(VALU_DEP_2) | instskip(NEXT) | instid1(VALU_DEP_2)
	v_cmp_eq_u32_e32 vcc_lo, 0, v15
	v_cndmask_b32_e32 v15, v94, v93, vcc_lo
; %bb.168:                              ;   in Loop: Header=BB4_135 Depth=3
	s_or_b32 exec_lo, exec_lo, s89
	v_lshlrev_b32_e32 v93, 16, v8
	s_delay_alu instid0(VALU_DEP_1) | instskip(NEXT) | instid1(VALU_DEP_1)
	v_mul_f32_e32 v94, v88, v93
	v_and_b32_e32 v93, 0x7f800000, v94
	s_delay_alu instid0(VALU_DEP_1) | instskip(SKIP_1) | instid1(SALU_CYCLE_1)
	v_cmp_ne_u32_e32 vcc_lo, 0x7f800000, v93
                                        ; implicit-def: $vgpr93
	s_and_saveexec_b32 s89, vcc_lo
	s_xor_b32 s89, exec_lo, s89
; %bb.169:                              ;   in Loop: Header=BB4_135 Depth=3
	v_bfe_u32 v93, v94, 16, 1
	s_delay_alu instid0(VALU_DEP_1)
	v_add3_u32 v93, v94, v93, 0x7fff
                                        ; implicit-def: $vgpr94
; %bb.170:                              ;   in Loop: Header=BB4_135 Depth=3
	s_and_not1_saveexec_b32 s89, s89
; %bb.171:                              ;   in Loop: Header=BB4_135 Depth=3
	v_and_b32_e32 v93, 0xffff, v94
	v_or_b32_e32 v95, 0x10000, v94
	s_delay_alu instid0(VALU_DEP_2) | instskip(NEXT) | instid1(VALU_DEP_2)
	v_cmp_eq_u32_e32 vcc_lo, 0, v93
	v_cndmask_b32_e32 v93, v95, v94, vcc_lo
; %bb.172:                              ;   in Loop: Header=BB4_135 Depth=3
	s_or_b32 exec_lo, exec_lo, s89
	v_and_b32_e32 v8, 0xffff0000, v8
	s_delay_alu instid0(VALU_DEP_1) | instskip(NEXT) | instid1(VALU_DEP_1)
	v_mul_f32_e32 v94, v88, v8
	v_and_b32_e32 v8, 0x7f800000, v94
	s_delay_alu instid0(VALU_DEP_1) | instskip(SKIP_1) | instid1(SALU_CYCLE_1)
	v_cmp_ne_u32_e32 vcc_lo, 0x7f800000, v8
                                        ; implicit-def: $vgpr8
	s_and_saveexec_b32 s89, vcc_lo
	s_xor_b32 s89, exec_lo, s89
; %bb.173:                              ;   in Loop: Header=BB4_135 Depth=3
	v_bfe_u32 v8, v94, 16, 1
	s_delay_alu instid0(VALU_DEP_1)
	v_add3_u32 v8, v94, v8, 0x7fff
                                        ; implicit-def: $vgpr94
; %bb.174:                              ;   in Loop: Header=BB4_135 Depth=3
	s_and_not1_saveexec_b32 s89, s89
; %bb.175:                              ;   in Loop: Header=BB4_135 Depth=3
	v_and_b32_e32 v8, 0xffff, v94
	v_or_b32_e32 v95, 0x10000, v94
	s_delay_alu instid0(VALU_DEP_2) | instskip(NEXT) | instid1(VALU_DEP_2)
	v_cmp_eq_u32_e32 vcc_lo, 0, v8
	v_cndmask_b32_e32 v8, v95, v94, vcc_lo
; %bb.176:                              ;   in Loop: Header=BB4_135 Depth=3
	s_or_b32 exec_lo, exec_lo, s89
	v_lshlrev_b32_e32 v94, 16, v9
	s_delay_alu instid0(VALU_DEP_1) | instskip(NEXT) | instid1(VALU_DEP_1)
	v_mul_f32_e32 v95, v88, v94
	v_and_b32_e32 v94, 0x7f800000, v95
	s_delay_alu instid0(VALU_DEP_1) | instskip(SKIP_1) | instid1(SALU_CYCLE_1)
	v_cmp_ne_u32_e32 vcc_lo, 0x7f800000, v94
                                        ; implicit-def: $vgpr94
	s_and_saveexec_b32 s89, vcc_lo
	s_xor_b32 s89, exec_lo, s89
; %bb.177:                              ;   in Loop: Header=BB4_135 Depth=3
	v_bfe_u32 v94, v95, 16, 1
	s_delay_alu instid0(VALU_DEP_1)
	v_add3_u32 v94, v95, v94, 0x7fff
                                        ; implicit-def: $vgpr95
; %bb.178:                              ;   in Loop: Header=BB4_135 Depth=3
	s_and_not1_saveexec_b32 s89, s89
; %bb.179:                              ;   in Loop: Header=BB4_135 Depth=3
	v_and_b32_e32 v94, 0xffff, v95
	v_or_b32_e32 v104, 0x10000, v95
	s_delay_alu instid0(VALU_DEP_2) | instskip(NEXT) | instid1(VALU_DEP_2)
	v_cmp_eq_u32_e32 vcc_lo, 0, v94
	v_cndmask_b32_e32 v94, v104, v95, vcc_lo
; %bb.180:                              ;   in Loop: Header=BB4_135 Depth=3
	s_or_b32 exec_lo, exec_lo, s89
	v_and_b32_e32 v9, 0xffff0000, v9
	s_delay_alu instid0(VALU_DEP_1) | instskip(NEXT) | instid1(VALU_DEP_1)
	v_mul_f32_e32 v95, v88, v9
	v_and_b32_e32 v9, 0x7f800000, v95
	s_delay_alu instid0(VALU_DEP_1) | instskip(SKIP_1) | instid1(SALU_CYCLE_1)
	v_cmp_ne_u32_e32 vcc_lo, 0x7f800000, v9
                                        ; implicit-def: $vgpr9
	s_and_saveexec_b32 s89, vcc_lo
	s_xor_b32 s89, exec_lo, s89
; %bb.181:                              ;   in Loop: Header=BB4_135 Depth=3
	v_bfe_u32 v9, v95, 16, 1
	s_delay_alu instid0(VALU_DEP_1)
	v_add3_u32 v9, v95, v9, 0x7fff
                                        ; implicit-def: $vgpr95
; %bb.182:                              ;   in Loop: Header=BB4_135 Depth=3
	s_and_not1_saveexec_b32 s89, s89
; %bb.183:                              ;   in Loop: Header=BB4_135 Depth=3
	v_and_b32_e32 v9, 0xffff, v95
	v_or_b32_e32 v104, 0x10000, v95
	s_delay_alu instid0(VALU_DEP_2) | instskip(NEXT) | instid1(VALU_DEP_2)
	v_cmp_eq_u32_e32 vcc_lo, 0, v9
	v_cndmask_b32_e32 v9, v104, v95, vcc_lo
; %bb.184:                              ;   in Loop: Header=BB4_135 Depth=3
	s_or_b32 exec_lo, exec_lo, s89
	v_lshlrev_b32_e32 v95, 16, v10
	s_delay_alu instid0(VALU_DEP_1) | instskip(NEXT) | instid1(VALU_DEP_1)
	v_mul_f32_e32 v104, v88, v95
	v_and_b32_e32 v95, 0x7f800000, v104
	s_delay_alu instid0(VALU_DEP_1) | instskip(SKIP_1) | instid1(SALU_CYCLE_1)
	v_cmp_ne_u32_e32 vcc_lo, 0x7f800000, v95
                                        ; implicit-def: $vgpr95
	s_and_saveexec_b32 s89, vcc_lo
	s_xor_b32 s89, exec_lo, s89
; %bb.185:                              ;   in Loop: Header=BB4_135 Depth=3
	v_bfe_u32 v95, v104, 16, 1
	s_delay_alu instid0(VALU_DEP_1)
	v_add3_u32 v95, v104, v95, 0x7fff
                                        ; implicit-def: $vgpr104
; %bb.186:                              ;   in Loop: Header=BB4_135 Depth=3
	s_and_not1_saveexec_b32 s89, s89
; %bb.187:                              ;   in Loop: Header=BB4_135 Depth=3
	v_and_b32_e32 v95, 0xffff, v104
	v_or_b32_e32 v105, 0x10000, v104
	s_delay_alu instid0(VALU_DEP_2) | instskip(NEXT) | instid1(VALU_DEP_2)
	v_cmp_eq_u32_e32 vcc_lo, 0, v95
	v_cndmask_b32_e32 v95, v105, v104, vcc_lo
; %bb.188:                              ;   in Loop: Header=BB4_135 Depth=3
	s_or_b32 exec_lo, exec_lo, s89
	v_and_b32_e32 v10, 0xffff0000, v10
	s_delay_alu instid0(VALU_DEP_1) | instskip(NEXT) | instid1(VALU_DEP_1)
	v_mul_f32_e32 v104, v88, v10
	v_and_b32_e32 v10, 0x7f800000, v104
	s_delay_alu instid0(VALU_DEP_1) | instskip(SKIP_1) | instid1(SALU_CYCLE_1)
	v_cmp_ne_u32_e32 vcc_lo, 0x7f800000, v10
                                        ; implicit-def: $vgpr10
	s_and_saveexec_b32 s89, vcc_lo
	s_xor_b32 s89, exec_lo, s89
; %bb.189:                              ;   in Loop: Header=BB4_135 Depth=3
	v_bfe_u32 v10, v104, 16, 1
	s_delay_alu instid0(VALU_DEP_1)
	v_add3_u32 v10, v104, v10, 0x7fff
                                        ; implicit-def: $vgpr104
; %bb.190:                              ;   in Loop: Header=BB4_135 Depth=3
	s_and_not1_saveexec_b32 s89, s89
; %bb.191:                              ;   in Loop: Header=BB4_135 Depth=3
	v_and_b32_e32 v10, 0xffff, v104
	v_or_b32_e32 v105, 0x10000, v104
	s_delay_alu instid0(VALU_DEP_2) | instskip(NEXT) | instid1(VALU_DEP_2)
	v_cmp_eq_u32_e32 vcc_lo, 0, v10
	v_cndmask_b32_e32 v10, v105, v104, vcc_lo
; %bb.192:                              ;   in Loop: Header=BB4_135 Depth=3
	s_or_b32 exec_lo, exec_lo, s89
	v_lshlrev_b32_e32 v104, 16, v11
	s_delay_alu instid0(VALU_DEP_1) | instskip(NEXT) | instid1(VALU_DEP_1)
	v_mul_f32_e32 v105, v88, v104
	v_and_b32_e32 v104, 0x7f800000, v105
	s_delay_alu instid0(VALU_DEP_1) | instskip(SKIP_1) | instid1(SALU_CYCLE_1)
	v_cmp_ne_u32_e32 vcc_lo, 0x7f800000, v104
                                        ; implicit-def: $vgpr104
	s_and_saveexec_b32 s89, vcc_lo
	s_xor_b32 s89, exec_lo, s89
; %bb.193:                              ;   in Loop: Header=BB4_135 Depth=3
	v_bfe_u32 v104, v105, 16, 1
	s_delay_alu instid0(VALU_DEP_1)
	v_add3_u32 v104, v105, v104, 0x7fff
                                        ; implicit-def: $vgpr105
; %bb.194:                              ;   in Loop: Header=BB4_135 Depth=3
	s_and_not1_saveexec_b32 s89, s89
; %bb.195:                              ;   in Loop: Header=BB4_135 Depth=3
	v_and_b32_e32 v104, 0xffff, v105
	v_or_b32_e32 v106, 0x10000, v105
	s_delay_alu instid0(VALU_DEP_2) | instskip(NEXT) | instid1(VALU_DEP_2)
	v_cmp_eq_u32_e32 vcc_lo, 0, v104
	v_cndmask_b32_e32 v104, v106, v105, vcc_lo
; %bb.196:                              ;   in Loop: Header=BB4_135 Depth=3
	s_or_b32 exec_lo, exec_lo, s89
	v_and_b32_e32 v11, 0xffff0000, v11
	s_delay_alu instid0(VALU_DEP_1) | instskip(NEXT) | instid1(VALU_DEP_1)
	v_mul_f32_e32 v105, v88, v11
	v_and_b32_e32 v11, 0x7f800000, v105
	s_delay_alu instid0(VALU_DEP_1) | instskip(SKIP_1) | instid1(SALU_CYCLE_1)
	v_cmp_ne_u32_e32 vcc_lo, 0x7f800000, v11
                                        ; implicit-def: $vgpr11
	s_and_saveexec_b32 s89, vcc_lo
	s_xor_b32 s89, exec_lo, s89
; %bb.197:                              ;   in Loop: Header=BB4_135 Depth=3
	v_bfe_u32 v11, v105, 16, 1
	s_delay_alu instid0(VALU_DEP_1)
	v_add3_u32 v11, v105, v11, 0x7fff
                                        ; implicit-def: $vgpr105
; %bb.198:                              ;   in Loop: Header=BB4_135 Depth=3
	s_and_not1_saveexec_b32 s89, s89
; %bb.199:                              ;   in Loop: Header=BB4_135 Depth=3
	v_and_b32_e32 v11, 0xffff, v105
	v_or_b32_e32 v106, 0x10000, v105
	s_delay_alu instid0(VALU_DEP_2) | instskip(NEXT) | instid1(VALU_DEP_2)
	v_cmp_eq_u32_e32 vcc_lo, 0, v11
	v_cndmask_b32_e32 v11, v106, v105, vcc_lo
; %bb.200:                              ;   in Loop: Header=BB4_135 Depth=3
	s_or_b32 exec_lo, exec_lo, s89
	v_dual_lshrrev_b32 v90, 16, v90 :: v_dual_lshrrev_b32 v89, 16, v89
	v_lshrrev_b32_e32 v91, 16, v91
	s_delay_alu instid0(VALU_DEP_2) | instskip(NEXT) | instid1(VALU_DEP_3)
	v_and_or_b32 v13, 0xffff0000, v13, v90
	v_and_or_b32 v12, 0xffff0000, v12, v89
	v_lshrrev_b32_e32 v89, 16, v92
	s_delay_alu instid0(VALU_DEP_4) | instskip(SKIP_2) | instid1(VALU_DEP_4)
	v_and_or_b32 v14, 0xffff0000, v14, v91
	v_dual_lshrrev_b32 v90, 16, v94 :: v_dual_lshrrev_b32 v91, 16, v93
	v_dual_lshrrev_b32 v92, 16, v95 :: v_dual_lshrrev_b32 v93, 16, v104
	v_and_or_b32 v15, 0xffff0000, v15, v89
	s_delay_alu instid0(VALU_DEP_3) | instskip(NEXT) | instid1(VALU_DEP_4)
	v_and_or_b32 v9, 0xffff0000, v9, v90
	v_and_or_b32 v8, 0xffff0000, v8, v91
	s_delay_alu instid0(VALU_DEP_4)
	v_and_or_b32 v10, 0xffff0000, v10, v92
	v_and_or_b32 v11, 0xffff0000, v11, v93
	s_clause 0x1
	global_store_b128 v[58:59], v[12:15], off th:TH_STORE_NT
	global_store_b128 v[58:59], v[8:11], off offset:512 th:TH_STORE_NT
	s_wait_xcnt 0x0
	v_add_nc_u64_e32 v[58:59], v[58:59], v[96:97]
.LBB4_201:                              ;   in Loop: Header=BB4_135 Depth=3
	s_or_b32 exec_lo, exec_lo, s90
	v_sub_nc_u32_e32 v63, v63, v52
	v_add_nc_u64_e32 v[60:61], v[60:61], v[96:97]
	s_delay_alu instid0(VALU_DEP_2)
	v_cmp_lt_i32_e64 s89, 0, v63
	s_and_saveexec_b32 s90, s89
	s_cbranch_execz .LBB4_203
; %bb.202:                              ;   in Loop: Header=BB4_135 Depth=3
	s_clause 0x1
	global_load_b128 v[12:15], v[60:61], off th:TH_LOAD_NT
	global_load_b128 v[8:11], v[60:61], off offset:512 th:TH_LOAD_NT
	s_wait_xcnt 0x0
	v_add_nc_u64_e32 v[60:61], 0x400, v[60:61]
.LBB4_203:                              ;   in Loop: Header=BB4_135 Depth=3
	s_or_b32 exec_lo, exec_lo, s90
	s_wait_loadcnt 0x1
	v_lshlrev_b32_e32 v89, 16, v20
	s_delay_alu instid0(VALU_DEP_1) | instskip(NEXT) | instid1(VALU_DEP_1)
	v_mul_f32_e32 v90, v88, v89
	v_and_b32_e32 v89, 0x7f800000, v90
	s_delay_alu instid0(VALU_DEP_1) | instskip(SKIP_1) | instid1(SALU_CYCLE_1)
	v_cmp_ne_u32_e32 vcc_lo, 0x7f800000, v89
                                        ; implicit-def: $vgpr89
	s_and_saveexec_b32 s90, vcc_lo
	s_xor_b32 s90, exec_lo, s90
; %bb.204:                              ;   in Loop: Header=BB4_135 Depth=3
	v_bfe_u32 v89, v90, 16, 1
	s_delay_alu instid0(VALU_DEP_1)
	v_add3_u32 v89, v90, v89, 0x7fff
                                        ; implicit-def: $vgpr90
; %bb.205:                              ;   in Loop: Header=BB4_135 Depth=3
	s_and_not1_saveexec_b32 s90, s90
; %bb.206:                              ;   in Loop: Header=BB4_135 Depth=3
	v_and_b32_e32 v89, 0xffff, v90
	v_or_b32_e32 v91, 0x10000, v90
	s_delay_alu instid0(VALU_DEP_2) | instskip(NEXT) | instid1(VALU_DEP_2)
	v_cmp_eq_u32_e32 vcc_lo, 0, v89
	v_cndmask_b32_e32 v89, v91, v90, vcc_lo
; %bb.207:                              ;   in Loop: Header=BB4_135 Depth=3
	s_or_b32 exec_lo, exec_lo, s90
	v_and_b32_e32 v20, 0xffff0000, v20
	s_delay_alu instid0(VALU_DEP_1) | instskip(NEXT) | instid1(VALU_DEP_1)
	v_mul_f32_e32 v90, v88, v20
	v_and_b32_e32 v20, 0x7f800000, v90
	s_delay_alu instid0(VALU_DEP_1) | instskip(SKIP_1) | instid1(SALU_CYCLE_1)
	v_cmp_ne_u32_e32 vcc_lo, 0x7f800000, v20
                                        ; implicit-def: $vgpr20
	s_and_saveexec_b32 s90, vcc_lo
	s_xor_b32 s90, exec_lo, s90
; %bb.208:                              ;   in Loop: Header=BB4_135 Depth=3
	v_bfe_u32 v20, v90, 16, 1
	s_delay_alu instid0(VALU_DEP_1)
	v_add3_u32 v20, v90, v20, 0x7fff
                                        ; implicit-def: $vgpr90
; %bb.209:                              ;   in Loop: Header=BB4_135 Depth=3
	s_and_not1_saveexec_b32 s90, s90
; %bb.210:                              ;   in Loop: Header=BB4_135 Depth=3
	v_and_b32_e32 v20, 0xffff, v90
	v_or_b32_e32 v91, 0x10000, v90
	s_delay_alu instid0(VALU_DEP_2) | instskip(NEXT) | instid1(VALU_DEP_2)
	v_cmp_eq_u32_e32 vcc_lo, 0, v20
	v_cndmask_b32_e32 v20, v91, v90, vcc_lo
; %bb.211:                              ;   in Loop: Header=BB4_135 Depth=3
	s_or_b32 exec_lo, exec_lo, s90
	v_lshlrev_b32_e32 v90, 16, v21
	s_delay_alu instid0(VALU_DEP_1) | instskip(NEXT) | instid1(VALU_DEP_1)
	v_mul_f32_e32 v91, v88, v90
	v_and_b32_e32 v90, 0x7f800000, v91
	s_delay_alu instid0(VALU_DEP_1) | instskip(SKIP_1) | instid1(SALU_CYCLE_1)
	v_cmp_ne_u32_e32 vcc_lo, 0x7f800000, v90
                                        ; implicit-def: $vgpr90
	s_and_saveexec_b32 s90, vcc_lo
	s_xor_b32 s90, exec_lo, s90
; %bb.212:                              ;   in Loop: Header=BB4_135 Depth=3
	v_bfe_u32 v90, v91, 16, 1
	s_delay_alu instid0(VALU_DEP_1)
	v_add3_u32 v90, v91, v90, 0x7fff
                                        ; implicit-def: $vgpr91
; %bb.213:                              ;   in Loop: Header=BB4_135 Depth=3
	s_and_not1_saveexec_b32 s90, s90
; %bb.214:                              ;   in Loop: Header=BB4_135 Depth=3
	v_and_b32_e32 v90, 0xffff, v91
	v_or_b32_e32 v92, 0x10000, v91
	s_delay_alu instid0(VALU_DEP_2) | instskip(NEXT) | instid1(VALU_DEP_2)
	v_cmp_eq_u32_e32 vcc_lo, 0, v90
	v_cndmask_b32_e32 v90, v92, v91, vcc_lo
; %bb.215:                              ;   in Loop: Header=BB4_135 Depth=3
	s_or_b32 exec_lo, exec_lo, s90
	v_and_b32_e32 v21, 0xffff0000, v21
	s_delay_alu instid0(VALU_DEP_1) | instskip(NEXT) | instid1(VALU_DEP_1)
	v_mul_f32_e32 v91, v88, v21
	v_and_b32_e32 v21, 0x7f800000, v91
	s_delay_alu instid0(VALU_DEP_1) | instskip(SKIP_1) | instid1(SALU_CYCLE_1)
	v_cmp_ne_u32_e32 vcc_lo, 0x7f800000, v21
                                        ; implicit-def: $vgpr21
	s_and_saveexec_b32 s90, vcc_lo
	s_xor_b32 s90, exec_lo, s90
; %bb.216:                              ;   in Loop: Header=BB4_135 Depth=3
	v_bfe_u32 v21, v91, 16, 1
	s_delay_alu instid0(VALU_DEP_1)
	v_add3_u32 v21, v91, v21, 0x7fff
                                        ; implicit-def: $vgpr91
; %bb.217:                              ;   in Loop: Header=BB4_135 Depth=3
	s_and_not1_saveexec_b32 s90, s90
; %bb.218:                              ;   in Loop: Header=BB4_135 Depth=3
	v_and_b32_e32 v21, 0xffff, v91
	v_or_b32_e32 v92, 0x10000, v91
	s_delay_alu instid0(VALU_DEP_2) | instskip(NEXT) | instid1(VALU_DEP_2)
	v_cmp_eq_u32_e32 vcc_lo, 0, v21
	v_cndmask_b32_e32 v21, v92, v91, vcc_lo
; %bb.219:                              ;   in Loop: Header=BB4_135 Depth=3
	s_or_b32 exec_lo, exec_lo, s90
	v_lshlrev_b32_e32 v91, 16, v22
	s_delay_alu instid0(VALU_DEP_1) | instskip(NEXT) | instid1(VALU_DEP_1)
	v_mul_f32_e32 v92, v88, v91
	v_and_b32_e32 v91, 0x7f800000, v92
	s_delay_alu instid0(VALU_DEP_1) | instskip(SKIP_1) | instid1(SALU_CYCLE_1)
	v_cmp_ne_u32_e32 vcc_lo, 0x7f800000, v91
                                        ; implicit-def: $vgpr91
	s_and_saveexec_b32 s90, vcc_lo
	s_xor_b32 s90, exec_lo, s90
; %bb.220:                              ;   in Loop: Header=BB4_135 Depth=3
	v_bfe_u32 v91, v92, 16, 1
	s_delay_alu instid0(VALU_DEP_1)
	v_add3_u32 v91, v92, v91, 0x7fff
                                        ; implicit-def: $vgpr92
; %bb.221:                              ;   in Loop: Header=BB4_135 Depth=3
	s_and_not1_saveexec_b32 s90, s90
; %bb.222:                              ;   in Loop: Header=BB4_135 Depth=3
	v_and_b32_e32 v91, 0xffff, v92
	v_or_b32_e32 v93, 0x10000, v92
	s_delay_alu instid0(VALU_DEP_2) | instskip(NEXT) | instid1(VALU_DEP_2)
	v_cmp_eq_u32_e32 vcc_lo, 0, v91
	v_cndmask_b32_e32 v91, v93, v92, vcc_lo
; %bb.223:                              ;   in Loop: Header=BB4_135 Depth=3
	s_or_b32 exec_lo, exec_lo, s90
	v_and_b32_e32 v22, 0xffff0000, v22
	s_delay_alu instid0(VALU_DEP_1) | instskip(NEXT) | instid1(VALU_DEP_1)
	v_mul_f32_e32 v92, v88, v22
	v_and_b32_e32 v22, 0x7f800000, v92
	s_delay_alu instid0(VALU_DEP_1) | instskip(SKIP_1) | instid1(SALU_CYCLE_1)
	v_cmp_ne_u32_e32 vcc_lo, 0x7f800000, v22
                                        ; implicit-def: $vgpr22
	s_and_saveexec_b32 s90, vcc_lo
	s_xor_b32 s90, exec_lo, s90
; %bb.224:                              ;   in Loop: Header=BB4_135 Depth=3
	v_bfe_u32 v22, v92, 16, 1
	s_delay_alu instid0(VALU_DEP_1)
	v_add3_u32 v22, v92, v22, 0x7fff
                                        ; implicit-def: $vgpr92
; %bb.225:                              ;   in Loop: Header=BB4_135 Depth=3
	s_and_not1_saveexec_b32 s90, s90
; %bb.226:                              ;   in Loop: Header=BB4_135 Depth=3
	v_and_b32_e32 v22, 0xffff, v92
	v_or_b32_e32 v93, 0x10000, v92
	s_delay_alu instid0(VALU_DEP_2) | instskip(NEXT) | instid1(VALU_DEP_2)
	v_cmp_eq_u32_e32 vcc_lo, 0, v22
	v_cndmask_b32_e32 v22, v93, v92, vcc_lo
; %bb.227:                              ;   in Loop: Header=BB4_135 Depth=3
	s_or_b32 exec_lo, exec_lo, s90
	v_lshlrev_b32_e32 v92, 16, v23
	s_delay_alu instid0(VALU_DEP_1) | instskip(NEXT) | instid1(VALU_DEP_1)
	v_mul_f32_e32 v93, v88, v92
	v_and_b32_e32 v92, 0x7f800000, v93
	s_delay_alu instid0(VALU_DEP_1) | instskip(SKIP_1) | instid1(SALU_CYCLE_1)
	v_cmp_ne_u32_e32 vcc_lo, 0x7f800000, v92
                                        ; implicit-def: $vgpr92
	s_and_saveexec_b32 s90, vcc_lo
	s_xor_b32 s90, exec_lo, s90
; %bb.228:                              ;   in Loop: Header=BB4_135 Depth=3
	v_bfe_u32 v92, v93, 16, 1
	s_delay_alu instid0(VALU_DEP_1)
	v_add3_u32 v92, v93, v92, 0x7fff
                                        ; implicit-def: $vgpr93
; %bb.229:                              ;   in Loop: Header=BB4_135 Depth=3
	s_and_not1_saveexec_b32 s90, s90
; %bb.230:                              ;   in Loop: Header=BB4_135 Depth=3
	v_and_b32_e32 v92, 0xffff, v93
	v_or_b32_e32 v94, 0x10000, v93
	s_delay_alu instid0(VALU_DEP_2) | instskip(NEXT) | instid1(VALU_DEP_2)
	v_cmp_eq_u32_e32 vcc_lo, 0, v92
	v_cndmask_b32_e32 v92, v94, v93, vcc_lo
; %bb.231:                              ;   in Loop: Header=BB4_135 Depth=3
	s_or_b32 exec_lo, exec_lo, s90
	v_and_b32_e32 v23, 0xffff0000, v23
	s_delay_alu instid0(VALU_DEP_1) | instskip(NEXT) | instid1(VALU_DEP_1)
	v_mul_f32_e32 v93, v88, v23
	v_and_b32_e32 v23, 0x7f800000, v93
	s_delay_alu instid0(VALU_DEP_1) | instskip(SKIP_1) | instid1(SALU_CYCLE_1)
	v_cmp_ne_u32_e32 vcc_lo, 0x7f800000, v23
                                        ; implicit-def: $vgpr23
	s_and_saveexec_b32 s90, vcc_lo
	s_xor_b32 s90, exec_lo, s90
; %bb.232:                              ;   in Loop: Header=BB4_135 Depth=3
	v_bfe_u32 v23, v93, 16, 1
	s_delay_alu instid0(VALU_DEP_1)
	v_add3_u32 v23, v93, v23, 0x7fff
                                        ; implicit-def: $vgpr93
; %bb.233:                              ;   in Loop: Header=BB4_135 Depth=3
	s_and_not1_saveexec_b32 s90, s90
; %bb.234:                              ;   in Loop: Header=BB4_135 Depth=3
	v_and_b32_e32 v23, 0xffff, v93
	v_or_b32_e32 v94, 0x10000, v93
	s_delay_alu instid0(VALU_DEP_2) | instskip(NEXT) | instid1(VALU_DEP_2)
	v_cmp_eq_u32_e32 vcc_lo, 0, v23
	v_cndmask_b32_e32 v23, v94, v93, vcc_lo
; %bb.235:                              ;   in Loop: Header=BB4_135 Depth=3
	s_or_b32 exec_lo, exec_lo, s90
	s_wait_loadcnt 0x0
	v_lshlrev_b32_e32 v93, 16, v16
	s_delay_alu instid0(VALU_DEP_1) | instskip(NEXT) | instid1(VALU_DEP_1)
	v_mul_f32_e32 v94, v88, v93
	v_and_b32_e32 v93, 0x7f800000, v94
	s_delay_alu instid0(VALU_DEP_1) | instskip(SKIP_1) | instid1(SALU_CYCLE_1)
	v_cmp_ne_u32_e32 vcc_lo, 0x7f800000, v93
                                        ; implicit-def: $vgpr93
	s_and_saveexec_b32 s90, vcc_lo
	s_xor_b32 s90, exec_lo, s90
; %bb.236:                              ;   in Loop: Header=BB4_135 Depth=3
	v_bfe_u32 v93, v94, 16, 1
	s_delay_alu instid0(VALU_DEP_1)
	v_add3_u32 v93, v94, v93, 0x7fff
                                        ; implicit-def: $vgpr94
; %bb.237:                              ;   in Loop: Header=BB4_135 Depth=3
	s_and_not1_saveexec_b32 s90, s90
; %bb.238:                              ;   in Loop: Header=BB4_135 Depth=3
	v_and_b32_e32 v93, 0xffff, v94
	v_or_b32_e32 v95, 0x10000, v94
	s_delay_alu instid0(VALU_DEP_2) | instskip(NEXT) | instid1(VALU_DEP_2)
	v_cmp_eq_u32_e32 vcc_lo, 0, v93
	v_cndmask_b32_e32 v93, v95, v94, vcc_lo
; %bb.239:                              ;   in Loop: Header=BB4_135 Depth=3
	s_or_b32 exec_lo, exec_lo, s90
	v_and_b32_e32 v16, 0xffff0000, v16
	s_delay_alu instid0(VALU_DEP_1) | instskip(NEXT) | instid1(VALU_DEP_1)
	v_mul_f32_e32 v94, v88, v16
	v_and_b32_e32 v16, 0x7f800000, v94
	s_delay_alu instid0(VALU_DEP_1) | instskip(SKIP_1) | instid1(SALU_CYCLE_1)
	v_cmp_ne_u32_e32 vcc_lo, 0x7f800000, v16
                                        ; implicit-def: $vgpr16
	s_and_saveexec_b32 s90, vcc_lo
	s_xor_b32 s90, exec_lo, s90
; %bb.240:                              ;   in Loop: Header=BB4_135 Depth=3
	v_bfe_u32 v16, v94, 16, 1
	s_delay_alu instid0(VALU_DEP_1)
	v_add3_u32 v16, v94, v16, 0x7fff
                                        ; implicit-def: $vgpr94
; %bb.241:                              ;   in Loop: Header=BB4_135 Depth=3
	s_and_not1_saveexec_b32 s90, s90
; %bb.242:                              ;   in Loop: Header=BB4_135 Depth=3
	v_and_b32_e32 v16, 0xffff, v94
	v_or_b32_e32 v95, 0x10000, v94
	s_delay_alu instid0(VALU_DEP_2) | instskip(NEXT) | instid1(VALU_DEP_2)
	v_cmp_eq_u32_e32 vcc_lo, 0, v16
	v_cndmask_b32_e32 v16, v95, v94, vcc_lo
; %bb.243:                              ;   in Loop: Header=BB4_135 Depth=3
	s_or_b32 exec_lo, exec_lo, s90
	v_lshlrev_b32_e32 v94, 16, v17
	s_delay_alu instid0(VALU_DEP_1) | instskip(NEXT) | instid1(VALU_DEP_1)
	v_mul_f32_e32 v95, v88, v94
	v_and_b32_e32 v94, 0x7f800000, v95
	s_delay_alu instid0(VALU_DEP_1) | instskip(SKIP_1) | instid1(SALU_CYCLE_1)
	v_cmp_ne_u32_e32 vcc_lo, 0x7f800000, v94
                                        ; implicit-def: $vgpr94
	s_and_saveexec_b32 s90, vcc_lo
	s_xor_b32 s90, exec_lo, s90
; %bb.244:                              ;   in Loop: Header=BB4_135 Depth=3
	v_bfe_u32 v94, v95, 16, 1
	s_delay_alu instid0(VALU_DEP_1)
	v_add3_u32 v94, v95, v94, 0x7fff
                                        ; implicit-def: $vgpr95
; %bb.245:                              ;   in Loop: Header=BB4_135 Depth=3
	s_and_not1_saveexec_b32 s90, s90
; %bb.246:                              ;   in Loop: Header=BB4_135 Depth=3
	v_and_b32_e32 v94, 0xffff, v95
	v_or_b32_e32 v104, 0x10000, v95
	s_delay_alu instid0(VALU_DEP_2) | instskip(NEXT) | instid1(VALU_DEP_2)
	v_cmp_eq_u32_e32 vcc_lo, 0, v94
	v_cndmask_b32_e32 v94, v104, v95, vcc_lo
; %bb.247:                              ;   in Loop: Header=BB4_135 Depth=3
	s_or_b32 exec_lo, exec_lo, s90
	v_and_b32_e32 v17, 0xffff0000, v17
	s_delay_alu instid0(VALU_DEP_1) | instskip(NEXT) | instid1(VALU_DEP_1)
	v_mul_f32_e32 v95, v88, v17
	v_and_b32_e32 v17, 0x7f800000, v95
	s_delay_alu instid0(VALU_DEP_1) | instskip(SKIP_1) | instid1(SALU_CYCLE_1)
	v_cmp_ne_u32_e32 vcc_lo, 0x7f800000, v17
                                        ; implicit-def: $vgpr17
	s_and_saveexec_b32 s90, vcc_lo
	s_xor_b32 s90, exec_lo, s90
; %bb.248:                              ;   in Loop: Header=BB4_135 Depth=3
	v_bfe_u32 v17, v95, 16, 1
	s_delay_alu instid0(VALU_DEP_1)
	v_add3_u32 v17, v95, v17, 0x7fff
                                        ; implicit-def: $vgpr95
; %bb.249:                              ;   in Loop: Header=BB4_135 Depth=3
	s_and_not1_saveexec_b32 s90, s90
; %bb.250:                              ;   in Loop: Header=BB4_135 Depth=3
	v_and_b32_e32 v17, 0xffff, v95
	v_or_b32_e32 v104, 0x10000, v95
	s_delay_alu instid0(VALU_DEP_2) | instskip(NEXT) | instid1(VALU_DEP_2)
	v_cmp_eq_u32_e32 vcc_lo, 0, v17
	v_cndmask_b32_e32 v17, v104, v95, vcc_lo
; %bb.251:                              ;   in Loop: Header=BB4_135 Depth=3
	s_or_b32 exec_lo, exec_lo, s90
	v_lshlrev_b32_e32 v95, 16, v18
	s_delay_alu instid0(VALU_DEP_1) | instskip(NEXT) | instid1(VALU_DEP_1)
	v_mul_f32_e32 v104, v88, v95
	v_and_b32_e32 v95, 0x7f800000, v104
	s_delay_alu instid0(VALU_DEP_1) | instskip(SKIP_1) | instid1(SALU_CYCLE_1)
	v_cmp_ne_u32_e32 vcc_lo, 0x7f800000, v95
                                        ; implicit-def: $vgpr95
	s_and_saveexec_b32 s90, vcc_lo
	s_xor_b32 s90, exec_lo, s90
; %bb.252:                              ;   in Loop: Header=BB4_135 Depth=3
	v_bfe_u32 v95, v104, 16, 1
	s_delay_alu instid0(VALU_DEP_1)
	v_add3_u32 v95, v104, v95, 0x7fff
                                        ; implicit-def: $vgpr104
; %bb.253:                              ;   in Loop: Header=BB4_135 Depth=3
	s_and_not1_saveexec_b32 s90, s90
; %bb.254:                              ;   in Loop: Header=BB4_135 Depth=3
	v_and_b32_e32 v95, 0xffff, v104
	v_or_b32_e32 v105, 0x10000, v104
	s_delay_alu instid0(VALU_DEP_2) | instskip(NEXT) | instid1(VALU_DEP_2)
	v_cmp_eq_u32_e32 vcc_lo, 0, v95
	v_cndmask_b32_e32 v95, v105, v104, vcc_lo
; %bb.255:                              ;   in Loop: Header=BB4_135 Depth=3
	s_or_b32 exec_lo, exec_lo, s90
	v_and_b32_e32 v18, 0xffff0000, v18
	s_delay_alu instid0(VALU_DEP_1) | instskip(NEXT) | instid1(VALU_DEP_1)
	v_mul_f32_e32 v104, v88, v18
	v_and_b32_e32 v18, 0x7f800000, v104
	s_delay_alu instid0(VALU_DEP_1) | instskip(SKIP_1) | instid1(SALU_CYCLE_1)
	v_cmp_ne_u32_e32 vcc_lo, 0x7f800000, v18
                                        ; implicit-def: $vgpr18
	s_and_saveexec_b32 s90, vcc_lo
	s_xor_b32 s90, exec_lo, s90
; %bb.256:                              ;   in Loop: Header=BB4_135 Depth=3
	v_bfe_u32 v18, v104, 16, 1
	s_delay_alu instid0(VALU_DEP_1)
	v_add3_u32 v18, v104, v18, 0x7fff
                                        ; implicit-def: $vgpr104
; %bb.257:                              ;   in Loop: Header=BB4_135 Depth=3
	s_and_not1_saveexec_b32 s90, s90
; %bb.258:                              ;   in Loop: Header=BB4_135 Depth=3
	v_and_b32_e32 v18, 0xffff, v104
	v_or_b32_e32 v105, 0x10000, v104
	s_delay_alu instid0(VALU_DEP_2) | instskip(NEXT) | instid1(VALU_DEP_2)
	v_cmp_eq_u32_e32 vcc_lo, 0, v18
	v_cndmask_b32_e32 v18, v105, v104, vcc_lo
; %bb.259:                              ;   in Loop: Header=BB4_135 Depth=3
	s_or_b32 exec_lo, exec_lo, s90
	v_lshlrev_b32_e32 v104, 16, v19
	s_delay_alu instid0(VALU_DEP_1) | instskip(NEXT) | instid1(VALU_DEP_1)
	v_mul_f32_e32 v105, v88, v104
	v_and_b32_e32 v104, 0x7f800000, v105
	s_delay_alu instid0(VALU_DEP_1) | instskip(SKIP_1) | instid1(SALU_CYCLE_1)
	v_cmp_ne_u32_e32 vcc_lo, 0x7f800000, v104
                                        ; implicit-def: $vgpr104
	s_and_saveexec_b32 s90, vcc_lo
	s_xor_b32 s90, exec_lo, s90
; %bb.260:                              ;   in Loop: Header=BB4_135 Depth=3
	v_bfe_u32 v104, v105, 16, 1
	s_delay_alu instid0(VALU_DEP_1)
	v_add3_u32 v104, v105, v104, 0x7fff
                                        ; implicit-def: $vgpr105
; %bb.261:                              ;   in Loop: Header=BB4_135 Depth=3
	s_and_not1_saveexec_b32 s90, s90
; %bb.262:                              ;   in Loop: Header=BB4_135 Depth=3
	v_and_b32_e32 v104, 0xffff, v105
	v_or_b32_e32 v106, 0x10000, v105
	s_delay_alu instid0(VALU_DEP_2) | instskip(NEXT) | instid1(VALU_DEP_2)
	v_cmp_eq_u32_e32 vcc_lo, 0, v104
	v_cndmask_b32_e32 v104, v106, v105, vcc_lo
; %bb.263:                              ;   in Loop: Header=BB4_135 Depth=3
	s_or_b32 exec_lo, exec_lo, s90
	v_and_b32_e32 v19, 0xffff0000, v19
	s_delay_alu instid0(VALU_DEP_1) | instskip(NEXT) | instid1(VALU_DEP_1)
	v_mul_f32_e32 v105, v88, v19
	v_and_b32_e32 v19, 0x7f800000, v105
	s_delay_alu instid0(VALU_DEP_1) | instskip(SKIP_1) | instid1(SALU_CYCLE_1)
	v_cmp_ne_u32_e32 vcc_lo, 0x7f800000, v19
                                        ; implicit-def: $vgpr19
	s_and_saveexec_b32 s90, vcc_lo
	s_xor_b32 s90, exec_lo, s90
; %bb.264:                              ;   in Loop: Header=BB4_135 Depth=3
	v_bfe_u32 v19, v105, 16, 1
	s_delay_alu instid0(VALU_DEP_1)
	v_add3_u32 v19, v105, v19, 0x7fff
                                        ; implicit-def: $vgpr105
; %bb.265:                              ;   in Loop: Header=BB4_135 Depth=3
	s_and_not1_saveexec_b32 s90, s90
	s_cbranch_execz .LBB4_134
; %bb.266:                              ;   in Loop: Header=BB4_135 Depth=3
	v_and_b32_e32 v19, 0xffff, v105
	v_or_b32_e32 v106, 0x10000, v105
	s_delay_alu instid0(VALU_DEP_2) | instskip(NEXT) | instid1(VALU_DEP_2)
	v_cmp_eq_u32_e32 vcc_lo, 0, v19
	v_cndmask_b32_e32 v19, v106, v105, vcc_lo
	s_branch .LBB4_134
.LBB4_267:                              ;   in Loop: Header=BB4_57 Depth=2
	v_dual_mov_b32 v8, v0 :: v_dual_mov_b32 v13, v73
	s_and_saveexec_b32 s13, s40
	s_cbranch_execnz .LBB4_448
	s_branch .LBB4_528
.LBB4_268:                              ;   in Loop: Header=BB4_57 Depth=2
	s_or_b32 exec_lo, exec_lo, s41
	s_delay_alu instid0(SALU_CYCLE_1)
	s_and_b32 s41, s88, exec_lo
.LBB4_269:                              ;   in Loop: Header=BB4_57 Depth=2
	s_or_b32 exec_lo, exec_lo, s13
	s_and_saveexec_b32 s13, s41
	s_cbranch_execz .LBB4_335
; %bb.270:                              ;   in Loop: Header=BB4_57 Depth=2
	s_trap 2
	ds_load_b32 v16, v0
	s_wait_dscnt 0x0
	v_lshlrev_b32_e32 v17, 16, v16
	s_delay_alu instid0(VALU_DEP_1) | instskip(NEXT) | instid1(VALU_DEP_1)
	v_dual_lshlrev_b32 v16, 16, v12 :: v_dual_mov_b32 v18, v17
	v_pk_mul_f32 v[18:19], v[18:19], v[16:17]
	s_delay_alu instid0(VALU_DEP_1) | instskip(NEXT) | instid1(VALU_DEP_1)
	v_and_b32_e32 v16, 0x7f800000, v18
	v_cmp_ne_u32_e32 vcc_lo, 0x7f800000, v16
                                        ; implicit-def: $vgpr16
	s_and_saveexec_b32 s41, vcc_lo
	s_delay_alu instid0(SALU_CYCLE_1)
	s_xor_b32 s41, exec_lo, s41
; %bb.271:                              ;   in Loop: Header=BB4_57 Depth=2
	v_bfe_u32 v16, v18, 16, 1
	s_delay_alu instid0(VALU_DEP_1)
	v_add3_u32 v16, v18, v16, 0x7fff
                                        ; implicit-def: $vgpr18_vgpr19
; %bb.272:                              ;   in Loop: Header=BB4_57 Depth=2
	s_and_not1_saveexec_b32 s41, s41
; %bb.273:                              ;   in Loop: Header=BB4_57 Depth=2
	v_and_b32_e32 v16, 0xffff, v18
	v_or_b32_e32 v19, 0x10000, v18
	s_delay_alu instid0(VALU_DEP_2) | instskip(NEXT) | instid1(VALU_DEP_2)
	v_cmp_eq_u32_e32 vcc_lo, 0, v16
	v_cndmask_b32_e32 v16, v19, v18, vcc_lo
; %bb.274:                              ;   in Loop: Header=BB4_57 Depth=2
	s_or_b32 exec_lo, exec_lo, s41
	v_and_b32_e32 v12, 0xffff0000, v12
	s_delay_alu instid0(VALU_DEP_1) | instskip(NEXT) | instid1(VALU_DEP_1)
	v_mul_f32_e32 v18, v17, v12
	v_and_b32_e32 v12, 0x7f800000, v18
	s_delay_alu instid0(VALU_DEP_1) | instskip(SKIP_1) | instid1(SALU_CYCLE_1)
	v_cmp_ne_u32_e32 vcc_lo, 0x7f800000, v12
                                        ; implicit-def: $vgpr12
	s_and_saveexec_b32 s41, vcc_lo
	s_xor_b32 s41, exec_lo, s41
; %bb.275:                              ;   in Loop: Header=BB4_57 Depth=2
	v_bfe_u32 v12, v18, 16, 1
	s_delay_alu instid0(VALU_DEP_1)
	v_add3_u32 v12, v18, v12, 0x7fff
                                        ; implicit-def: $vgpr18
; %bb.276:                              ;   in Loop: Header=BB4_57 Depth=2
	s_and_not1_saveexec_b32 s41, s41
; %bb.277:                              ;   in Loop: Header=BB4_57 Depth=2
	v_and_b32_e32 v12, 0xffff, v18
	v_or_b32_e32 v19, 0x10000, v18
	s_delay_alu instid0(VALU_DEP_2) | instskip(NEXT) | instid1(VALU_DEP_2)
	v_cmp_eq_u32_e32 vcc_lo, 0, v12
	v_cndmask_b32_e32 v12, v19, v18, vcc_lo
; %bb.278:                              ;   in Loop: Header=BB4_57 Depth=2
	s_or_b32 exec_lo, exec_lo, s41
	v_lshlrev_b32_e32 v18, 16, v13
	s_delay_alu instid0(VALU_DEP_1) | instskip(NEXT) | instid1(VALU_DEP_1)
	v_mul_f32_e32 v19, v17, v18
	v_and_b32_e32 v18, 0x7f800000, v19
	s_delay_alu instid0(VALU_DEP_1) | instskip(SKIP_1) | instid1(SALU_CYCLE_1)
	v_cmp_ne_u32_e32 vcc_lo, 0x7f800000, v18
                                        ; implicit-def: $vgpr18
	s_and_saveexec_b32 s41, vcc_lo
	s_xor_b32 s41, exec_lo, s41
; %bb.279:                              ;   in Loop: Header=BB4_57 Depth=2
	v_bfe_u32 v18, v19, 16, 1
	s_delay_alu instid0(VALU_DEP_1)
	v_add3_u32 v18, v19, v18, 0x7fff
                                        ; implicit-def: $vgpr19
; %bb.280:                              ;   in Loop: Header=BB4_57 Depth=2
	s_and_not1_saveexec_b32 s41, s41
; %bb.281:                              ;   in Loop: Header=BB4_57 Depth=2
	v_and_b32_e32 v18, 0xffff, v19
	v_or_b32_e32 v20, 0x10000, v19
	s_delay_alu instid0(VALU_DEP_2) | instskip(NEXT) | instid1(VALU_DEP_2)
	v_cmp_eq_u32_e32 vcc_lo, 0, v18
	v_cndmask_b32_e32 v18, v20, v19, vcc_lo
; %bb.282:                              ;   in Loop: Header=BB4_57 Depth=2
	s_or_b32 exec_lo, exec_lo, s41
	v_and_b32_e32 v13, 0xffff0000, v13
	s_delay_alu instid0(VALU_DEP_1) | instskip(NEXT) | instid1(VALU_DEP_1)
	v_mul_f32_e32 v19, v17, v13
	v_and_b32_e32 v13, 0x7f800000, v19
	s_delay_alu instid0(VALU_DEP_1) | instskip(SKIP_1) | instid1(SALU_CYCLE_1)
	v_cmp_ne_u32_e32 vcc_lo, 0x7f800000, v13
                                        ; implicit-def: $vgpr13
	s_and_saveexec_b32 s41, vcc_lo
	s_xor_b32 s41, exec_lo, s41
; %bb.283:                              ;   in Loop: Header=BB4_57 Depth=2
	v_bfe_u32 v13, v19, 16, 1
	s_delay_alu instid0(VALU_DEP_1)
	v_add3_u32 v13, v19, v13, 0x7fff
                                        ; implicit-def: $vgpr19
; %bb.284:                              ;   in Loop: Header=BB4_57 Depth=2
	s_and_not1_saveexec_b32 s41, s41
; %bb.285:                              ;   in Loop: Header=BB4_57 Depth=2
	v_and_b32_e32 v13, 0xffff, v19
	v_or_b32_e32 v20, 0x10000, v19
	s_delay_alu instid0(VALU_DEP_2) | instskip(NEXT) | instid1(VALU_DEP_2)
	v_cmp_eq_u32_e32 vcc_lo, 0, v13
	v_cndmask_b32_e32 v13, v20, v19, vcc_lo
; %bb.286:                              ;   in Loop: Header=BB4_57 Depth=2
	s_or_b32 exec_lo, exec_lo, s41
	v_lshlrev_b32_e32 v19, 16, v14
	s_delay_alu instid0(VALU_DEP_1) | instskip(NEXT) | instid1(VALU_DEP_1)
	v_mul_f32_e32 v20, v17, v19
	v_and_b32_e32 v19, 0x7f800000, v20
	s_delay_alu instid0(VALU_DEP_1) | instskip(SKIP_1) | instid1(SALU_CYCLE_1)
	v_cmp_ne_u32_e32 vcc_lo, 0x7f800000, v19
                                        ; implicit-def: $vgpr19
	s_and_saveexec_b32 s41, vcc_lo
	s_xor_b32 s41, exec_lo, s41
; %bb.287:                              ;   in Loop: Header=BB4_57 Depth=2
	v_bfe_u32 v19, v20, 16, 1
	s_delay_alu instid0(VALU_DEP_1)
	v_add3_u32 v19, v20, v19, 0x7fff
                                        ; implicit-def: $vgpr20
; %bb.288:                              ;   in Loop: Header=BB4_57 Depth=2
	s_and_not1_saveexec_b32 s41, s41
; %bb.289:                              ;   in Loop: Header=BB4_57 Depth=2
	v_and_b32_e32 v19, 0xffff, v20
	v_or_b32_e32 v21, 0x10000, v20
	s_delay_alu instid0(VALU_DEP_2) | instskip(NEXT) | instid1(VALU_DEP_2)
	v_cmp_eq_u32_e32 vcc_lo, 0, v19
	v_cndmask_b32_e32 v19, v21, v20, vcc_lo
; %bb.290:                              ;   in Loop: Header=BB4_57 Depth=2
	s_or_b32 exec_lo, exec_lo, s41
	v_and_b32_e32 v14, 0xffff0000, v14
	s_delay_alu instid0(VALU_DEP_1) | instskip(NEXT) | instid1(VALU_DEP_1)
	v_mul_f32_e32 v20, v17, v14
	v_and_b32_e32 v14, 0x7f800000, v20
	s_delay_alu instid0(VALU_DEP_1) | instskip(SKIP_1) | instid1(SALU_CYCLE_1)
	v_cmp_ne_u32_e32 vcc_lo, 0x7f800000, v14
                                        ; implicit-def: $vgpr14
	s_and_saveexec_b32 s41, vcc_lo
	s_xor_b32 s41, exec_lo, s41
; %bb.291:                              ;   in Loop: Header=BB4_57 Depth=2
	v_bfe_u32 v14, v20, 16, 1
	s_delay_alu instid0(VALU_DEP_1)
	v_add3_u32 v14, v20, v14, 0x7fff
                                        ; implicit-def: $vgpr20
; %bb.292:                              ;   in Loop: Header=BB4_57 Depth=2
	s_and_not1_saveexec_b32 s41, s41
; %bb.293:                              ;   in Loop: Header=BB4_57 Depth=2
	v_and_b32_e32 v14, 0xffff, v20
	v_or_b32_e32 v21, 0x10000, v20
	s_delay_alu instid0(VALU_DEP_2) | instskip(NEXT) | instid1(VALU_DEP_2)
	v_cmp_eq_u32_e32 vcc_lo, 0, v14
	v_cndmask_b32_e32 v14, v21, v20, vcc_lo
; %bb.294:                              ;   in Loop: Header=BB4_57 Depth=2
	s_or_b32 exec_lo, exec_lo, s41
	v_lshlrev_b32_e32 v20, 16, v15
	s_delay_alu instid0(VALU_DEP_1) | instskip(NEXT) | instid1(VALU_DEP_1)
	v_mul_f32_e32 v21, v17, v20
	v_and_b32_e32 v20, 0x7f800000, v21
	s_delay_alu instid0(VALU_DEP_1) | instskip(SKIP_1) | instid1(SALU_CYCLE_1)
	v_cmp_ne_u32_e32 vcc_lo, 0x7f800000, v20
                                        ; implicit-def: $vgpr20
	s_and_saveexec_b32 s41, vcc_lo
	s_xor_b32 s41, exec_lo, s41
; %bb.295:                              ;   in Loop: Header=BB4_57 Depth=2
	v_bfe_u32 v20, v21, 16, 1
	s_delay_alu instid0(VALU_DEP_1)
	v_add3_u32 v20, v21, v20, 0x7fff
                                        ; implicit-def: $vgpr21
; %bb.296:                              ;   in Loop: Header=BB4_57 Depth=2
	s_and_not1_saveexec_b32 s41, s41
; %bb.297:                              ;   in Loop: Header=BB4_57 Depth=2
	v_and_b32_e32 v20, 0xffff, v21
	v_or_b32_e32 v22, 0x10000, v21
	s_delay_alu instid0(VALU_DEP_2) | instskip(NEXT) | instid1(VALU_DEP_2)
	v_cmp_eq_u32_e32 vcc_lo, 0, v20
	v_cndmask_b32_e32 v20, v22, v21, vcc_lo
; %bb.298:                              ;   in Loop: Header=BB4_57 Depth=2
	s_or_b32 exec_lo, exec_lo, s41
	v_and_b32_e32 v15, 0xffff0000, v15
	s_delay_alu instid0(VALU_DEP_1) | instskip(NEXT) | instid1(VALU_DEP_1)
	v_mul_f32_e32 v21, v17, v15
	v_and_b32_e32 v15, 0x7f800000, v21
	s_delay_alu instid0(VALU_DEP_1) | instskip(SKIP_1) | instid1(SALU_CYCLE_1)
	v_cmp_ne_u32_e32 vcc_lo, 0x7f800000, v15
                                        ; implicit-def: $vgpr15
	s_and_saveexec_b32 s41, vcc_lo
	s_xor_b32 s41, exec_lo, s41
; %bb.299:                              ;   in Loop: Header=BB4_57 Depth=2
	v_bfe_u32 v15, v21, 16, 1
	s_delay_alu instid0(VALU_DEP_1)
	v_add3_u32 v15, v21, v15, 0x7fff
                                        ; implicit-def: $vgpr21
; %bb.300:                              ;   in Loop: Header=BB4_57 Depth=2
	s_and_not1_saveexec_b32 s41, s41
; %bb.301:                              ;   in Loop: Header=BB4_57 Depth=2
	v_and_b32_e32 v15, 0xffff, v21
	v_or_b32_e32 v22, 0x10000, v21
	s_delay_alu instid0(VALU_DEP_2) | instskip(NEXT) | instid1(VALU_DEP_2)
	v_cmp_eq_u32_e32 vcc_lo, 0, v15
	v_cndmask_b32_e32 v15, v22, v21, vcc_lo
; %bb.302:                              ;   in Loop: Header=BB4_57 Depth=2
	s_or_b32 exec_lo, exec_lo, s41
	v_lshlrev_b32_e32 v21, 16, v8
	s_delay_alu instid0(VALU_DEP_1) | instskip(NEXT) | instid1(VALU_DEP_1)
	v_mul_f32_e32 v22, v17, v21
	v_and_b32_e32 v21, 0x7f800000, v22
	s_delay_alu instid0(VALU_DEP_1) | instskip(SKIP_1) | instid1(SALU_CYCLE_1)
	v_cmp_ne_u32_e32 vcc_lo, 0x7f800000, v21
                                        ; implicit-def: $vgpr21
	s_and_saveexec_b32 s41, vcc_lo
	s_xor_b32 s41, exec_lo, s41
; %bb.303:                              ;   in Loop: Header=BB4_57 Depth=2
	v_bfe_u32 v21, v22, 16, 1
	s_delay_alu instid0(VALU_DEP_1)
	v_add3_u32 v21, v22, v21, 0x7fff
                                        ; implicit-def: $vgpr22
; %bb.304:                              ;   in Loop: Header=BB4_57 Depth=2
	s_and_not1_saveexec_b32 s41, s41
; %bb.305:                              ;   in Loop: Header=BB4_57 Depth=2
	v_and_b32_e32 v21, 0xffff, v22
	v_or_b32_e32 v23, 0x10000, v22
	s_delay_alu instid0(VALU_DEP_2) | instskip(NEXT) | instid1(VALU_DEP_2)
	v_cmp_eq_u32_e32 vcc_lo, 0, v21
	v_cndmask_b32_e32 v21, v23, v22, vcc_lo
; %bb.306:                              ;   in Loop: Header=BB4_57 Depth=2
	s_or_b32 exec_lo, exec_lo, s41
	v_and_b32_e32 v8, 0xffff0000, v8
	s_delay_alu instid0(VALU_DEP_1) | instskip(NEXT) | instid1(VALU_DEP_1)
	v_mul_f32_e32 v22, v17, v8
	v_and_b32_e32 v8, 0x7f800000, v22
	s_delay_alu instid0(VALU_DEP_1) | instskip(SKIP_1) | instid1(SALU_CYCLE_1)
	v_cmp_ne_u32_e32 vcc_lo, 0x7f800000, v8
                                        ; implicit-def: $vgpr8
	s_and_saveexec_b32 s41, vcc_lo
	s_xor_b32 s41, exec_lo, s41
; %bb.307:                              ;   in Loop: Header=BB4_57 Depth=2
	v_bfe_u32 v8, v22, 16, 1
	s_delay_alu instid0(VALU_DEP_1)
	v_add3_u32 v8, v22, v8, 0x7fff
                                        ; implicit-def: $vgpr22
; %bb.308:                              ;   in Loop: Header=BB4_57 Depth=2
	s_and_not1_saveexec_b32 s41, s41
; %bb.309:                              ;   in Loop: Header=BB4_57 Depth=2
	v_and_b32_e32 v8, 0xffff, v22
	v_or_b32_e32 v23, 0x10000, v22
	s_delay_alu instid0(VALU_DEP_2) | instskip(NEXT) | instid1(VALU_DEP_2)
	v_cmp_eq_u32_e32 vcc_lo, 0, v8
	v_cndmask_b32_e32 v8, v23, v22, vcc_lo
; %bb.310:                              ;   in Loop: Header=BB4_57 Depth=2
	s_or_b32 exec_lo, exec_lo, s41
	v_lshlrev_b32_e32 v22, 16, v9
	s_delay_alu instid0(VALU_DEP_1) | instskip(NEXT) | instid1(VALU_DEP_1)
	v_mul_f32_e32 v23, v17, v22
	v_and_b32_e32 v22, 0x7f800000, v23
	s_delay_alu instid0(VALU_DEP_1) | instskip(SKIP_1) | instid1(SALU_CYCLE_1)
	v_cmp_ne_u32_e32 vcc_lo, 0x7f800000, v22
                                        ; implicit-def: $vgpr22
	s_and_saveexec_b32 s41, vcc_lo
	s_xor_b32 s41, exec_lo, s41
; %bb.311:                              ;   in Loop: Header=BB4_57 Depth=2
	v_bfe_u32 v22, v23, 16, 1
	s_delay_alu instid0(VALU_DEP_1)
	v_add3_u32 v22, v23, v22, 0x7fff
                                        ; implicit-def: $vgpr23
; %bb.312:                              ;   in Loop: Header=BB4_57 Depth=2
	s_and_not1_saveexec_b32 s41, s41
; %bb.313:                              ;   in Loop: Header=BB4_57 Depth=2
	v_and_b32_e32 v22, 0xffff, v23
	v_or_b32_e32 v60, 0x10000, v23
	s_delay_alu instid0(VALU_DEP_2) | instskip(NEXT) | instid1(VALU_DEP_2)
	v_cmp_eq_u32_e32 vcc_lo, 0, v22
	v_cndmask_b32_e32 v22, v60, v23, vcc_lo
; %bb.314:                              ;   in Loop: Header=BB4_57 Depth=2
	s_or_b32 exec_lo, exec_lo, s41
	v_and_b32_e32 v9, 0xffff0000, v9
	s_delay_alu instid0(VALU_DEP_1) | instskip(NEXT) | instid1(VALU_DEP_1)
	v_mul_f32_e32 v23, v17, v9
	v_and_b32_e32 v9, 0x7f800000, v23
	s_delay_alu instid0(VALU_DEP_1) | instskip(SKIP_1) | instid1(SALU_CYCLE_1)
	v_cmp_ne_u32_e32 vcc_lo, 0x7f800000, v9
                                        ; implicit-def: $vgpr9
	s_and_saveexec_b32 s41, vcc_lo
	s_xor_b32 s41, exec_lo, s41
; %bb.315:                              ;   in Loop: Header=BB4_57 Depth=2
	v_bfe_u32 v9, v23, 16, 1
	s_delay_alu instid0(VALU_DEP_1)
	v_add3_u32 v9, v23, v9, 0x7fff
                                        ; implicit-def: $vgpr23
; %bb.316:                              ;   in Loop: Header=BB4_57 Depth=2
	s_and_not1_saveexec_b32 s41, s41
; %bb.317:                              ;   in Loop: Header=BB4_57 Depth=2
	v_and_b32_e32 v9, 0xffff, v23
	v_or_b32_e32 v60, 0x10000, v23
	s_delay_alu instid0(VALU_DEP_2) | instskip(NEXT) | instid1(VALU_DEP_2)
	v_cmp_eq_u32_e32 vcc_lo, 0, v9
	v_cndmask_b32_e32 v9, v60, v23, vcc_lo
; %bb.318:                              ;   in Loop: Header=BB4_57 Depth=2
	s_or_b32 exec_lo, exec_lo, s41
	v_lshlrev_b32_e32 v23, 16, v10
	s_delay_alu instid0(VALU_DEP_1) | instskip(NEXT) | instid1(VALU_DEP_1)
	v_mul_f32_e32 v60, v17, v23
	v_and_b32_e32 v23, 0x7f800000, v60
	s_delay_alu instid0(VALU_DEP_1) | instskip(SKIP_1) | instid1(SALU_CYCLE_1)
	v_cmp_ne_u32_e32 vcc_lo, 0x7f800000, v23
                                        ; implicit-def: $vgpr23
	s_and_saveexec_b32 s41, vcc_lo
	s_xor_b32 s41, exec_lo, s41
; %bb.319:                              ;   in Loop: Header=BB4_57 Depth=2
	v_bfe_u32 v23, v60, 16, 1
	s_delay_alu instid0(VALU_DEP_1)
	v_add3_u32 v23, v60, v23, 0x7fff
                                        ; implicit-def: $vgpr60
; %bb.320:                              ;   in Loop: Header=BB4_57 Depth=2
	s_and_not1_saveexec_b32 s41, s41
; %bb.321:                              ;   in Loop: Header=BB4_57 Depth=2
	v_and_b32_e32 v23, 0xffff, v60
	v_or_b32_e32 v61, 0x10000, v60
	s_delay_alu instid0(VALU_DEP_2) | instskip(NEXT) | instid1(VALU_DEP_2)
	v_cmp_eq_u32_e32 vcc_lo, 0, v23
	v_cndmask_b32_e32 v23, v61, v60, vcc_lo
; %bb.322:                              ;   in Loop: Header=BB4_57 Depth=2
	s_or_b32 exec_lo, exec_lo, s41
	v_and_b32_e32 v10, 0xffff0000, v10
	s_delay_alu instid0(VALU_DEP_1) | instskip(NEXT) | instid1(VALU_DEP_1)
	v_mul_f32_e32 v60, v17, v10
	v_and_b32_e32 v10, 0x7f800000, v60
	s_delay_alu instid0(VALU_DEP_1) | instskip(SKIP_1) | instid1(SALU_CYCLE_1)
	v_cmp_ne_u32_e32 vcc_lo, 0x7f800000, v10
                                        ; implicit-def: $vgpr10
	s_and_saveexec_b32 s41, vcc_lo
	s_xor_b32 s41, exec_lo, s41
; %bb.323:                              ;   in Loop: Header=BB4_57 Depth=2
	v_bfe_u32 v10, v60, 16, 1
	s_delay_alu instid0(VALU_DEP_1)
	v_add3_u32 v10, v60, v10, 0x7fff
                                        ; implicit-def: $vgpr60
; %bb.324:                              ;   in Loop: Header=BB4_57 Depth=2
	s_and_not1_saveexec_b32 s41, s41
; %bb.325:                              ;   in Loop: Header=BB4_57 Depth=2
	v_and_b32_e32 v10, 0xffff, v60
	v_or_b32_e32 v61, 0x10000, v60
	s_delay_alu instid0(VALU_DEP_2) | instskip(NEXT) | instid1(VALU_DEP_2)
	v_cmp_eq_u32_e32 vcc_lo, 0, v10
	v_cndmask_b32_e32 v10, v61, v60, vcc_lo
; %bb.326:                              ;   in Loop: Header=BB4_57 Depth=2
	s_or_b32 exec_lo, exec_lo, s41
	v_lshlrev_b32_e32 v60, 16, v11
	s_delay_alu instid0(VALU_DEP_1) | instskip(NEXT) | instid1(VALU_DEP_1)
	v_mul_f32_e32 v61, v17, v60
	v_and_b32_e32 v60, 0x7f800000, v61
	s_delay_alu instid0(VALU_DEP_1) | instskip(SKIP_1) | instid1(SALU_CYCLE_1)
	v_cmp_ne_u32_e32 vcc_lo, 0x7f800000, v60
                                        ; implicit-def: $vgpr60
	s_and_saveexec_b32 s41, vcc_lo
	s_xor_b32 s41, exec_lo, s41
; %bb.327:                              ;   in Loop: Header=BB4_57 Depth=2
	v_bfe_u32 v60, v61, 16, 1
	s_delay_alu instid0(VALU_DEP_1)
	v_add3_u32 v60, v61, v60, 0x7fff
                                        ; implicit-def: $vgpr61
; %bb.328:                              ;   in Loop: Header=BB4_57 Depth=2
	s_and_not1_saveexec_b32 s41, s41
; %bb.329:                              ;   in Loop: Header=BB4_57 Depth=2
	v_and_b32_e32 v60, 0xffff, v61
	v_or_b32_e32 v88, 0x10000, v61
	s_delay_alu instid0(VALU_DEP_2) | instskip(NEXT) | instid1(VALU_DEP_2)
	v_cmp_eq_u32_e32 vcc_lo, 0, v60
	v_cndmask_b32_e32 v60, v88, v61, vcc_lo
; %bb.330:                              ;   in Loop: Header=BB4_57 Depth=2
	s_or_b32 exec_lo, exec_lo, s41
	v_and_b32_e32 v11, 0xffff0000, v11
	s_delay_alu instid0(VALU_DEP_1) | instskip(NEXT) | instid1(VALU_DEP_1)
	v_mul_f32_e32 v17, v17, v11
	v_and_b32_e32 v11, 0x7f800000, v17
	s_delay_alu instid0(VALU_DEP_1) | instskip(SKIP_1) | instid1(SALU_CYCLE_1)
	v_cmp_ne_u32_e32 vcc_lo, 0x7f800000, v11
                                        ; implicit-def: $vgpr11
	s_and_saveexec_b32 s41, vcc_lo
	s_xor_b32 s41, exec_lo, s41
; %bb.331:                              ;   in Loop: Header=BB4_57 Depth=2
	v_bfe_u32 v11, v17, 16, 1
	s_delay_alu instid0(VALU_DEP_1)
	v_add3_u32 v11, v17, v11, 0x7fff
                                        ; implicit-def: $vgpr17
; %bb.332:                              ;   in Loop: Header=BB4_57 Depth=2
	s_and_not1_saveexec_b32 s41, s41
; %bb.333:                              ;   in Loop: Header=BB4_57 Depth=2
	v_and_b32_e32 v11, 0xffff, v17
	v_or_b32_e32 v61, 0x10000, v17
	s_delay_alu instid0(VALU_DEP_2) | instskip(NEXT) | instid1(VALU_DEP_2)
	v_cmp_eq_u32_e32 vcc_lo, 0, v11
	v_cndmask_b32_e32 v11, v61, v17, vcc_lo
; %bb.334:                              ;   in Loop: Header=BB4_57 Depth=2
	s_or_b32 exec_lo, exec_lo, s41
	v_dual_lshrrev_b32 v17, 16, v18 :: v_dual_lshrrev_b32 v16, 16, v16
	v_lshrrev_b32_e32 v18, 16, v19
	v_lshrrev_b32_e32 v19, 16, v23
	s_delay_alu instid0(VALU_DEP_3) | instskip(NEXT) | instid1(VALU_DEP_4)
	v_and_or_b32 v13, 0xffff0000, v13, v17
	v_and_or_b32 v12, 0xffff0000, v12, v16
	v_lshrrev_b32_e32 v16, 16, v20
	v_and_or_b32 v14, 0xffff0000, v14, v18
	v_dual_lshrrev_b32 v17, 16, v22 :: v_dual_lshrrev_b32 v18, 16, v21
	v_lshrrev_b32_e32 v20, 16, v60
	s_delay_alu instid0(VALU_DEP_4) | instskip(SKIP_1) | instid1(VALU_DEP_4)
	v_and_or_b32 v15, 0xffff0000, v15, v16
	v_and_or_b32 v10, 0xffff0000, v10, v19
	;; [unrolled: 1-line block ×5, first 2 shown]
	s_clause 0x1
	global_store_b128 v[58:59], v[12:15], off th:TH_STORE_NT
	global_store_b128 v[58:59], v[8:11], off offset:512 th:TH_STORE_NT
.LBB4_335:                              ;   in Loop: Header=BB4_57 Depth=2
	s_wait_xcnt 0x0
	s_or_b32 exec_lo, exec_lo, s13
	v_lshlrev_b32_e32 v20, 10, v43
	s_mov_b32 s41, exec_lo
                                        ; implicit-def: $vgpr12
                                        ; implicit-def: $vgpr8
                                        ; implicit-def: $vgpr13
	s_delay_alu instid0(VALU_DEP_1)
	v_cmpx_ne_u32_e64 v41, v20
	s_cbranch_execz .LBB4_447
; %bb.336:                              ;   in Loop: Header=BB4_57 Depth=2
	v_lshlrev_b32_e32 v8, 5, v63
	s_mov_b32 s89, 0
	s_mov_b32 s88, exec_lo
	v_sub_nc_u32_e32 v12, v41, v20
	s_delay_alu instid0(VALU_DEP_2) | instskip(NEXT) | instid1(VALU_DEP_1)
	v_sub_nc_u32_e32 v8, v73, v8
	v_ashrrev_i32_e32 v9, 31, v8
	s_delay_alu instid0(VALU_DEP_1) | instskip(NEXT) | instid1(VALU_DEP_1)
	v_lshrrev_b32_e32 v9, 27, v9
	v_add_nc_u32_e32 v9, v8, v9
	s_delay_alu instid0(VALU_DEP_1) | instskip(NEXT) | instid1(VALU_DEP_1)
	v_and_b32_e32 v10, 0xffffffe0, v9
	v_dual_ashrrev_i32 v9, 5, v9 :: v_dual_sub_nc_u32 v21, v8, v10
	s_delay_alu instid0(VALU_DEP_1) | instskip(NEXT) | instid1(VALU_DEP_1)
	v_dual_ashrrev_i32 v11, 31, v12 :: v_dual_lshlrev_b32 v10, 4, v21
	v_lshl_add_u32 v13, v9, 9, v10
	s_delay_alu instid0(VALU_DEP_1) | instskip(NEXT) | instid1(VALU_DEP_1)
	v_dual_lshrrev_b32 v8, 23, v11 :: v_dual_add_nc_u32 v10, v13, v20
	v_dual_add_nc_u32 v8, v12, v8 :: v_dual_sub_nc_u32 v58, v12, v13
	s_delay_alu instid0(VALU_DEP_2) | instskip(NEXT) | instid1(VALU_DEP_2)
	v_ashrrev_i32_e32 v11, 31, v10
	v_and_b32_e32 v22, 0xfffffe00, v8
	s_delay_alu instid0(VALU_DEP_2) | instskip(NEXT) | instid1(VALU_DEP_2)
	v_add_nc_u64_e32 v[16:17], v[10:11], v[56:57]
	v_dual_sub_nc_u32 v23, v12, v22 :: v_dual_ashrrev_i32 v8, 9, v8
	s_delay_alu instid0(VALU_DEP_1) | instskip(NEXT) | instid1(VALU_DEP_2)
	v_cmp_lt_i32_e32 vcc_lo, 15, v23
	v_add_co_ci_u32_e64 v8, null, 0, v8, vcc_lo
	s_delay_alu instid0(VALU_DEP_1)
	v_sub_nc_u32_e32 v43, v8, v9
                                        ; implicit-def: $vgpr8_vgpr9
	v_cmpx_lt_i32_e32 15, v58
	s_cbranch_execz .LBB4_410
; %bb.337:                              ;   in Loop: Header=BB4_57 Depth=2
	s_trap 2
	ds_load_b32 v8, v0
	v_add_nc_u64_e32 v[18:19], v[10:11], v[46:47]
	s_mov_b32 s91, 0
                                        ; implicit-def: $sgpr90
	s_wait_dscnt 0x0
	v_lshlrev_b32_e32 v59, 16, v8
                                        ; implicit-def: $vgpr8_vgpr9
	s_branch .LBB4_339
.LBB4_338:                              ;   in Loop: Header=BB4_339 Depth=3
	s_or_b32 exec_lo, exec_lo, s13
	s_delay_alu instid0(VALU_DEP_1) | instskip(SKIP_3) | instid1(SALU_CYCLE_1)
	v_cmp_gt_i32_e64 s13, 16, v58
	s_or_b32 s89, s13, s89
	s_and_not1_b32 s13, s90, exec_lo
	s_and_b32 s90, s91, exec_lo
	s_or_b32 s90, s13, s90
	s_and_not1_b32 exec_lo, exec_lo, s89
	s_cbranch_execz .LBB4_409
.LBB4_339:                              ;   Parent Loop BB4_47 Depth=1
                                        ;     Parent Loop BB4_57 Depth=2
                                        ; =>    This Inner Loop Header: Depth=3
	global_load_b128 v[12:15], v[18:19], off th:TH_LOAD_NT
	s_wait_xcnt 0x0
	s_and_saveexec_b32 s92, s91
	s_cbranch_execz .LBB4_373
; %bb.340:                              ;   in Loop: Header=BB4_339 Depth=3
	v_lshlrev_b32_e32 v60, 16, v8
	s_delay_alu instid0(VALU_DEP_1) | instskip(NEXT) | instid1(VALU_DEP_1)
	v_mul_f32_e32 v61, v59, v60
	v_and_b32_e32 v60, 0x7f800000, v61
	s_delay_alu instid0(VALU_DEP_1) | instskip(SKIP_1) | instid1(SALU_CYCLE_1)
	v_cmp_ne_u32_e64 s13, 0x7f800000, v60
                                        ; implicit-def: $vgpr60
	s_and_saveexec_b32 s91, s13
	s_xor_b32 s13, exec_lo, s91
; %bb.341:                              ;   in Loop: Header=BB4_339 Depth=3
	v_bfe_u32 v60, v61, 16, 1
	s_delay_alu instid0(VALU_DEP_1)
	v_add3_u32 v60, v61, v60, 0x7fff
                                        ; implicit-def: $vgpr61
; %bb.342:                              ;   in Loop: Header=BB4_339 Depth=3
	s_and_not1_saveexec_b32 s91, s13
; %bb.343:                              ;   in Loop: Header=BB4_339 Depth=3
	v_and_b32_e32 v60, 0xffff, v61
	v_or_b32_e32 v63, 0x10000, v61
	s_delay_alu instid0(VALU_DEP_2) | instskip(NEXT) | instid1(VALU_DEP_1)
	v_cmp_eq_u32_e64 s13, 0, v60
	v_cndmask_b32_e64 v60, v63, v61, s13
; %bb.344:                              ;   in Loop: Header=BB4_339 Depth=3
	s_or_b32 exec_lo, exec_lo, s91
	v_and_b32_e32 v8, 0xffff0000, v8
	s_delay_alu instid0(VALU_DEP_1) | instskip(NEXT) | instid1(VALU_DEP_1)
	v_mul_f32_e32 v61, v59, v8
	v_and_b32_e32 v8, 0x7f800000, v61
	s_delay_alu instid0(VALU_DEP_1) | instskip(SKIP_1) | instid1(SALU_CYCLE_1)
	v_cmp_ne_u32_e64 s13, 0x7f800000, v8
                                        ; implicit-def: $vgpr8
	s_and_saveexec_b32 s91, s13
	s_xor_b32 s13, exec_lo, s91
; %bb.345:                              ;   in Loop: Header=BB4_339 Depth=3
	v_bfe_u32 v8, v61, 16, 1
	s_delay_alu instid0(VALU_DEP_1)
	v_add3_u32 v8, v61, v8, 0x7fff
                                        ; implicit-def: $vgpr61
; %bb.346:                              ;   in Loop: Header=BB4_339 Depth=3
	s_and_not1_saveexec_b32 s91, s13
; %bb.347:                              ;   in Loop: Header=BB4_339 Depth=3
	v_and_b32_e32 v8, 0xffff, v61
	v_or_b32_e32 v63, 0x10000, v61
	s_delay_alu instid0(VALU_DEP_2) | instskip(NEXT) | instid1(VALU_DEP_1)
	v_cmp_eq_u32_e64 s13, 0, v8
	v_cndmask_b32_e64 v8, v63, v61, s13
; %bb.348:                              ;   in Loop: Header=BB4_339 Depth=3
	s_or_b32 exec_lo, exec_lo, s91
	v_lshlrev_b32_e32 v61, 16, v9
	s_delay_alu instid0(VALU_DEP_1) | instskip(NEXT) | instid1(VALU_DEP_1)
	v_mul_f32_e32 v63, v59, v61
	v_and_b32_e32 v61, 0x7f800000, v63
	s_delay_alu instid0(VALU_DEP_1) | instskip(SKIP_1) | instid1(SALU_CYCLE_1)
	v_cmp_ne_u32_e64 s13, 0x7f800000, v61
                                        ; implicit-def: $vgpr61
	s_and_saveexec_b32 s91, s13
	s_xor_b32 s13, exec_lo, s91
; %bb.349:                              ;   in Loop: Header=BB4_339 Depth=3
	v_bfe_u32 v61, v63, 16, 1
	s_delay_alu instid0(VALU_DEP_1)
	v_add3_u32 v61, v63, v61, 0x7fff
                                        ; implicit-def: $vgpr63
; %bb.350:                              ;   in Loop: Header=BB4_339 Depth=3
	s_and_not1_saveexec_b32 s91, s13
; %bb.351:                              ;   in Loop: Header=BB4_339 Depth=3
	v_and_b32_e32 v61, 0xffff, v63
	v_or_b32_e32 v88, 0x10000, v63
	s_delay_alu instid0(VALU_DEP_2) | instskip(NEXT) | instid1(VALU_DEP_1)
	v_cmp_eq_u32_e64 s13, 0, v61
	v_cndmask_b32_e64 v61, v88, v63, s13
; %bb.352:                              ;   in Loop: Header=BB4_339 Depth=3
	s_or_b32 exec_lo, exec_lo, s91
	v_and_b32_e32 v9, 0xffff0000, v9
	s_delay_alu instid0(VALU_DEP_1) | instskip(NEXT) | instid1(VALU_DEP_1)
	v_mul_f32_e32 v63, v59, v9
	v_and_b32_e32 v9, 0x7f800000, v63
	s_delay_alu instid0(VALU_DEP_1) | instskip(SKIP_1) | instid1(SALU_CYCLE_1)
	v_cmp_ne_u32_e64 s13, 0x7f800000, v9
                                        ; implicit-def: $vgpr9
	s_and_saveexec_b32 s91, s13
	s_xor_b32 s13, exec_lo, s91
; %bb.353:                              ;   in Loop: Header=BB4_339 Depth=3
	v_bfe_u32 v9, v63, 16, 1
	s_delay_alu instid0(VALU_DEP_1)
	v_add3_u32 v9, v63, v9, 0x7fff
                                        ; implicit-def: $vgpr63
; %bb.354:                              ;   in Loop: Header=BB4_339 Depth=3
	s_and_not1_saveexec_b32 s91, s13
; %bb.355:                              ;   in Loop: Header=BB4_339 Depth=3
	v_and_b32_e32 v9, 0xffff, v63
	v_or_b32_e32 v88, 0x10000, v63
	s_delay_alu instid0(VALU_DEP_2) | instskip(NEXT) | instid1(VALU_DEP_1)
	v_cmp_eq_u32_e64 s13, 0, v9
	v_cndmask_b32_e64 v9, v88, v63, s13
; %bb.356:                              ;   in Loop: Header=BB4_339 Depth=3
	s_or_b32 exec_lo, exec_lo, s91
	v_lshlrev_b32_e32 v63, 16, v10
	s_delay_alu instid0(VALU_DEP_1) | instskip(NEXT) | instid1(VALU_DEP_1)
	v_mul_f32_e32 v88, v59, v63
	v_and_b32_e32 v63, 0x7f800000, v88
	s_delay_alu instid0(VALU_DEP_1) | instskip(SKIP_1) | instid1(SALU_CYCLE_1)
	v_cmp_ne_u32_e64 s13, 0x7f800000, v63
                                        ; implicit-def: $vgpr63
	s_and_saveexec_b32 s91, s13
	s_xor_b32 s13, exec_lo, s91
; %bb.357:                              ;   in Loop: Header=BB4_339 Depth=3
	v_bfe_u32 v63, v88, 16, 1
	s_delay_alu instid0(VALU_DEP_1)
	v_add3_u32 v63, v88, v63, 0x7fff
                                        ; implicit-def: $vgpr88
; %bb.358:                              ;   in Loop: Header=BB4_339 Depth=3
	s_and_not1_saveexec_b32 s91, s13
; %bb.359:                              ;   in Loop: Header=BB4_339 Depth=3
	v_and_b32_e32 v63, 0xffff, v88
	v_or_b32_e32 v89, 0x10000, v88
	s_delay_alu instid0(VALU_DEP_2) | instskip(NEXT) | instid1(VALU_DEP_1)
	v_cmp_eq_u32_e64 s13, 0, v63
	v_cndmask_b32_e64 v63, v89, v88, s13
; %bb.360:                              ;   in Loop: Header=BB4_339 Depth=3
	s_or_b32 exec_lo, exec_lo, s91
	v_and_b32_e32 v10, 0xffff0000, v10
	s_delay_alu instid0(VALU_DEP_1) | instskip(NEXT) | instid1(VALU_DEP_1)
	v_mul_f32_e32 v88, v59, v10
	v_and_b32_e32 v10, 0x7f800000, v88
	s_delay_alu instid0(VALU_DEP_1) | instskip(SKIP_1) | instid1(SALU_CYCLE_1)
	v_cmp_ne_u32_e64 s13, 0x7f800000, v10
                                        ; implicit-def: $vgpr10
	s_and_saveexec_b32 s91, s13
	s_xor_b32 s13, exec_lo, s91
; %bb.361:                              ;   in Loop: Header=BB4_339 Depth=3
	v_bfe_u32 v10, v88, 16, 1
	s_delay_alu instid0(VALU_DEP_1)
	v_add3_u32 v10, v88, v10, 0x7fff
                                        ; implicit-def: $vgpr88
; %bb.362:                              ;   in Loop: Header=BB4_339 Depth=3
	s_and_not1_saveexec_b32 s91, s13
; %bb.363:                              ;   in Loop: Header=BB4_339 Depth=3
	v_and_b32_e32 v10, 0xffff, v88
	v_or_b32_e32 v89, 0x10000, v88
	s_delay_alu instid0(VALU_DEP_2) | instskip(NEXT) | instid1(VALU_DEP_1)
	v_cmp_eq_u32_e64 s13, 0, v10
	v_cndmask_b32_e64 v10, v89, v88, s13
; %bb.364:                              ;   in Loop: Header=BB4_339 Depth=3
	s_or_b32 exec_lo, exec_lo, s91
	v_lshlrev_b32_e32 v88, 16, v11
	s_delay_alu instid0(VALU_DEP_1) | instskip(NEXT) | instid1(VALU_DEP_1)
	v_mul_f32_e32 v89, v59, v88
	v_and_b32_e32 v88, 0x7f800000, v89
	s_delay_alu instid0(VALU_DEP_1) | instskip(SKIP_1) | instid1(SALU_CYCLE_1)
	v_cmp_ne_u32_e64 s13, 0x7f800000, v88
                                        ; implicit-def: $vgpr88
	s_and_saveexec_b32 s91, s13
	s_xor_b32 s13, exec_lo, s91
; %bb.365:                              ;   in Loop: Header=BB4_339 Depth=3
	v_bfe_u32 v88, v89, 16, 1
	s_delay_alu instid0(VALU_DEP_1)
	v_add3_u32 v88, v89, v88, 0x7fff
                                        ; implicit-def: $vgpr89
; %bb.366:                              ;   in Loop: Header=BB4_339 Depth=3
	s_and_not1_saveexec_b32 s91, s13
; %bb.367:                              ;   in Loop: Header=BB4_339 Depth=3
	v_and_b32_e32 v88, 0xffff, v89
	v_or_b32_e32 v90, 0x10000, v89
	s_delay_alu instid0(VALU_DEP_2) | instskip(NEXT) | instid1(VALU_DEP_1)
	v_cmp_eq_u32_e64 s13, 0, v88
	v_cndmask_b32_e64 v88, v90, v89, s13
; %bb.368:                              ;   in Loop: Header=BB4_339 Depth=3
	s_or_b32 exec_lo, exec_lo, s91
	v_and_b32_e32 v11, 0xffff0000, v11
	s_delay_alu instid0(VALU_DEP_1) | instskip(NEXT) | instid1(VALU_DEP_1)
	v_mul_f32_e32 v89, v59, v11
	v_and_b32_e32 v11, 0x7f800000, v89
	s_delay_alu instid0(VALU_DEP_1) | instskip(SKIP_1) | instid1(SALU_CYCLE_1)
	v_cmp_ne_u32_e64 s13, 0x7f800000, v11
                                        ; implicit-def: $vgpr11
	s_and_saveexec_b32 s91, s13
	s_xor_b32 s13, exec_lo, s91
; %bb.369:                              ;   in Loop: Header=BB4_339 Depth=3
	v_bfe_u32 v11, v89, 16, 1
	s_delay_alu instid0(VALU_DEP_1)
	v_add3_u32 v11, v89, v11, 0x7fff
                                        ; implicit-def: $vgpr89
; %bb.370:                              ;   in Loop: Header=BB4_339 Depth=3
	s_and_not1_saveexec_b32 s91, s13
; %bb.371:                              ;   in Loop: Header=BB4_339 Depth=3
	v_and_b32_e32 v11, 0xffff, v89
	v_or_b32_e32 v90, 0x10000, v89
	s_delay_alu instid0(VALU_DEP_2) | instskip(NEXT) | instid1(VALU_DEP_1)
	v_cmp_eq_u32_e64 s13, 0, v11
	v_cndmask_b32_e64 v11, v90, v89, s13
; %bb.372:                              ;   in Loop: Header=BB4_339 Depth=3
	s_or_b32 exec_lo, exec_lo, s91
	v_dual_lshrrev_b32 v61, 16, v61 :: v_dual_lshrrev_b32 v60, 16, v60
	v_dual_lshrrev_b32 v63, 16, v63 :: v_dual_lshrrev_b32 v88, 16, v88
	s_delay_alu instid0(VALU_DEP_2) | instskip(NEXT) | instid1(VALU_DEP_3)
	v_and_or_b32 v9, 0xffff0000, v9, v61
	v_and_or_b32 v8, 0xffff0000, v8, v60
	s_delay_alu instid0(VALU_DEP_3) | instskip(NEXT) | instid1(VALU_DEP_4)
	v_and_or_b32 v10, 0xffff0000, v10, v63
	v_and_or_b32 v11, 0xffff0000, v11, v88
	global_store_b128 v[16:17], v[8:11], off th:TH_STORE_NT
	s_wait_xcnt 0x0
	v_add_nc_u64_e32 v[16:17], v[16:17], v[100:101]
.LBB4_373:                              ;   in Loop: Header=BB4_339 Depth=3
	s_or_b32 exec_lo, exec_lo, s92
	v_sub_nc_u32_e32 v58, v58, v78
	v_add_nc_u64_e32 v[18:19], v[18:19], v[100:101]
	s_delay_alu instid0(VALU_DEP_2)
	v_cmp_lt_i32_e64 s91, 15, v58
	s_and_saveexec_b32 s13, s91
	s_cbranch_execz .LBB4_375
; %bb.374:                              ;   in Loop: Header=BB4_339 Depth=3
	global_load_b128 v[8:11], v[18:19], off th:TH_LOAD_NT
	s_wait_xcnt 0x0
	v_add_nc_u64_e32 v[18:19], 0x200, v[18:19]
.LBB4_375:                              ;   in Loop: Header=BB4_339 Depth=3
	s_or_b32 exec_lo, exec_lo, s13
	s_wait_loadcnt 0x0
	v_lshlrev_b32_e32 v60, 16, v12
	s_delay_alu instid0(VALU_DEP_1) | instskip(NEXT) | instid1(VALU_DEP_1)
	v_mul_f32_e32 v61, v59, v60
	v_and_b32_e32 v60, 0x7f800000, v61
	s_delay_alu instid0(VALU_DEP_1) | instskip(SKIP_1) | instid1(SALU_CYCLE_1)
	v_cmp_ne_u32_e64 s13, 0x7f800000, v60
                                        ; implicit-def: $vgpr60
	s_and_saveexec_b32 s92, s13
	s_xor_b32 s13, exec_lo, s92
; %bb.376:                              ;   in Loop: Header=BB4_339 Depth=3
	v_bfe_u32 v60, v61, 16, 1
	s_delay_alu instid0(VALU_DEP_1)
	v_add3_u32 v60, v61, v60, 0x7fff
                                        ; implicit-def: $vgpr61
; %bb.377:                              ;   in Loop: Header=BB4_339 Depth=3
	s_and_not1_saveexec_b32 s92, s13
; %bb.378:                              ;   in Loop: Header=BB4_339 Depth=3
	v_and_b32_e32 v60, 0xffff, v61
	v_or_b32_e32 v63, 0x10000, v61
	s_delay_alu instid0(VALU_DEP_2) | instskip(NEXT) | instid1(VALU_DEP_1)
	v_cmp_eq_u32_e64 s13, 0, v60
	v_cndmask_b32_e64 v60, v63, v61, s13
; %bb.379:                              ;   in Loop: Header=BB4_339 Depth=3
	s_or_b32 exec_lo, exec_lo, s92
	v_and_b32_e32 v12, 0xffff0000, v12
	s_delay_alu instid0(VALU_DEP_1) | instskip(NEXT) | instid1(VALU_DEP_1)
	v_mul_f32_e32 v61, v59, v12
	v_and_b32_e32 v12, 0x7f800000, v61
	s_delay_alu instid0(VALU_DEP_1) | instskip(SKIP_1) | instid1(SALU_CYCLE_1)
	v_cmp_ne_u32_e64 s13, 0x7f800000, v12
                                        ; implicit-def: $vgpr12
	s_and_saveexec_b32 s92, s13
	s_xor_b32 s13, exec_lo, s92
; %bb.380:                              ;   in Loop: Header=BB4_339 Depth=3
	v_bfe_u32 v12, v61, 16, 1
	s_delay_alu instid0(VALU_DEP_1)
	v_add3_u32 v12, v61, v12, 0x7fff
                                        ; implicit-def: $vgpr61
; %bb.381:                              ;   in Loop: Header=BB4_339 Depth=3
	s_and_not1_saveexec_b32 s92, s13
; %bb.382:                              ;   in Loop: Header=BB4_339 Depth=3
	v_and_b32_e32 v12, 0xffff, v61
	v_or_b32_e32 v63, 0x10000, v61
	s_delay_alu instid0(VALU_DEP_2) | instskip(NEXT) | instid1(VALU_DEP_1)
	v_cmp_eq_u32_e64 s13, 0, v12
	v_cndmask_b32_e64 v12, v63, v61, s13
; %bb.383:                              ;   in Loop: Header=BB4_339 Depth=3
	s_or_b32 exec_lo, exec_lo, s92
	v_lshlrev_b32_e32 v61, 16, v13
	s_delay_alu instid0(VALU_DEP_1) | instskip(NEXT) | instid1(VALU_DEP_1)
	v_mul_f32_e32 v63, v59, v61
	v_and_b32_e32 v61, 0x7f800000, v63
	s_delay_alu instid0(VALU_DEP_1) | instskip(SKIP_1) | instid1(SALU_CYCLE_1)
	v_cmp_ne_u32_e64 s13, 0x7f800000, v61
                                        ; implicit-def: $vgpr61
	s_and_saveexec_b32 s92, s13
	s_xor_b32 s13, exec_lo, s92
; %bb.384:                              ;   in Loop: Header=BB4_339 Depth=3
	v_bfe_u32 v61, v63, 16, 1
	s_delay_alu instid0(VALU_DEP_1)
	v_add3_u32 v61, v63, v61, 0x7fff
                                        ; implicit-def: $vgpr63
; %bb.385:                              ;   in Loop: Header=BB4_339 Depth=3
	s_and_not1_saveexec_b32 s92, s13
; %bb.386:                              ;   in Loop: Header=BB4_339 Depth=3
	v_and_b32_e32 v61, 0xffff, v63
	v_or_b32_e32 v88, 0x10000, v63
	s_delay_alu instid0(VALU_DEP_2) | instskip(NEXT) | instid1(VALU_DEP_1)
	v_cmp_eq_u32_e64 s13, 0, v61
	v_cndmask_b32_e64 v61, v88, v63, s13
; %bb.387:                              ;   in Loop: Header=BB4_339 Depth=3
	s_or_b32 exec_lo, exec_lo, s92
	v_and_b32_e32 v13, 0xffff0000, v13
	s_delay_alu instid0(VALU_DEP_1) | instskip(NEXT) | instid1(VALU_DEP_1)
	v_mul_f32_e32 v63, v59, v13
	v_and_b32_e32 v13, 0x7f800000, v63
	s_delay_alu instid0(VALU_DEP_1) | instskip(SKIP_1) | instid1(SALU_CYCLE_1)
	v_cmp_ne_u32_e64 s13, 0x7f800000, v13
                                        ; implicit-def: $vgpr13
	s_and_saveexec_b32 s92, s13
	s_xor_b32 s13, exec_lo, s92
; %bb.388:                              ;   in Loop: Header=BB4_339 Depth=3
	v_bfe_u32 v13, v63, 16, 1
	s_delay_alu instid0(VALU_DEP_1)
	v_add3_u32 v13, v63, v13, 0x7fff
                                        ; implicit-def: $vgpr63
; %bb.389:                              ;   in Loop: Header=BB4_339 Depth=3
	s_and_not1_saveexec_b32 s92, s13
; %bb.390:                              ;   in Loop: Header=BB4_339 Depth=3
	v_and_b32_e32 v13, 0xffff, v63
	v_or_b32_e32 v88, 0x10000, v63
	s_delay_alu instid0(VALU_DEP_2) | instskip(NEXT) | instid1(VALU_DEP_1)
	v_cmp_eq_u32_e64 s13, 0, v13
	v_cndmask_b32_e64 v13, v88, v63, s13
; %bb.391:                              ;   in Loop: Header=BB4_339 Depth=3
	s_or_b32 exec_lo, exec_lo, s92
	v_lshlrev_b32_e32 v63, 16, v14
	s_delay_alu instid0(VALU_DEP_1) | instskip(NEXT) | instid1(VALU_DEP_1)
	v_mul_f32_e32 v88, v59, v63
	v_and_b32_e32 v63, 0x7f800000, v88
	s_delay_alu instid0(VALU_DEP_1) | instskip(SKIP_1) | instid1(SALU_CYCLE_1)
	v_cmp_ne_u32_e64 s13, 0x7f800000, v63
                                        ; implicit-def: $vgpr63
	s_and_saveexec_b32 s92, s13
	s_xor_b32 s13, exec_lo, s92
; %bb.392:                              ;   in Loop: Header=BB4_339 Depth=3
	v_bfe_u32 v63, v88, 16, 1
	s_delay_alu instid0(VALU_DEP_1)
	v_add3_u32 v63, v88, v63, 0x7fff
                                        ; implicit-def: $vgpr88
; %bb.393:                              ;   in Loop: Header=BB4_339 Depth=3
	s_and_not1_saveexec_b32 s92, s13
; %bb.394:                              ;   in Loop: Header=BB4_339 Depth=3
	v_and_b32_e32 v63, 0xffff, v88
	v_or_b32_e32 v89, 0x10000, v88
	s_delay_alu instid0(VALU_DEP_2) | instskip(NEXT) | instid1(VALU_DEP_1)
	v_cmp_eq_u32_e64 s13, 0, v63
	v_cndmask_b32_e64 v63, v89, v88, s13
; %bb.395:                              ;   in Loop: Header=BB4_339 Depth=3
	s_or_b32 exec_lo, exec_lo, s92
	v_and_b32_e32 v14, 0xffff0000, v14
	s_delay_alu instid0(VALU_DEP_1) | instskip(NEXT) | instid1(VALU_DEP_1)
	v_mul_f32_e32 v88, v59, v14
	v_and_b32_e32 v14, 0x7f800000, v88
	s_delay_alu instid0(VALU_DEP_1) | instskip(SKIP_1) | instid1(SALU_CYCLE_1)
	v_cmp_ne_u32_e64 s13, 0x7f800000, v14
                                        ; implicit-def: $vgpr14
	s_and_saveexec_b32 s92, s13
	s_xor_b32 s13, exec_lo, s92
; %bb.396:                              ;   in Loop: Header=BB4_339 Depth=3
	v_bfe_u32 v14, v88, 16, 1
	s_delay_alu instid0(VALU_DEP_1)
	v_add3_u32 v14, v88, v14, 0x7fff
                                        ; implicit-def: $vgpr88
; %bb.397:                              ;   in Loop: Header=BB4_339 Depth=3
	s_and_not1_saveexec_b32 s92, s13
; %bb.398:                              ;   in Loop: Header=BB4_339 Depth=3
	v_and_b32_e32 v14, 0xffff, v88
	v_or_b32_e32 v89, 0x10000, v88
	s_delay_alu instid0(VALU_DEP_2) | instskip(NEXT) | instid1(VALU_DEP_1)
	v_cmp_eq_u32_e64 s13, 0, v14
	v_cndmask_b32_e64 v14, v89, v88, s13
; %bb.399:                              ;   in Loop: Header=BB4_339 Depth=3
	s_or_b32 exec_lo, exec_lo, s92
	v_lshlrev_b32_e32 v88, 16, v15
	s_delay_alu instid0(VALU_DEP_1) | instskip(NEXT) | instid1(VALU_DEP_1)
	v_mul_f32_e32 v89, v59, v88
	v_and_b32_e32 v88, 0x7f800000, v89
	s_delay_alu instid0(VALU_DEP_1) | instskip(SKIP_1) | instid1(SALU_CYCLE_1)
	v_cmp_ne_u32_e64 s13, 0x7f800000, v88
                                        ; implicit-def: $vgpr88
	s_and_saveexec_b32 s92, s13
	s_xor_b32 s13, exec_lo, s92
; %bb.400:                              ;   in Loop: Header=BB4_339 Depth=3
	v_bfe_u32 v88, v89, 16, 1
	s_delay_alu instid0(VALU_DEP_1)
	v_add3_u32 v88, v89, v88, 0x7fff
                                        ; implicit-def: $vgpr89
; %bb.401:                              ;   in Loop: Header=BB4_339 Depth=3
	s_and_not1_saveexec_b32 s92, s13
; %bb.402:                              ;   in Loop: Header=BB4_339 Depth=3
	v_and_b32_e32 v88, 0xffff, v89
	v_or_b32_e32 v90, 0x10000, v89
	s_delay_alu instid0(VALU_DEP_2) | instskip(NEXT) | instid1(VALU_DEP_1)
	v_cmp_eq_u32_e64 s13, 0, v88
	v_cndmask_b32_e64 v88, v90, v89, s13
; %bb.403:                              ;   in Loop: Header=BB4_339 Depth=3
	s_or_b32 exec_lo, exec_lo, s92
	v_and_b32_e32 v15, 0xffff0000, v15
	s_delay_alu instid0(VALU_DEP_1) | instskip(NEXT) | instid1(VALU_DEP_1)
	v_mul_f32_e32 v89, v59, v15
	v_and_b32_e32 v15, 0x7f800000, v89
	s_delay_alu instid0(VALU_DEP_1) | instskip(SKIP_1) | instid1(SALU_CYCLE_1)
	v_cmp_ne_u32_e64 s13, 0x7f800000, v15
                                        ; implicit-def: $vgpr15
	s_and_saveexec_b32 s92, s13
	s_xor_b32 s13, exec_lo, s92
; %bb.404:                              ;   in Loop: Header=BB4_339 Depth=3
	v_bfe_u32 v15, v89, 16, 1
	s_delay_alu instid0(VALU_DEP_1)
	v_add3_u32 v15, v89, v15, 0x7fff
                                        ; implicit-def: $vgpr89
; %bb.405:                              ;   in Loop: Header=BB4_339 Depth=3
	s_and_not1_saveexec_b32 s92, s13
; %bb.406:                              ;   in Loop: Header=BB4_339 Depth=3
	v_and_b32_e32 v15, 0xffff, v89
	v_or_b32_e32 v90, 0x10000, v89
	s_delay_alu instid0(VALU_DEP_2) | instskip(NEXT) | instid1(VALU_DEP_1)
	v_cmp_eq_u32_e64 s13, 0, v15
	v_cndmask_b32_e64 v15, v90, v89, s13
; %bb.407:                              ;   in Loop: Header=BB4_339 Depth=3
	s_or_b32 exec_lo, exec_lo, s92
	v_dual_lshrrev_b32 v61, 16, v61 :: v_dual_lshrrev_b32 v60, 16, v60
	v_dual_lshrrev_b32 v63, 16, v63 :: v_dual_lshrrev_b32 v88, 16, v88
	v_sub_nc_u32_e32 v43, v43, v52
	s_delay_alu instid0(VALU_DEP_3) | instskip(NEXT) | instid1(VALU_DEP_4)
	v_and_or_b32 v13, 0xffff0000, v13, v61
	v_and_or_b32 v12, 0xffff0000, v12, v60
	s_delay_alu instid0(VALU_DEP_4)
	v_and_or_b32 v14, 0xffff0000, v14, v63
	v_and_or_b32 v15, 0xffff0000, v15, v88
	global_store_b128 v[16:17], v[12:15], off th:TH_STORE_NT
	s_wait_xcnt 0x0
	v_add_nc_u64_e32 v[16:17], 0x200, v[16:17]
	s_and_saveexec_b32 s13, s91
	s_cbranch_execz .LBB4_338
; %bb.408:                              ;   in Loop: Header=BB4_339 Depth=3
	v_add_nc_u64_e32 v[18:19], v[18:19], v[84:85]
	s_delay_alu instid0(VALU_DEP_2)
	v_add_nc_u64_e32 v[16:17], v[16:17], v[84:85]
	v_dual_sub_nc_u32 v43, v43, v52 :: v_dual_sub_nc_u32 v58, v58, v78
	s_branch .LBB4_338
.LBB4_409:                              ;   in Loop: Header=BB4_57 Depth=2
	s_or_b32 exec_lo, exec_lo, s89
	s_delay_alu instid0(SALU_CYCLE_1)
	s_and_b32 s89, s90, exec_lo
.LBB4_410:                              ;   in Loop: Header=BB4_57 Depth=2
	s_or_b32 exec_lo, exec_lo, s88
	s_and_saveexec_b32 s88, s89
	s_cbranch_execz .LBB4_444
; %bb.411:                              ;   in Loop: Header=BB4_57 Depth=2
	s_trap 2
	ds_load_b32 v12, v0
	s_wait_dscnt 0x0
	v_lshlrev_b32_e32 v13, 16, v12
	s_delay_alu instid0(VALU_DEP_1) | instskip(NEXT) | instid1(VALU_DEP_1)
	v_dual_lshlrev_b32 v12, 16, v8 :: v_dual_mov_b32 v14, v13
	v_pk_mul_f32 v[14:15], v[14:15], v[12:13]
	s_delay_alu instid0(VALU_DEP_1) | instskip(NEXT) | instid1(VALU_DEP_1)
	v_and_b32_e32 v12, 0x7f800000, v14
	v_cmp_ne_u32_e64 s13, 0x7f800000, v12
                                        ; implicit-def: $vgpr12
	s_and_saveexec_b32 s89, s13
	s_delay_alu instid0(SALU_CYCLE_1)
	s_xor_b32 s13, exec_lo, s89
; %bb.412:                              ;   in Loop: Header=BB4_57 Depth=2
	v_bfe_u32 v12, v14, 16, 1
	s_delay_alu instid0(VALU_DEP_1)
	v_add3_u32 v12, v14, v12, 0x7fff
                                        ; implicit-def: $vgpr14_vgpr15
; %bb.413:                              ;   in Loop: Header=BB4_57 Depth=2
	s_and_not1_saveexec_b32 s89, s13
; %bb.414:                              ;   in Loop: Header=BB4_57 Depth=2
	v_and_b32_e32 v12, 0xffff, v14
	v_or_b32_e32 v15, 0x10000, v14
	s_delay_alu instid0(VALU_DEP_2) | instskip(NEXT) | instid1(VALU_DEP_1)
	v_cmp_eq_u32_e64 s13, 0, v12
	v_cndmask_b32_e64 v12, v15, v14, s13
; %bb.415:                              ;   in Loop: Header=BB4_57 Depth=2
	s_or_b32 exec_lo, exec_lo, s89
	v_and_b32_e32 v8, 0xffff0000, v8
	s_delay_alu instid0(VALU_DEP_1) | instskip(NEXT) | instid1(VALU_DEP_1)
	v_mul_f32_e32 v14, v13, v8
	v_and_b32_e32 v8, 0x7f800000, v14
	s_delay_alu instid0(VALU_DEP_1) | instskip(SKIP_1) | instid1(SALU_CYCLE_1)
	v_cmp_ne_u32_e64 s13, 0x7f800000, v8
                                        ; implicit-def: $vgpr8
	s_and_saveexec_b32 s89, s13
	s_xor_b32 s13, exec_lo, s89
; %bb.416:                              ;   in Loop: Header=BB4_57 Depth=2
	v_bfe_u32 v8, v14, 16, 1
	s_delay_alu instid0(VALU_DEP_1)
	v_add3_u32 v8, v14, v8, 0x7fff
                                        ; implicit-def: $vgpr14
; %bb.417:                              ;   in Loop: Header=BB4_57 Depth=2
	s_and_not1_saveexec_b32 s89, s13
; %bb.418:                              ;   in Loop: Header=BB4_57 Depth=2
	v_and_b32_e32 v8, 0xffff, v14
	v_or_b32_e32 v15, 0x10000, v14
	s_delay_alu instid0(VALU_DEP_2) | instskip(NEXT) | instid1(VALU_DEP_1)
	v_cmp_eq_u32_e64 s13, 0, v8
	v_cndmask_b32_e64 v8, v15, v14, s13
; %bb.419:                              ;   in Loop: Header=BB4_57 Depth=2
	s_or_b32 exec_lo, exec_lo, s89
	v_lshlrev_b32_e32 v14, 16, v9
	s_delay_alu instid0(VALU_DEP_1) | instskip(NEXT) | instid1(VALU_DEP_1)
	v_mul_f32_e32 v15, v13, v14
	v_and_b32_e32 v14, 0x7f800000, v15
	s_delay_alu instid0(VALU_DEP_1) | instskip(SKIP_1) | instid1(SALU_CYCLE_1)
	v_cmp_ne_u32_e64 s13, 0x7f800000, v14
                                        ; implicit-def: $vgpr14
	s_and_saveexec_b32 s89, s13
	s_xor_b32 s13, exec_lo, s89
; %bb.420:                              ;   in Loop: Header=BB4_57 Depth=2
	v_bfe_u32 v14, v15, 16, 1
	s_delay_alu instid0(VALU_DEP_1)
	v_add3_u32 v14, v15, v14, 0x7fff
                                        ; implicit-def: $vgpr15
; %bb.421:                              ;   in Loop: Header=BB4_57 Depth=2
	s_and_not1_saveexec_b32 s89, s13
; %bb.422:                              ;   in Loop: Header=BB4_57 Depth=2
	v_and_b32_e32 v14, 0xffff, v15
	v_or_b32_e32 v18, 0x10000, v15
	s_delay_alu instid0(VALU_DEP_2) | instskip(NEXT) | instid1(VALU_DEP_1)
	v_cmp_eq_u32_e64 s13, 0, v14
	v_cndmask_b32_e64 v14, v18, v15, s13
; %bb.423:                              ;   in Loop: Header=BB4_57 Depth=2
	s_or_b32 exec_lo, exec_lo, s89
	v_and_b32_e32 v9, 0xffff0000, v9
	s_delay_alu instid0(VALU_DEP_1) | instskip(NEXT) | instid1(VALU_DEP_1)
	v_mul_f32_e32 v15, v13, v9
	v_and_b32_e32 v9, 0x7f800000, v15
	s_delay_alu instid0(VALU_DEP_1) | instskip(SKIP_1) | instid1(SALU_CYCLE_1)
	v_cmp_ne_u32_e64 s13, 0x7f800000, v9
                                        ; implicit-def: $vgpr9
	s_and_saveexec_b32 s89, s13
	s_xor_b32 s13, exec_lo, s89
; %bb.424:                              ;   in Loop: Header=BB4_57 Depth=2
	v_bfe_u32 v9, v15, 16, 1
	s_delay_alu instid0(VALU_DEP_1)
	v_add3_u32 v9, v15, v9, 0x7fff
                                        ; implicit-def: $vgpr15
; %bb.425:                              ;   in Loop: Header=BB4_57 Depth=2
	s_and_not1_saveexec_b32 s89, s13
; %bb.426:                              ;   in Loop: Header=BB4_57 Depth=2
	v_and_b32_e32 v9, 0xffff, v15
	v_or_b32_e32 v18, 0x10000, v15
	s_delay_alu instid0(VALU_DEP_2) | instskip(NEXT) | instid1(VALU_DEP_1)
	v_cmp_eq_u32_e64 s13, 0, v9
	v_cndmask_b32_e64 v9, v18, v15, s13
; %bb.427:                              ;   in Loop: Header=BB4_57 Depth=2
	s_or_b32 exec_lo, exec_lo, s89
	v_lshlrev_b32_e32 v15, 16, v10
	s_delay_alu instid0(VALU_DEP_1) | instskip(NEXT) | instid1(VALU_DEP_1)
	v_mul_f32_e32 v18, v13, v15
	v_and_b32_e32 v15, 0x7f800000, v18
	s_delay_alu instid0(VALU_DEP_1) | instskip(SKIP_1) | instid1(SALU_CYCLE_1)
	v_cmp_ne_u32_e64 s13, 0x7f800000, v15
                                        ; implicit-def: $vgpr15
	s_and_saveexec_b32 s89, s13
	s_xor_b32 s13, exec_lo, s89
; %bb.428:                              ;   in Loop: Header=BB4_57 Depth=2
	v_bfe_u32 v15, v18, 16, 1
	s_delay_alu instid0(VALU_DEP_1)
	v_add3_u32 v15, v18, v15, 0x7fff
                                        ; implicit-def: $vgpr18
; %bb.429:                              ;   in Loop: Header=BB4_57 Depth=2
	s_and_not1_saveexec_b32 s89, s13
; %bb.430:                              ;   in Loop: Header=BB4_57 Depth=2
	v_and_b32_e32 v15, 0xffff, v18
	v_or_b32_e32 v19, 0x10000, v18
	s_delay_alu instid0(VALU_DEP_2) | instskip(NEXT) | instid1(VALU_DEP_1)
	v_cmp_eq_u32_e64 s13, 0, v15
	v_cndmask_b32_e64 v15, v19, v18, s13
; %bb.431:                              ;   in Loop: Header=BB4_57 Depth=2
	s_or_b32 exec_lo, exec_lo, s89
	v_and_b32_e32 v10, 0xffff0000, v10
	s_delay_alu instid0(VALU_DEP_1) | instskip(NEXT) | instid1(VALU_DEP_1)
	v_mul_f32_e32 v18, v13, v10
	v_and_b32_e32 v10, 0x7f800000, v18
	s_delay_alu instid0(VALU_DEP_1) | instskip(SKIP_1) | instid1(SALU_CYCLE_1)
	v_cmp_ne_u32_e64 s13, 0x7f800000, v10
                                        ; implicit-def: $vgpr10
	s_and_saveexec_b32 s89, s13
	s_xor_b32 s13, exec_lo, s89
; %bb.432:                              ;   in Loop: Header=BB4_57 Depth=2
	v_bfe_u32 v10, v18, 16, 1
	s_delay_alu instid0(VALU_DEP_1)
	v_add3_u32 v10, v18, v10, 0x7fff
                                        ; implicit-def: $vgpr18
; %bb.433:                              ;   in Loop: Header=BB4_57 Depth=2
	s_and_not1_saveexec_b32 s89, s13
; %bb.434:                              ;   in Loop: Header=BB4_57 Depth=2
	v_and_b32_e32 v10, 0xffff, v18
	v_or_b32_e32 v19, 0x10000, v18
	s_delay_alu instid0(VALU_DEP_2) | instskip(NEXT) | instid1(VALU_DEP_1)
	v_cmp_eq_u32_e64 s13, 0, v10
	v_cndmask_b32_e64 v10, v19, v18, s13
; %bb.435:                              ;   in Loop: Header=BB4_57 Depth=2
	s_or_b32 exec_lo, exec_lo, s89
	v_lshlrev_b32_e32 v18, 16, v11
	s_delay_alu instid0(VALU_DEP_1) | instskip(NEXT) | instid1(VALU_DEP_1)
	v_mul_f32_e32 v19, v13, v18
	v_and_b32_e32 v18, 0x7f800000, v19
	s_delay_alu instid0(VALU_DEP_1) | instskip(SKIP_1) | instid1(SALU_CYCLE_1)
	v_cmp_ne_u32_e64 s13, 0x7f800000, v18
                                        ; implicit-def: $vgpr18
	s_and_saveexec_b32 s89, s13
	s_xor_b32 s13, exec_lo, s89
; %bb.436:                              ;   in Loop: Header=BB4_57 Depth=2
	v_bfe_u32 v18, v19, 16, 1
	s_delay_alu instid0(VALU_DEP_1)
	v_add3_u32 v18, v19, v18, 0x7fff
                                        ; implicit-def: $vgpr19
; %bb.437:                              ;   in Loop: Header=BB4_57 Depth=2
	s_and_not1_saveexec_b32 s89, s13
; %bb.438:                              ;   in Loop: Header=BB4_57 Depth=2
	v_and_b32_e32 v18, 0xffff, v19
	v_or_b32_e32 v58, 0x10000, v19
	s_delay_alu instid0(VALU_DEP_2) | instskip(NEXT) | instid1(VALU_DEP_1)
	v_cmp_eq_u32_e64 s13, 0, v18
	v_cndmask_b32_e64 v18, v58, v19, s13
; %bb.439:                              ;   in Loop: Header=BB4_57 Depth=2
	s_or_b32 exec_lo, exec_lo, s89
	v_and_b32_e32 v11, 0xffff0000, v11
	s_delay_alu instid0(VALU_DEP_1) | instskip(NEXT) | instid1(VALU_DEP_1)
	v_mul_f32_e32 v13, v13, v11
	v_and_b32_e32 v11, 0x7f800000, v13
	s_delay_alu instid0(VALU_DEP_1) | instskip(SKIP_1) | instid1(SALU_CYCLE_1)
	v_cmp_ne_u32_e64 s13, 0x7f800000, v11
                                        ; implicit-def: $vgpr11
	s_and_saveexec_b32 s89, s13
	s_xor_b32 s13, exec_lo, s89
; %bb.440:                              ;   in Loop: Header=BB4_57 Depth=2
	v_bfe_u32 v11, v13, 16, 1
	s_delay_alu instid0(VALU_DEP_1)
	v_add3_u32 v11, v13, v11, 0x7fff
                                        ; implicit-def: $vgpr13
; %bb.441:                              ;   in Loop: Header=BB4_57 Depth=2
	s_and_not1_saveexec_b32 s89, s13
; %bb.442:                              ;   in Loop: Header=BB4_57 Depth=2
	v_and_b32_e32 v11, 0xffff, v13
	v_or_b32_e32 v19, 0x10000, v13
	s_delay_alu instid0(VALU_DEP_2) | instskip(NEXT) | instid1(VALU_DEP_1)
	v_cmp_eq_u32_e64 s13, 0, v11
	v_cndmask_b32_e64 v11, v19, v13, s13
; %bb.443:                              ;   in Loop: Header=BB4_57 Depth=2
	s_or_b32 exec_lo, exec_lo, s89
	v_dual_lshrrev_b32 v13, 16, v14 :: v_dual_lshrrev_b32 v12, 16, v12
	v_dual_lshrrev_b32 v14, 16, v15 :: v_dual_lshrrev_b32 v15, 16, v18
	s_delay_alu instid0(VALU_DEP_2) | instskip(NEXT) | instid1(VALU_DEP_3)
	v_and_or_b32 v9, 0xffff0000, v9, v13
	v_and_or_b32 v8, 0xffff0000, v8, v12
	s_delay_alu instid0(VALU_DEP_3) | instskip(NEXT) | instid1(VALU_DEP_4)
	v_and_or_b32 v10, 0xffff0000, v10, v14
	v_and_or_b32 v11, 0xffff0000, v11, v15
	global_store_b128 v[16:17], v[8:11], off th:TH_STORE_NT
.LBB4_444:                              ;   in Loop: Header=BB4_57 Depth=2
	s_wait_xcnt 0x0
	s_or_b32 exec_lo, exec_lo, s88
	v_and_b32_e32 v9, 14, v41
	s_mov_b32 s89, s40
	s_mov_b32 s88, exec_lo
                                        ; implicit-def: $vgpr12
                                        ; implicit-def: $vgpr8
                                        ; implicit-def: $vgpr13
	s_delay_alu instid0(VALU_DEP_1) | instskip(NEXT) | instid1(VALU_DEP_1)
	v_cndmask_b32_e32 v41, v23, v9, vcc_lo
	v_cmpx_ne_u32_e32 0, v41
	s_cbranch_execz .LBB4_446
; %bb.445:                              ;   in Loop: Header=BB4_57 Depth=2
	v_cmp_lt_i32_e64 s13, 0, v43
	s_or_b32 s89, s40, exec_lo
	v_dual_sub_nc_u32 v9, v23, v9 :: v_dual_cndmask_b32 v8, 0, v52, s13
	s_delay_alu instid0(VALU_DEP_1) | instskip(NEXT) | instid1(VALU_DEP_1)
	v_dual_cndmask_b32 v9, 0, v9 :: v_dual_sub_nc_u32 v8, v8, v43
	v_add3_u32 v12, v22, v20, v9
	s_delay_alu instid0(VALU_DEP_2) | instskip(NEXT) | instid1(VALU_DEP_1)
	v_lshl_add_u32 v8, v8, 5, v21
	v_ashrrev_i32_e32 v10, 31, v8
	s_delay_alu instid0(VALU_DEP_1) | instskip(NEXT) | instid1(VALU_DEP_1)
	v_lshrrev_b32_e32 v10, 27, v10
	v_add_nc_u32_e32 v10, v8, v10
	s_delay_alu instid0(VALU_DEP_1) | instskip(NEXT) | instid1(VALU_DEP_1)
	v_and_b32_e32 v10, 0xffffffe0, v10
	v_sub_nc_u32_e32 v13, v8, v10
.LBB4_446:                              ;   in Loop: Header=BB4_57 Depth=2
	s_or_b32 exec_lo, exec_lo, s88
	s_delay_alu instid0(SALU_CYCLE_1) | instskip(SKIP_1) | instid1(SALU_CYCLE_1)
	s_and_not1_b32 s13, s40, exec_lo
	s_and_b32 s40, s89, exec_lo
	s_or_b32 s40, s13, s40
.LBB4_447:                              ;   in Loop: Header=BB4_57 Depth=2
	s_or_b32 exec_lo, exec_lo, s41
	s_and_saveexec_b32 s13, s40
	s_cbranch_execz .LBB4_528
.LBB4_448:                              ;   in Loop: Header=BB4_57 Depth=2
	s_delay_alu instid0(VALU_DEP_1) | instskip(SKIP_2) | instid1(VALU_DEP_3)
	v_dual_ashrrev_i32 v9, 31, v8 :: v_dual_ashrrev_i32 v10, 31, v41
	v_dual_mov_b32 v21, 0 :: v_dual_mov_b32 v19, 0
	v_dual_mov_b32 v18, 0 :: v_dual_mov_b32 v16, 0
	v_lshrrev_b32_e32 v9, 27, v9
	s_mov_b32 s41, 0
	s_mov_b32 s40, exec_lo
	s_delay_alu instid0(VALU_DEP_1) | instskip(NEXT) | instid1(VALU_DEP_1)
	v_dual_add_nc_u32 v8, v8, v9 :: v_dual_lshrrev_b32 v9, 24, v10
	v_dual_ashrrev_i32 v8, 5, v8 :: v_dual_lshlrev_b32 v10, 1, v13
	s_delay_alu instid0(VALU_DEP_1) | instskip(NEXT) | instid1(VALU_DEP_1)
	v_dual_add_nc_u32 v9, v41, v9 :: v_dual_lshlrev_b32 v11, 8, v8
	v_add3_u32 v10, v12, v10, v11
	s_delay_alu instid0(VALU_DEP_1) | instskip(NEXT) | instid1(VALU_DEP_1)
	v_dual_ashrrev_i32 v14, 8, v9 :: v_dual_ashrrev_i32 v11, 31, v10
	v_sub_nc_u32_e32 v15, v14, v8
	s_delay_alu instid0(VALU_DEP_2) | instskip(NEXT) | instid1(VALU_DEP_2)
	v_add_nc_u64_e32 v[8:9], v[56:57], v[10:11]
	v_cmpx_lt_i32_e32 0, v15
	s_cbranch_execz .LBB4_488
; %bb.449:                              ;   in Loop: Header=BB4_57 Depth=2
	s_trap 2
	ds_load_b32 v16, v0
	v_add_nc_u64_e32 v[10:11], v[10:11], v[46:47]
	s_mov_b32 s89, 0
	s_mov_b32 s88, 0
                                        ; implicit-def: $sgpr41
                                        ; implicit-def: $vgpr22
                                        ; implicit-def: $vgpr20
                                        ; implicit-def: $vgpr18
                                        ; implicit-def: $vgpr17
	s_wait_dscnt 0x0
	v_lshlrev_b32_e32 v16, 16, v16
	s_branch .LBB4_451
.LBB4_450:                              ;   in Loop: Header=BB4_451 Depth=3
	s_or_b32 exec_lo, exec_lo, s90
	v_dual_cndmask_b32 v58, 0, v52, s89 :: v_dual_cndmask_b32 v59, 0, v83, s89
	v_cndmask_b32_e64 v60, 0x100, v98, s89
	s_clause 0x3
	flat_store_d16_hi_b16 v[8:9], v43 th:TH_STORE_NT
	flat_store_d16_hi_b16 v[8:9], v23 offset:64 th:TH_STORE_NT
	flat_store_d16_hi_b16 v[8:9], v21 offset:128 th:TH_STORE_NT
	;; [unrolled: 1-line block ×3, first 2 shown]
	v_dual_cndmask_b32 v61, 0, v99, s89 :: v_dual_sub_nc_u32 v15, v15, v58
	v_cndmask_b32_e64 v58, 0, v82, s89
	s_wait_xcnt 0x0
	s_delay_alu instid0(VALU_DEP_2) | instskip(NEXT) | instid1(VALU_DEP_3)
	v_add_nc_u64_e32 v[8:9], v[8:9], v[60:61]
	v_cmp_gt_i32_e32 vcc_lo, 1, v15
	s_delay_alu instid0(VALU_DEP_3) | instskip(SKIP_3) | instid1(SALU_CYCLE_1)
	v_add_nc_u64_e32 v[10:11], v[10:11], v[58:59]
	s_or_b32 s88, vcc_lo, s88
	s_and_not1_b32 s41, s41, exec_lo
	s_and_b32 s90, s89, exec_lo
	s_or_b32 s41, s41, s90
	s_and_not1_b32 exec_lo, exec_lo, s88
	s_cbranch_execz .LBB4_487
.LBB4_451:                              ;   Parent Loop BB4_47 Depth=1
                                        ;     Parent Loop BB4_57 Depth=2
                                        ; =>    This Inner Loop Header: Depth=3
	s_clause 0x3
	flat_load_u16 v43, v[10:11] th:TH_LOAD_NT
	flat_load_u16 v23, v[10:11] offset:64 th:TH_LOAD_NT
	flat_load_u16 v21, v[10:11] offset:128 th:TH_LOAD_NT
	;; [unrolled: 1-line block ×3, first 2 shown]
	s_wait_xcnt 0x0
	s_and_saveexec_b32 s90, s89
	s_cbranch_execz .LBB4_469
; %bb.452:                              ;   in Loop: Header=BB4_451 Depth=3
	v_lshlrev_b32_e32 v22, 16, v22
	s_delay_alu instid0(VALU_DEP_1) | instskip(NEXT) | instid1(VALU_DEP_1)
	v_mul_f32_e32 v58, v16, v22
	v_and_b32_e32 v22, 0x7f800000, v58
	s_delay_alu instid0(VALU_DEP_1) | instskip(SKIP_1) | instid1(SALU_CYCLE_1)
	v_cmp_ne_u32_e32 vcc_lo, 0x7f800000, v22
                                        ; implicit-def: $vgpr22
	s_and_saveexec_b32 s89, vcc_lo
	s_xor_b32 s89, exec_lo, s89
; %bb.453:                              ;   in Loop: Header=BB4_451 Depth=3
	v_bfe_u32 v22, v58, 16, 1
	s_delay_alu instid0(VALU_DEP_1)
	v_add3_u32 v22, v58, v22, 0x7fff
                                        ; implicit-def: $vgpr58
; %bb.454:                              ;   in Loop: Header=BB4_451 Depth=3
	s_and_not1_saveexec_b32 s89, s89
; %bb.455:                              ;   in Loop: Header=BB4_451 Depth=3
	v_and_b32_e32 v22, 0xffff, v58
	v_or_b32_e32 v59, 0x10000, v58
	s_delay_alu instid0(VALU_DEP_2) | instskip(NEXT) | instid1(VALU_DEP_2)
	v_cmp_eq_u32_e32 vcc_lo, 0, v22
	v_cndmask_b32_e32 v22, v59, v58, vcc_lo
; %bb.456:                              ;   in Loop: Header=BB4_451 Depth=3
	s_or_b32 exec_lo, exec_lo, s89
	v_lshlrev_b32_e32 v20, 16, v20
	s_delay_alu instid0(VALU_DEP_1) | instskip(NEXT) | instid1(VALU_DEP_1)
	v_mul_f32_e32 v58, v16, v20
	v_and_b32_e32 v20, 0x7f800000, v58
	s_delay_alu instid0(VALU_DEP_1) | instskip(SKIP_1) | instid1(SALU_CYCLE_1)
	v_cmp_ne_u32_e32 vcc_lo, 0x7f800000, v20
                                        ; implicit-def: $vgpr20
	s_and_saveexec_b32 s89, vcc_lo
	s_xor_b32 s89, exec_lo, s89
; %bb.457:                              ;   in Loop: Header=BB4_451 Depth=3
	v_bfe_u32 v20, v58, 16, 1
	s_delay_alu instid0(VALU_DEP_1)
	v_add3_u32 v20, v58, v20, 0x7fff
                                        ; implicit-def: $vgpr58
; %bb.458:                              ;   in Loop: Header=BB4_451 Depth=3
	s_and_not1_saveexec_b32 s89, s89
; %bb.459:                              ;   in Loop: Header=BB4_451 Depth=3
	v_and_b32_e32 v20, 0xffff, v58
	v_or_b32_e32 v59, 0x10000, v58
	s_delay_alu instid0(VALU_DEP_2) | instskip(NEXT) | instid1(VALU_DEP_2)
	v_cmp_eq_u32_e32 vcc_lo, 0, v20
	v_cndmask_b32_e32 v20, v59, v58, vcc_lo
; %bb.460:                              ;   in Loop: Header=BB4_451 Depth=3
	s_or_b32 exec_lo, exec_lo, s89
	v_lshlrev_b32_e32 v18, 16, v18
	s_delay_alu instid0(VALU_DEP_1) | instskip(NEXT) | instid1(VALU_DEP_1)
	v_mul_f32_e32 v58, v16, v18
	v_and_b32_e32 v18, 0x7f800000, v58
	s_delay_alu instid0(VALU_DEP_1) | instskip(SKIP_1) | instid1(SALU_CYCLE_1)
	v_cmp_ne_u32_e32 vcc_lo, 0x7f800000, v18
                                        ; implicit-def: $vgpr18
	s_and_saveexec_b32 s89, vcc_lo
	s_xor_b32 s89, exec_lo, s89
; %bb.461:                              ;   in Loop: Header=BB4_451 Depth=3
	v_bfe_u32 v18, v58, 16, 1
	s_delay_alu instid0(VALU_DEP_1)
	v_add3_u32 v18, v58, v18, 0x7fff
                                        ; implicit-def: $vgpr58
; %bb.462:                              ;   in Loop: Header=BB4_451 Depth=3
	s_and_not1_saveexec_b32 s89, s89
; %bb.463:                              ;   in Loop: Header=BB4_451 Depth=3
	v_and_b32_e32 v18, 0xffff, v58
	v_or_b32_e32 v59, 0x10000, v58
	s_delay_alu instid0(VALU_DEP_2) | instskip(NEXT) | instid1(VALU_DEP_2)
	v_cmp_eq_u32_e32 vcc_lo, 0, v18
	v_cndmask_b32_e32 v18, v59, v58, vcc_lo
; %bb.464:                              ;   in Loop: Header=BB4_451 Depth=3
	s_or_b32 exec_lo, exec_lo, s89
	v_lshlrev_b32_e32 v17, 16, v17
	s_delay_alu instid0(VALU_DEP_1) | instskip(NEXT) | instid1(VALU_DEP_1)
	v_mul_f32_e32 v58, v16, v17
	v_and_b32_e32 v17, 0x7f800000, v58
	s_delay_alu instid0(VALU_DEP_1) | instskip(SKIP_1) | instid1(SALU_CYCLE_1)
	v_cmp_ne_u32_e32 vcc_lo, 0x7f800000, v17
                                        ; implicit-def: $vgpr17
	s_and_saveexec_b32 s89, vcc_lo
	s_xor_b32 s89, exec_lo, s89
; %bb.465:                              ;   in Loop: Header=BB4_451 Depth=3
	v_bfe_u32 v17, v58, 16, 1
	s_delay_alu instid0(VALU_DEP_1)
	v_add3_u32 v17, v58, v17, 0x7fff
                                        ; implicit-def: $vgpr58
; %bb.466:                              ;   in Loop: Header=BB4_451 Depth=3
	s_and_not1_saveexec_b32 s89, s89
; %bb.467:                              ;   in Loop: Header=BB4_451 Depth=3
	v_and_b32_e32 v17, 0xffff, v58
	v_or_b32_e32 v59, 0x10000, v58
	s_delay_alu instid0(VALU_DEP_2) | instskip(NEXT) | instid1(VALU_DEP_2)
	v_cmp_eq_u32_e32 vcc_lo, 0, v17
	v_cndmask_b32_e32 v17, v59, v58, vcc_lo
; %bb.468:                              ;   in Loop: Header=BB4_451 Depth=3
	s_or_b32 exec_lo, exec_lo, s89
	v_dual_lshrrev_b32 v22, 16, v22 :: v_dual_lshrrev_b32 v20, 16, v20
	s_delay_alu instid0(VALU_DEP_2)
	v_dual_lshrrev_b32 v18, 16, v18 :: v_dual_lshrrev_b32 v17, 16, v17
	s_clause 0x3
	flat_store_b16 v[8:9], v22 th:TH_STORE_NT
	flat_store_b16 v[8:9], v20 offset:64 th:TH_STORE_NT
	flat_store_b16 v[8:9], v18 offset:128 th:TH_STORE_NT
	;; [unrolled: 1-line block ×3, first 2 shown]
	s_wait_xcnt 0x0
	v_add_nc_u64_e32 v[8:9], v[8:9], v[98:99]
.LBB4_469:                              ;   in Loop: Header=BB4_451 Depth=3
	s_or_b32 exec_lo, exec_lo, s90
	v_sub_nc_u32_e32 v15, v15, v52
	v_add_nc_u64_e32 v[10:11], v[10:11], v[98:99]
	s_delay_alu instid0(VALU_DEP_2)
	v_cmp_lt_i32_e64 s89, 0, v15
	s_and_saveexec_b32 s90, s89
	s_cbranch_execz .LBB4_471
; %bb.470:                              ;   in Loop: Header=BB4_451 Depth=3
	s_clause 0x3
	flat_load_u16 v22, v[10:11] th:TH_LOAD_NT
	flat_load_u16 v20, v[10:11] offset:64 th:TH_LOAD_NT
	flat_load_u16 v18, v[10:11] offset:128 th:TH_LOAD_NT
	;; [unrolled: 1-line block ×3, first 2 shown]
	s_wait_xcnt 0x0
	v_add_nc_u64_e32 v[10:11], 0x100, v[10:11]
.LBB4_471:                              ;   in Loop: Header=BB4_451 Depth=3
	s_or_b32 exec_lo, exec_lo, s90
	s_wait_loadcnt_dscnt 0x303
	v_lshlrev_b32_e32 v43, 16, v43
	s_delay_alu instid0(VALU_DEP_1) | instskip(NEXT) | instid1(VALU_DEP_1)
	v_mul_f32_e32 v58, v16, v43
	v_and_b32_e32 v43, 0x7f800000, v58
	s_delay_alu instid0(VALU_DEP_1) | instskip(SKIP_1) | instid1(SALU_CYCLE_1)
	v_cmp_ne_u32_e32 vcc_lo, 0x7f800000, v43
                                        ; implicit-def: $vgpr43
	s_and_saveexec_b32 s90, vcc_lo
	s_xor_b32 s90, exec_lo, s90
; %bb.472:                              ;   in Loop: Header=BB4_451 Depth=3
	v_bfe_u32 v43, v58, 16, 1
	s_delay_alu instid0(VALU_DEP_1)
	v_add3_u32 v43, v58, v43, 0x7fff
                                        ; implicit-def: $vgpr58
; %bb.473:                              ;   in Loop: Header=BB4_451 Depth=3
	s_and_not1_saveexec_b32 s90, s90
; %bb.474:                              ;   in Loop: Header=BB4_451 Depth=3
	v_and_b32_e32 v43, 0xffff, v58
	v_or_b32_e32 v59, 0x10000, v58
	s_delay_alu instid0(VALU_DEP_2) | instskip(NEXT) | instid1(VALU_DEP_2)
	v_cmp_eq_u32_e32 vcc_lo, 0, v43
	v_cndmask_b32_e32 v43, v59, v58, vcc_lo
; %bb.475:                              ;   in Loop: Header=BB4_451 Depth=3
	s_or_b32 exec_lo, exec_lo, s90
	s_wait_loadcnt_dscnt 0x202
	v_lshlrev_b32_e32 v23, 16, v23
	s_delay_alu instid0(VALU_DEP_1) | instskip(NEXT) | instid1(VALU_DEP_1)
	v_mul_f32_e32 v58, v16, v23
	v_and_b32_e32 v23, 0x7f800000, v58
	s_delay_alu instid0(VALU_DEP_1) | instskip(SKIP_1) | instid1(SALU_CYCLE_1)
	v_cmp_ne_u32_e32 vcc_lo, 0x7f800000, v23
                                        ; implicit-def: $vgpr23
	s_and_saveexec_b32 s90, vcc_lo
	s_xor_b32 s90, exec_lo, s90
; %bb.476:                              ;   in Loop: Header=BB4_451 Depth=3
	v_bfe_u32 v23, v58, 16, 1
	s_delay_alu instid0(VALU_DEP_1)
	v_add3_u32 v23, v58, v23, 0x7fff
                                        ; implicit-def: $vgpr58
; %bb.477:                              ;   in Loop: Header=BB4_451 Depth=3
	s_and_not1_saveexec_b32 s90, s90
; %bb.478:                              ;   in Loop: Header=BB4_451 Depth=3
	v_and_b32_e32 v23, 0xffff, v58
	v_or_b32_e32 v59, 0x10000, v58
	s_delay_alu instid0(VALU_DEP_2) | instskip(NEXT) | instid1(VALU_DEP_2)
	v_cmp_eq_u32_e32 vcc_lo, 0, v23
	v_cndmask_b32_e32 v23, v59, v58, vcc_lo
; %bb.479:                              ;   in Loop: Header=BB4_451 Depth=3
	s_or_b32 exec_lo, exec_lo, s90
	s_wait_loadcnt_dscnt 0x101
	v_lshlrev_b32_e32 v21, 16, v21
	s_delay_alu instid0(VALU_DEP_1) | instskip(NEXT) | instid1(VALU_DEP_1)
	v_mul_f32_e32 v58, v16, v21
	v_and_b32_e32 v21, 0x7f800000, v58
	s_delay_alu instid0(VALU_DEP_1) | instskip(SKIP_1) | instid1(SALU_CYCLE_1)
	v_cmp_ne_u32_e32 vcc_lo, 0x7f800000, v21
                                        ; implicit-def: $vgpr21
	s_and_saveexec_b32 s90, vcc_lo
	s_xor_b32 s90, exec_lo, s90
; %bb.480:                              ;   in Loop: Header=BB4_451 Depth=3
	v_bfe_u32 v21, v58, 16, 1
	s_delay_alu instid0(VALU_DEP_1)
	v_add3_u32 v21, v58, v21, 0x7fff
                                        ; implicit-def: $vgpr58
; %bb.481:                              ;   in Loop: Header=BB4_451 Depth=3
	s_and_not1_saveexec_b32 s90, s90
; %bb.482:                              ;   in Loop: Header=BB4_451 Depth=3
	v_and_b32_e32 v21, 0xffff, v58
	v_or_b32_e32 v59, 0x10000, v58
	s_delay_alu instid0(VALU_DEP_2) | instskip(NEXT) | instid1(VALU_DEP_2)
	v_cmp_eq_u32_e32 vcc_lo, 0, v21
	v_cndmask_b32_e32 v21, v59, v58, vcc_lo
; %bb.483:                              ;   in Loop: Header=BB4_451 Depth=3
	s_or_b32 exec_lo, exec_lo, s90
	s_wait_loadcnt_dscnt 0x0
	v_lshlrev_b32_e32 v19, 16, v19
	s_delay_alu instid0(VALU_DEP_1) | instskip(NEXT) | instid1(VALU_DEP_1)
	v_mul_f32_e32 v58, v16, v19
	v_and_b32_e32 v19, 0x7f800000, v58
	s_delay_alu instid0(VALU_DEP_1) | instskip(SKIP_1) | instid1(SALU_CYCLE_1)
	v_cmp_ne_u32_e32 vcc_lo, 0x7f800000, v19
                                        ; implicit-def: $vgpr19
	s_and_saveexec_b32 s90, vcc_lo
	s_xor_b32 s90, exec_lo, s90
; %bb.484:                              ;   in Loop: Header=BB4_451 Depth=3
	v_bfe_u32 v19, v58, 16, 1
	s_delay_alu instid0(VALU_DEP_1)
	v_add3_u32 v19, v58, v19, 0x7fff
                                        ; implicit-def: $vgpr58
; %bb.485:                              ;   in Loop: Header=BB4_451 Depth=3
	s_and_not1_saveexec_b32 s90, s90
	s_cbranch_execz .LBB4_450
; %bb.486:                              ;   in Loop: Header=BB4_451 Depth=3
	v_and_b32_e32 v19, 0xffff, v58
	v_or_b32_e32 v59, 0x10000, v58
	s_delay_alu instid0(VALU_DEP_2) | instskip(NEXT) | instid1(VALU_DEP_2)
	v_cmp_eq_u32_e32 vcc_lo, 0, v19
	v_cndmask_b32_e32 v19, v59, v58, vcc_lo
	s_branch .LBB4_450
.LBB4_487:                              ;   in Loop: Header=BB4_57 Depth=2
	s_or_b32 exec_lo, exec_lo, s88
	v_dual_lshlrev_b32 v21, 16, v22 :: v_dual_lshlrev_b32 v19, 16, v20
	v_dual_lshlrev_b32 v18, 16, v18 :: v_dual_lshlrev_b32 v16, 16, v17
	s_and_b32 s41, s41, exec_lo
.LBB4_488:                              ;   in Loop: Header=BB4_57 Depth=2
	s_or_b32 exec_lo, exec_lo, s40
	s_and_saveexec_b32 s40, s41
	s_cbranch_execz .LBB4_506
; %bb.489:                              ;   in Loop: Header=BB4_57 Depth=2
	s_trap 2
	ds_load_b32 v10, v0
	s_wait_dscnt 0x0
	v_lshlrev_b32_e32 v11, 16, v10
	s_delay_alu instid0(VALU_DEP_1) | instskip(NEXT) | instid1(VALU_DEP_1)
	v_mul_f32_e32 v17, v21, v11
	v_and_b32_e32 v10, 0x7f800000, v17
	s_delay_alu instid0(VALU_DEP_1) | instskip(SKIP_1) | instid1(SALU_CYCLE_1)
	v_cmp_ne_u32_e32 vcc_lo, 0x7f800000, v10
                                        ; implicit-def: $vgpr10
	s_and_saveexec_b32 s41, vcc_lo
	s_xor_b32 s41, exec_lo, s41
; %bb.490:                              ;   in Loop: Header=BB4_57 Depth=2
	v_bfe_u32 v10, v17, 16, 1
	s_delay_alu instid0(VALU_DEP_1)
	v_add3_u32 v10, v17, v10, 0x7fff
                                        ; implicit-def: $vgpr17
; %bb.491:                              ;   in Loop: Header=BB4_57 Depth=2
	s_and_not1_saveexec_b32 s41, s41
; %bb.492:                              ;   in Loop: Header=BB4_57 Depth=2
	v_and_b32_e32 v10, 0xffff, v17
	v_or_b32_e32 v20, 0x10000, v17
	s_delay_alu instid0(VALU_DEP_2) | instskip(NEXT) | instid1(VALU_DEP_2)
	v_cmp_eq_u32_e32 vcc_lo, 0, v10
	v_cndmask_b32_e32 v10, v20, v17, vcc_lo
; %bb.493:                              ;   in Loop: Header=BB4_57 Depth=2
	s_or_b32 exec_lo, exec_lo, s41
	v_mul_f32_e32 v19, v19, v11
	s_delay_alu instid0(VALU_DEP_1) | instskip(NEXT) | instid1(VALU_DEP_1)
	v_and_b32_e32 v17, 0x7f800000, v19
	v_cmp_ne_u32_e32 vcc_lo, 0x7f800000, v17
                                        ; implicit-def: $vgpr17
	s_and_saveexec_b32 s41, vcc_lo
	s_delay_alu instid0(SALU_CYCLE_1)
	s_xor_b32 s41, exec_lo, s41
; %bb.494:                              ;   in Loop: Header=BB4_57 Depth=2
	v_bfe_u32 v17, v19, 16, 1
	s_delay_alu instid0(VALU_DEP_1)
	v_add3_u32 v17, v19, v17, 0x7fff
                                        ; implicit-def: $vgpr19
; %bb.495:                              ;   in Loop: Header=BB4_57 Depth=2
	s_and_not1_saveexec_b32 s41, s41
; %bb.496:                              ;   in Loop: Header=BB4_57 Depth=2
	v_and_b32_e32 v17, 0xffff, v19
	v_or_b32_e32 v20, 0x10000, v19
	s_delay_alu instid0(VALU_DEP_2) | instskip(NEXT) | instid1(VALU_DEP_2)
	v_cmp_eq_u32_e32 vcc_lo, 0, v17
	v_cndmask_b32_e32 v17, v20, v19, vcc_lo
; %bb.497:                              ;   in Loop: Header=BB4_57 Depth=2
	s_or_b32 exec_lo, exec_lo, s41
	v_mul_f32_e32 v19, v18, v11
	s_delay_alu instid0(VALU_DEP_1) | instskip(NEXT) | instid1(VALU_DEP_1)
	v_and_b32_e32 v18, 0x7f800000, v19
	v_cmp_ne_u32_e32 vcc_lo, 0x7f800000, v18
                                        ; implicit-def: $vgpr18
	s_and_saveexec_b32 s41, vcc_lo
	s_delay_alu instid0(SALU_CYCLE_1)
	s_xor_b32 s41, exec_lo, s41
; %bb.498:                              ;   in Loop: Header=BB4_57 Depth=2
	v_bfe_u32 v18, v19, 16, 1
	s_delay_alu instid0(VALU_DEP_1)
	v_add3_u32 v18, v19, v18, 0x7fff
                                        ; implicit-def: $vgpr19
; %bb.499:                              ;   in Loop: Header=BB4_57 Depth=2
	s_and_not1_saveexec_b32 s41, s41
; %bb.500:                              ;   in Loop: Header=BB4_57 Depth=2
	v_and_b32_e32 v18, 0xffff, v19
	v_or_b32_e32 v20, 0x10000, v19
	s_delay_alu instid0(VALU_DEP_2) | instskip(NEXT) | instid1(VALU_DEP_2)
	v_cmp_eq_u32_e32 vcc_lo, 0, v18
	v_cndmask_b32_e32 v18, v20, v19, vcc_lo
; %bb.501:                              ;   in Loop: Header=BB4_57 Depth=2
	s_or_b32 exec_lo, exec_lo, s41
	v_mul_f32_e32 v11, v16, v11
	s_delay_alu instid0(VALU_DEP_1) | instskip(NEXT) | instid1(VALU_DEP_1)
	v_and_b32_e32 v16, 0x7f800000, v11
	v_cmp_ne_u32_e32 vcc_lo, 0x7f800000, v16
                                        ; implicit-def: $vgpr16
	s_and_saveexec_b32 s41, vcc_lo
	s_delay_alu instid0(SALU_CYCLE_1)
	s_xor_b32 s41, exec_lo, s41
; %bb.502:                              ;   in Loop: Header=BB4_57 Depth=2
	v_bfe_u32 v16, v11, 16, 1
	s_delay_alu instid0(VALU_DEP_1)
	v_add3_u32 v16, v11, v16, 0x7fff
                                        ; implicit-def: $vgpr11
; %bb.503:                              ;   in Loop: Header=BB4_57 Depth=2
	s_and_not1_saveexec_b32 s41, s41
; %bb.504:                              ;   in Loop: Header=BB4_57 Depth=2
	v_and_b32_e32 v16, 0xffff, v11
	v_or_b32_e32 v19, 0x10000, v11
	s_delay_alu instid0(VALU_DEP_2) | instskip(NEXT) | instid1(VALU_DEP_2)
	v_cmp_eq_u32_e32 vcc_lo, 0, v16
	v_cndmask_b32_e32 v16, v19, v11, vcc_lo
; %bb.505:                              ;   in Loop: Header=BB4_57 Depth=2
	s_or_b32 exec_lo, exec_lo, s41
	s_clause 0x3
	flat_store_d16_hi_b16 v[8:9], v10 th:TH_STORE_NT
	flat_store_d16_hi_b16 v[8:9], v17 offset:64 th:TH_STORE_NT
	flat_store_d16_hi_b16 v[8:9], v18 offset:128 th:TH_STORE_NT
	;; [unrolled: 1-line block ×3, first 2 shown]
.LBB4_506:                              ;   in Loop: Header=BB4_57 Depth=2
	s_wait_xcnt 0x0
	s_or_b32 exec_lo, exec_lo, s40
	v_lshlrev_b32_e32 v8, 8, v14
	s_delay_alu instid0(VALU_DEP_1)
	v_cmp_ne_u32_e32 vcc_lo, v41, v8
	s_and_b32 exec_lo, exec_lo, vcc_lo
	s_cbranch_execz .LBB4_528
; %bb.507:                              ;   in Loop: Header=BB4_57 Depth=2
	v_lshlrev_b32_e32 v9, 5, v15
	s_delay_alu instid0(VALU_DEP_1) | instskip(NEXT) | instid1(VALU_DEP_1)
	v_sub_nc_u32_e32 v9, v13, v9
	v_ashrrev_i32_e32 v10, 31, v9
	s_delay_alu instid0(VALU_DEP_1) | instskip(NEXT) | instid1(VALU_DEP_1)
	v_lshrrev_b32_e32 v10, 27, v10
	v_add_nc_u32_e32 v10, v9, v10
	s_delay_alu instid0(VALU_DEP_1) | instskip(NEXT) | instid1(VALU_DEP_1)
	v_and_b32_e32 v11, 0x7fffffe0, v10
	v_dual_lshlrev_b32 v10, 1, v10 :: v_dual_sub_nc_u32 v9, v9, v11
	s_delay_alu instid0(VALU_DEP_1) | instskip(NEXT) | instid1(VALU_DEP_2)
	v_and_b32_e32 v10, 0xffffffc0, v10
	v_lshlrev_b32_e32 v9, 1, v9
	s_delay_alu instid0(VALU_DEP_1) | instskip(NEXT) | instid1(VALU_DEP_1)
	v_add3_u32 v8, v10, v9, v8
	v_sub_nc_u32_e32 v14, v41, v8
	s_delay_alu instid0(VALU_DEP_1)
	v_cmp_lt_i32_e32 vcc_lo, 1, v14
	s_and_b32 exec_lo, exec_lo, vcc_lo
	s_cbranch_execz .LBB4_528
; %bb.508:                              ;   in Loop: Header=BB4_57 Depth=2
	s_trap 2
	ds_load_b32 v13, v0
	v_add_nc_u32_e32 v10, v8, v12
	s_mov_b32 s88, 0
	s_mov_b32 s40, 0
                                        ; implicit-def: $sgpr41
	s_wait_dscnt 0x0
	s_delay_alu instid0(VALU_DEP_1) | instskip(NEXT) | instid1(VALU_DEP_1)
	v_dual_lshlrev_b32 v12, 16, v13 :: v_dual_ashrrev_i32 v11, 31, v10
                                        ; implicit-def: $vgpr13
	v_add_nc_u64_e32 v[8:9], v[56:57], v[10:11]
	v_add_nc_u64_e32 v[10:11], v[10:11], v[46:47]
	s_branch .LBB4_510
.LBB4_509:                              ;   in Loop: Header=BB4_510 Depth=3
	s_or_b32 exec_lo, exec_lo, s89
	v_dual_cndmask_b32 v16, 0, v79, s88 :: v_dual_cndmask_b32 v18, 64, v102, s88
	flat_store_d16_hi_b16 v[8:9], v15 th:TH_STORE_NT
	v_cndmask_b32_e64 v17, 0, v87, s88
	v_dual_cndmask_b32 v19, 0, v103, s88 :: v_dual_sub_nc_u32 v14, v14, v16
	v_cndmask_b32_e64 v16, 0, v86, s88
	s_wait_xcnt 0x0
	s_delay_alu instid0(VALU_DEP_2) | instskip(NEXT) | instid1(VALU_DEP_3)
	v_add_nc_u64_e32 v[8:9], v[8:9], v[18:19]
	v_cmp_gt_i32_e32 vcc_lo, 2, v14
	s_delay_alu instid0(VALU_DEP_3) | instskip(SKIP_3) | instid1(SALU_CYCLE_1)
	v_add_nc_u64_e32 v[10:11], v[10:11], v[16:17]
	s_or_b32 s40, vcc_lo, s40
	s_and_not1_b32 s41, s41, exec_lo
	s_and_b32 s89, s88, exec_lo
	s_or_b32 s41, s41, s89
	s_and_not1_b32 exec_lo, exec_lo, s40
	s_cbranch_execz .LBB4_522
.LBB4_510:                              ;   Parent Loop BB4_47 Depth=1
                                        ;     Parent Loop BB4_57 Depth=2
                                        ; =>    This Inner Loop Header: Depth=3
	flat_load_u16 v15, v[10:11] th:TH_LOAD_NT
	s_wait_xcnt 0x0
	s_and_saveexec_b32 s89, s88
	s_cbranch_execz .LBB4_516
; %bb.511:                              ;   in Loop: Header=BB4_510 Depth=3
	v_lshlrev_b32_e32 v13, 16, v13
	s_delay_alu instid0(VALU_DEP_1) | instskip(NEXT) | instid1(VALU_DEP_1)
	v_mul_f32_e32 v13, v12, v13
	v_and_b32_e32 v16, 0x7f800000, v13
	s_delay_alu instid0(VALU_DEP_1) | instskip(SKIP_1) | instid1(SALU_CYCLE_1)
	v_cmp_ne_u32_e32 vcc_lo, 0x7f800000, v16
                                        ; implicit-def: $vgpr16
	s_and_saveexec_b32 s88, vcc_lo
	s_xor_b32 s88, exec_lo, s88
; %bb.512:                              ;   in Loop: Header=BB4_510 Depth=3
	v_bfe_u32 v16, v13, 16, 1
	s_delay_alu instid0(VALU_DEP_1)
	v_add3_u32 v16, v13, v16, 0x7fff
                                        ; implicit-def: $vgpr13
; %bb.513:                              ;   in Loop: Header=BB4_510 Depth=3
	s_and_not1_saveexec_b32 s88, s88
; %bb.514:                              ;   in Loop: Header=BB4_510 Depth=3
	v_and_b32_e32 v16, 0xffff, v13
	v_or_b32_e32 v17, 0x10000, v13
	s_delay_alu instid0(VALU_DEP_2) | instskip(NEXT) | instid1(VALU_DEP_2)
	v_cmp_eq_u32_e32 vcc_lo, 0, v16
	v_cndmask_b32_e32 v16, v17, v13, vcc_lo
; %bb.515:                              ;   in Loop: Header=BB4_510 Depth=3
	s_or_b32 exec_lo, exec_lo, s88
	s_delay_alu instid0(VALU_DEP_1)
	v_lshrrev_b32_e32 v13, 16, v16
	flat_store_b16 v[8:9], v13 th:TH_STORE_NT
	s_wait_xcnt 0x0
	v_add_nc_u64_e32 v[8:9], v[8:9], v[102:103]
.LBB4_516:                              ;   in Loop: Header=BB4_510 Depth=3
	s_or_b32 exec_lo, exec_lo, s89
	v_sub_nc_u32_e32 v14, v14, v79
	v_add_nc_u64_e32 v[10:11], v[10:11], v[102:103]
	s_delay_alu instid0(VALU_DEP_2)
	v_cmp_lt_i32_e64 s88, 1, v14
	s_and_saveexec_b32 s89, s88
	s_cbranch_execz .LBB4_518
; %bb.517:                              ;   in Loop: Header=BB4_510 Depth=3
	flat_load_u16 v13, v[10:11] th:TH_LOAD_NT
	s_wait_xcnt 0x0
	v_add_nc_u64_e32 v[10:11], 64, v[10:11]
.LBB4_518:                              ;   in Loop: Header=BB4_510 Depth=3
	s_or_b32 exec_lo, exec_lo, s89
	s_wait_loadcnt_dscnt 0x0
	v_lshlrev_b32_e32 v15, 16, v15
	s_delay_alu instid0(VALU_DEP_1) | instskip(NEXT) | instid1(VALU_DEP_1)
	v_mul_f32_e32 v16, v12, v15
	v_and_b32_e32 v15, 0x7f800000, v16
	s_delay_alu instid0(VALU_DEP_1) | instskip(SKIP_1) | instid1(SALU_CYCLE_1)
	v_cmp_ne_u32_e32 vcc_lo, 0x7f800000, v15
                                        ; implicit-def: $vgpr15
	s_and_saveexec_b32 s89, vcc_lo
	s_xor_b32 s89, exec_lo, s89
; %bb.519:                              ;   in Loop: Header=BB4_510 Depth=3
	v_bfe_u32 v15, v16, 16, 1
	s_delay_alu instid0(VALU_DEP_1)
	v_add3_u32 v15, v16, v15, 0x7fff
                                        ; implicit-def: $vgpr16
; %bb.520:                              ;   in Loop: Header=BB4_510 Depth=3
	s_and_not1_saveexec_b32 s89, s89
	s_cbranch_execz .LBB4_509
; %bb.521:                              ;   in Loop: Header=BB4_510 Depth=3
	v_and_b32_e32 v15, 0xffff, v16
	v_or_b32_e32 v17, 0x10000, v16
	s_delay_alu instid0(VALU_DEP_2) | instskip(NEXT) | instid1(VALU_DEP_2)
	v_cmp_eq_u32_e32 vcc_lo, 0, v15
	v_cndmask_b32_e32 v15, v17, v16, vcc_lo
	s_branch .LBB4_509
.LBB4_522:                              ;   in Loop: Header=BB4_57 Depth=2
	s_or_b32 exec_lo, exec_lo, s40
	s_delay_alu instid0(SALU_CYCLE_1)
	s_and_b32 exec_lo, exec_lo, s41
	s_cbranch_execz .LBB4_528
; %bb.523:                              ;   in Loop: Header=BB4_57 Depth=2
	v_lshlrev_b32_e32 v10, 16, v13
	s_delay_alu instid0(VALU_DEP_1) | instskip(NEXT) | instid1(VALU_DEP_1)
	v_mul_f32_e32 v10, v12, v10
	v_and_b32_e32 v11, 0x7f800000, v10
	s_delay_alu instid0(VALU_DEP_1) | instskip(SKIP_1) | instid1(SALU_CYCLE_1)
	v_cmp_ne_u32_e32 vcc_lo, 0x7f800000, v11
                                        ; implicit-def: $vgpr11
	s_and_saveexec_b32 s40, vcc_lo
	s_xor_b32 s40, exec_lo, s40
; %bb.524:                              ;   in Loop: Header=BB4_57 Depth=2
	v_bfe_u32 v11, v10, 16, 1
	s_delay_alu instid0(VALU_DEP_1)
	v_add3_u32 v11, v10, v11, 0x7fff
                                        ; implicit-def: $vgpr10
; %bb.525:                              ;   in Loop: Header=BB4_57 Depth=2
	s_and_not1_saveexec_b32 s40, s40
; %bb.526:                              ;   in Loop: Header=BB4_57 Depth=2
	v_and_b32_e32 v11, 0xffff, v10
	v_or_b32_e32 v12, 0x10000, v10
	s_delay_alu instid0(VALU_DEP_2) | instskip(NEXT) | instid1(VALU_DEP_2)
	v_cmp_eq_u32_e32 vcc_lo, 0, v11
	v_cndmask_b32_e32 v11, v12, v10, vcc_lo
; %bb.527:                              ;   in Loop: Header=BB4_57 Depth=2
	s_or_b32 exec_lo, exec_lo, s40
	flat_store_d16_hi_b16 v[8:9], v11 th:TH_STORE_NT
.LBB4_528:                              ;   in Loop: Header=BB4_57 Depth=2
	s_wait_xcnt 0x0
	s_or_b32 exec_lo, exec_lo, s13
	v_cmp_lt_i32_e64 s13, 0, v2
	s_and_saveexec_b32 s40, s2
	s_cbranch_execz .LBB4_547
.LBB4_529:                              ;   in Loop: Header=BB4_57 Depth=2
	s_and_saveexec_b32 s41, s3
	s_delay_alu instid0(SALU_CYCLE_1)
	s_xor_b32 s41, exec_lo, s41
	s_cbranch_execz .LBB4_544
; %bb.530:                              ;   in Loop: Header=BB4_57 Depth=2
	s_and_saveexec_b32 s88, s6
	s_cbranch_execz .LBB4_543
; %bb.531:                              ;   in Loop: Header=BB4_57 Depth=2
	s_mov_b32 s90, exec_lo
	s_mov_b32 s89, exec_lo
	v_mbcnt_lo_u32_b32 v2, s90, 0
	global_wb scope:SCOPE_DEV
	s_wait_storecnt 0x0
	s_wait_loadcnt_dscnt 0x0
	global_inv scope:SCOPE_DEV
	v_cmpx_eq_u32_e32 0, v2
	s_cbranch_execz .LBB4_533
; %bb.532:                              ;   in Loop: Header=BB4_57 Depth=2
	s_bcnt1_i32_b32 s90, s90
	s_delay_alu instid0(SALU_CYCLE_1)
	v_mov_b32_e32 v2, s90
	s_wait_loadcnt 0x0
	ds_add_u64 v0, v[2:3]
	s_trap 2
.LBB4_533:                              ;   in Loop: Header=BB4_57 Depth=2
	s_or_b32 exec_lo, exec_lo, s89
	s_trap 2
	ds_load_b64 v[8:9], v0
	s_wait_dscnt 0x0
	v_add_nc_u64_e32 v[48:49], v[48:49], v[52:53]
	s_mov_b32 s89, exec_lo
	s_delay_alu instid0(VALU_DEP_1)
	v_cmpx_lt_u64_e64 v[8:9], v[48:49]
	s_cbranch_execz .LBB4_542
; %bb.534:                              ;   in Loop: Header=BB4_57 Depth=2
	s_mov_b32 s90, 0
	s_mov_b32 s93, 0
                                        ; implicit-def: $sgpr91
                                        ; implicit-def: $sgpr92
	s_branch .LBB4_536
.LBB4_535:                              ;   in Loop: Header=BB4_536 Depth=3
	s_or_b32 exec_lo, exec_lo, s95
	s_delay_alu instid0(SALU_CYCLE_1) | instskip(NEXT) | instid1(SALU_CYCLE_1)
	s_and_b32 s94, exec_lo, vcc_lo
	s_or_b32 s90, s94, s90
	s_and_not1_b32 s91, s91, exec_lo
	s_and_b32 s94, s92, exec_lo
	s_delay_alu instid0(SALU_CYCLE_1)
	s_or_b32 s91, s91, s94
	s_and_not1_b32 exec_lo, exec_lo, s90
	s_cbranch_execz .LBB4_540
.LBB4_536:                              ;   Parent Loop BB4_47 Depth=1
                                        ;     Parent Loop BB4_57 Depth=2
                                        ; =>    This Inner Loop Header: Depth=3
	s_add_co_i32 s93, s93, 1
	s_delay_alu instid0(SALU_CYCLE_1) | instskip(SKIP_1) | instid1(SALU_CYCLE_1)
	s_cmp_lg_u32 s93, 0x2710
	s_cselect_b32 s94, -1, 0
	s_and_b32 vcc_lo, exec_lo, s94
	s_cbranch_vccz .LBB4_538
; %bb.537:                              ;   in Loop: Header=BB4_536 Depth=3
	s_mov_b32 vcc_lo, -1
	s_or_b32 s92, s92, exec_lo
	s_and_saveexec_b32 s95, s94
	s_cbranch_execz .LBB4_535
	s_branch .LBB4_539
.LBB4_538:                              ;   in Loop: Header=BB4_536 Depth=3
	s_trap 2
	ds_load_b64 v[8:9], v0
	s_and_not1_b32 s94, s94, exec_lo
	s_mov_b32 s93, 0
	s_wait_loadcnt_dscnt 0x0
	flat_load_b32 v2, v[8:9] scope:SCOPE_SYS
	s_wait_loadcnt_dscnt 0x0
	global_inv scope:SCOPE_SYS
	v_cmp_eq_u32_e32 vcc_lo, 0, v2
	s_and_b32 s95, vcc_lo, exec_lo
	s_delay_alu instid0(SALU_CYCLE_1)
	s_or_b32 s94, s94, s95
	s_mov_b32 vcc_lo, -1
	s_or_b32 s92, s92, exec_lo
	s_and_saveexec_b32 s95, s94
	s_cbranch_execz .LBB4_535
.LBB4_539:                              ;   in Loop: Header=BB4_536 Depth=3
	s_sleep 1
	s_trap 2
	ds_load_b64 v[8:9], v0
	s_wait_dscnt 0x0
	s_and_not1_b32 s92, s92, exec_lo
	v_cmp_ge_u64_e32 vcc_lo, v[8:9], v[48:49]
	s_or_not1_b32 vcc_lo, vcc_lo, exec_lo
	s_branch .LBB4_535
.LBB4_540:                              ;   in Loop: Header=BB4_57 Depth=2
	s_or_b32 exec_lo, exec_lo, s90
	s_and_saveexec_b32 s90, s91
	s_delay_alu instid0(SALU_CYCLE_1)
	s_xor_b32 s90, exec_lo, s90
	s_cbranch_execz .LBB4_542
; %bb.541:                              ;   in Loop: Header=BB4_57 Depth=2
	ds_store_b32 v0, v75
	s_trap 2
.LBB4_542:                              ;   in Loop: Header=BB4_57 Depth=2
	s_or_b32 exec_lo, exec_lo, s89
	;;#ASMSTART
	s_wakeup
	;;#ASMEND
.LBB4_543:                              ;   in Loop: Header=BB4_57 Depth=2
	s_or_b32 exec_lo, exec_lo, s88
.LBB4_544:                              ;   in Loop: Header=BB4_57 Depth=2
	s_and_not1_saveexec_b32 s41, s41
	s_cbranch_execz .LBB4_546
; %bb.545:                              ;   in Loop: Header=BB4_57 Depth=2
	global_wb scope:SCOPE_DEV
	s_wait_storecnt 0x0
	s_wait_loadcnt_dscnt 0x0
	global_inv scope:SCOPE_DEV
	s_barrier_signal -1
	s_barrier_wait -1
.LBB4_546:                              ;   in Loop: Header=BB4_57 Depth=2
	s_or_b32 exec_lo, exec_lo, s41
.LBB4_547:                              ;   in Loop: Header=BB4_57 Depth=2
	s_delay_alu instid0(SALU_CYCLE_1) | instskip(SKIP_2) | instid1(SALU_CYCLE_1)
	s_or_b32 exec_lo, exec_lo, s40
	v_and_b32_e32 v8, 16, v30
	s_and_saveexec_b32 s40, s12
	s_xor_b32 s40, exec_lo, s40
	s_cbranch_execz .LBB4_551
; %bb.548:                              ;   in Loop: Header=BB4_57 Depth=2
	v_and_b32_e32 v2, 16, v30
	v_and_b32_e32 v8, 16, v30
	s_delay_alu instid0(VALU_DEP_2) | instskip(SKIP_1) | instid1(SALU_CYCLE_1)
	v_cmp_ne_u32_e32 vcc_lo, 0, v2
	s_and_b32 s41, vcc_lo, s13
	s_and_saveexec_b32 s13, s41
	s_cbranch_execz .LBB4_550
; %bb.549:                              ;   in Loop: Header=BB4_57 Depth=2
	v_mov_b32_e32 v8, 1
	global_wb scope:SCOPE_SYS
	s_wait_storecnt 0x0
	s_wait_loadcnt_dscnt 0x0
	global_inv scope:SCOPE_SYS
.LBB4_550:                              ;   in Loop: Header=BB4_57 Depth=2
	s_or_b32 exec_lo, exec_lo, s13
.LBB4_551:                              ;   in Loop: Header=BB4_57 Depth=2
	s_and_not1_saveexec_b32 s13, s40
	s_cbranch_execz .LBB4_570
; %bb.552:                              ;   in Loop: Header=BB4_57 Depth=2
	s_and_saveexec_b32 s40, s3
	s_delay_alu instid0(SALU_CYCLE_1)
	s_xor_b32 s40, exec_lo, s40
	s_cbranch_execz .LBB4_567
; %bb.553:                              ;   in Loop: Header=BB4_57 Depth=2
	s_and_saveexec_b32 s41, s6
	s_cbranch_execz .LBB4_566
; %bb.554:                              ;   in Loop: Header=BB4_57 Depth=2
	s_mov_b32 s89, exec_lo
	s_mov_b32 s88, exec_lo
	v_mbcnt_lo_u32_b32 v2, s89, 0
	;;#ASMSTART
	s_waitcnt lgkmcnt(0) vmcnt(0)
	;;#ASMEND
	s_delay_alu instid0(VALU_DEP_1)
	v_cmpx_eq_u32_e32 0, v2
	s_cbranch_execz .LBB4_556
; %bb.555:                              ;   in Loop: Header=BB4_57 Depth=2
	s_bcnt1_i32_b32 s89, s89
	s_delay_alu instid0(SALU_CYCLE_1)
	v_mov_b32_e32 v2, s89
	s_wait_storecnt 0x0
	s_wait_loadcnt_dscnt 0x0
	ds_add_u64 v0, v[2:3]
	s_trap 2
.LBB4_556:                              ;   in Loop: Header=BB4_57 Depth=2
	s_or_b32 exec_lo, exec_lo, s88
	s_trap 2
	ds_load_b64 v[10:11], v0
	s_wait_dscnt 0x0
	v_add_nc_u64_e32 v[48:49], v[48:49], v[52:53]
	s_mov_b32 s88, exec_lo
	s_delay_alu instid0(VALU_DEP_1)
	v_cmpx_lt_u64_e64 v[10:11], v[48:49]
	s_cbranch_execz .LBB4_565
; %bb.557:                              ;   in Loop: Header=BB4_57 Depth=2
	s_mov_b32 s89, 0
	s_mov_b32 s92, 0
                                        ; implicit-def: $sgpr90
                                        ; implicit-def: $sgpr91
	s_branch .LBB4_559
.LBB4_558:                              ;   in Loop: Header=BB4_559 Depth=3
	s_or_b32 exec_lo, exec_lo, s94
	s_delay_alu instid0(SALU_CYCLE_1) | instskip(NEXT) | instid1(SALU_CYCLE_1)
	s_and_b32 s93, exec_lo, s95
	s_or_b32 s89, s93, s89
	s_and_not1_b32 s90, s90, exec_lo
	s_and_b32 s93, s91, exec_lo
	s_delay_alu instid0(SALU_CYCLE_1)
	s_or_b32 s90, s90, s93
	s_and_not1_b32 exec_lo, exec_lo, s89
	s_cbranch_execz .LBB4_563
.LBB4_559:                              ;   Parent Loop BB4_47 Depth=1
                                        ;     Parent Loop BB4_57 Depth=2
                                        ; =>    This Inner Loop Header: Depth=3
	s_add_co_i32 s92, s92, 1
	s_delay_alu instid0(SALU_CYCLE_1) | instskip(SKIP_1) | instid1(SALU_CYCLE_1)
	s_cmp_lg_u32 s92, 0x2710
	s_cselect_b32 s93, -1, 0
	s_and_b32 vcc_lo, exec_lo, s93
	s_cbranch_vccz .LBB4_561
; %bb.560:                              ;   in Loop: Header=BB4_559 Depth=3
	s_mov_b32 s95, -1
	s_or_b32 s91, s91, exec_lo
	s_and_saveexec_b32 s94, s93
	s_cbranch_execz .LBB4_558
	s_branch .LBB4_562
.LBB4_561:                              ;   in Loop: Header=BB4_559 Depth=3
	s_trap 2
	ds_load_b64 v[10:11], v0
	s_and_not1_b32 s93, s93, exec_lo
	s_mov_b32 s92, 0
	s_wait_storecnt 0x0
	s_wait_loadcnt_dscnt 0x0
	flat_load_b32 v2, v[10:11] scope:SCOPE_SYS
	s_wait_loadcnt_dscnt 0x0
	global_inv scope:SCOPE_SYS
	v_cmp_eq_u32_e32 vcc_lo, 0, v2
	s_and_b32 s94, vcc_lo, exec_lo
	s_delay_alu instid0(SALU_CYCLE_1)
	s_or_b32 s93, s93, s94
	s_mov_b32 s95, -1
	s_or_b32 s91, s91, exec_lo
	s_and_saveexec_b32 s94, s93
	s_cbranch_execz .LBB4_558
.LBB4_562:                              ;   in Loop: Header=BB4_559 Depth=3
	s_sleep 1
	s_trap 2
	ds_load_b64 v[10:11], v0
	s_wait_dscnt 0x0
	s_and_not1_b32 s91, s91, exec_lo
	v_cmp_ge_u64_e32 vcc_lo, v[10:11], v[48:49]
	s_or_not1_b32 s95, vcc_lo, exec_lo
	s_branch .LBB4_558
.LBB4_563:                              ;   in Loop: Header=BB4_57 Depth=2
	s_or_b32 exec_lo, exec_lo, s89
	s_and_saveexec_b32 s89, s90
	s_delay_alu instid0(SALU_CYCLE_1)
	s_xor_b32 s89, exec_lo, s89
	s_cbranch_execz .LBB4_565
; %bb.564:                              ;   in Loop: Header=BB4_57 Depth=2
	ds_store_b32 v0, v75
	s_trap 2
.LBB4_565:                              ;   in Loop: Header=BB4_57 Depth=2
	s_or_b32 exec_lo, exec_lo, s88
	;;#ASMSTART
	s_wakeup
	;;#ASMEND
.LBB4_566:                              ;   in Loop: Header=BB4_57 Depth=2
	s_or_b32 exec_lo, exec_lo, s41
.LBB4_567:                              ;   in Loop: Header=BB4_57 Depth=2
	s_and_not1_saveexec_b32 s40, s40
	s_cbranch_execz .LBB4_569
; %bb.568:                              ;   in Loop: Header=BB4_57 Depth=2
	;;#ASMSTART
	s_waitcnt lgkmcnt(0) vmcnt(0)
	;;#ASMEND
	s_barrier_signal -1
	s_barrier_wait -1
.LBB4_569:                              ;   in Loop: Header=BB4_57 Depth=2
	s_or_b32 exec_lo, exec_lo, s40
.LBB4_570:                              ;   in Loop: Header=BB4_57 Depth=2
	s_delay_alu instid0(SALU_CYCLE_1) | instskip(NEXT) | instid1(SALU_CYCLE_1)
	s_or_b32 exec_lo, exec_lo, s13
	s_mov_b32 s13, exec_lo
	v_cmpx_ne_u32_e32 0, v8
	s_cbranch_execz .LBB4_56
; %bb.571:                              ;   in Loop: Header=BB4_57 Depth=2
	s_and_saveexec_b32 s40, s5
	s_cbranch_execz .LBB4_55
; %bb.572:                              ;   in Loop: Header=BB4_57 Depth=2
	global_wb scope:SCOPE_SYS
	s_wait_storecnt 0x0
	s_wait_loadcnt_dscnt 0x0
	flat_store_b32 v[38:39], v75 scope:SCOPE_SYS
	s_branch .LBB4_55
.LBB4_573:                              ;   in Loop: Header=BB4_47 Depth=1
	s_or_b32 exec_lo, exec_lo, s15
.LBB4_574:                              ;   in Loop: Header=BB4_47 Depth=1
	s_delay_alu instid0(SALU_CYCLE_1) | instskip(NEXT) | instid1(SALU_CYCLE_1)
	s_or_b32 exec_lo, exec_lo, s14
	s_mov_b32 s14, exec_lo
	v_cmpx_gt_i32_e32 2, v2
	s_cbranch_execz .LBB4_648
; %bb.575:                              ;   in Loop: Header=BB4_47 Depth=1
	v_cmp_eq_u32_e64 s18, 0, v2
	s_mov_b32 s15, 0
	s_branch .LBB4_578
.LBB4_576:                              ;   in Loop: Header=BB4_578 Depth=2
	s_wait_xcnt 0x0
	s_or_b32 exec_lo, exec_lo, s18
	v_add_nc_u64_e32 v[114:115], 2, v[114:115]
	global_wb scope:SCOPE_SYS
	s_wait_storecnt 0x0
	s_wait_loadcnt_dscnt 0x0
	flat_store_b64 v[32:33], v[114:115] scope:SCOPE_SYS
.LBB4_577:                              ;   in Loop: Header=BB4_578 Depth=2
	s_wait_xcnt 0x0
	s_or_b32 exec_lo, exec_lo, s13
	v_add_nc_u32_e32 v42, v40, v42
	s_mov_b32 s18, 0
	s_and_not1_b32 exec_lo, exec_lo, s15
	s_cbranch_execz .LBB4_647
.LBB4_578:                              ;   Parent Loop BB4_47 Depth=1
                                        ; =>  This Loop Header: Depth=2
                                        ;       Child Loop BB4_584 Depth 3
                                        ;       Child Loop BB4_608 Depth 3
	;; [unrolled: 1-line block ×3, first 2 shown]
	s_delay_alu instid0(VALU_DEP_1) | instskip(SKIP_2) | instid1(VALU_DEP_2)
	v_sub_nc_u32_e32 v2, v62, v42
	v_and_b32_e32 v8, 8, v30
	s_mov_b32 s27, exec_lo
	v_min_i32_e32 v40, v40, v2
	s_delay_alu instid0(VALU_DEP_2)
	v_cmpx_ne_u32_e32 0, v8
	s_cbranch_execz .LBB4_600
; %bb.579:                              ;   in Loop: Header=BB4_578 Depth=2
	s_wait_loadcnt_dscnt 0x1
	v_add_nc_u64_e32 v[10:11], 8, v[50:51]
	v_add_nc_u64_e32 v[8:9], 2, v[114:115]
	s_mov_b32 s40, exec_lo
	s_delay_alu instid0(VALU_DEP_1)
	v_cmpx_lt_u64_e64 v[10:11], v[8:9]
	s_cbranch_execz .LBB4_591
; %bb.580:                              ;   in Loop: Header=BB4_578 Depth=2
	v_and_b32_e32 v2, 64, v30
	s_mov_b32 s41, 0
	s_mov_b32 s91, 0
                                        ; implicit-def: $sgpr88
                                        ; implicit-def: $sgpr89
                                        ; implicit-def: $sgpr90
	s_delay_alu instid0(VALU_DEP_1)
	v_cmp_eq_u32_e32 vcc_lo, 0, v2
	s_branch .LBB4_584
.LBB4_581:                              ;   in Loop: Header=BB4_584 Depth=3
	s_wait_loadcnt_dscnt 0x0
	v_add_nc_u64_e32 v[10:11], 8, v[50:51]
	s_or_b32 s94, s94, exec_lo
	s_delay_alu instid0(VALU_DEP_1)
	v_cmp_ge_u64_e64 s13, v[10:11], v[8:9]
	s_or_not1_b32 s93, s13, exec_lo
.LBB4_582:                              ;   in Loop: Header=BB4_584 Depth=3
	s_or_b32 exec_lo, exec_lo, vcc_hi
	s_delay_alu instid0(SALU_CYCLE_1)
	s_and_not1_b32 s13, s90, exec_lo
	s_and_b32 s90, s94, exec_lo
	s_and_not1_b32 s89, s89, exec_lo
	s_and_b32 s93, s93, exec_lo
	s_or_b32 s90, s13, s90
	s_or_b32 s89, s89, s93
.LBB4_583:                              ;   in Loop: Header=BB4_584 Depth=3
	s_or_b32 exec_lo, exec_lo, s92
	s_delay_alu instid0(SALU_CYCLE_1) | instskip(NEXT) | instid1(SALU_CYCLE_1)
	s_and_b32 s13, exec_lo, s89
	s_or_b32 s41, s13, s41
	s_and_not1_b32 s13, s88, exec_lo
	s_and_b32 s88, s90, exec_lo
	s_delay_alu instid0(SALU_CYCLE_1)
	s_or_b32 s88, s13, s88
	s_and_not1_b32 exec_lo, exec_lo, s41
	s_cbranch_execz .LBB4_588
.LBB4_584:                              ;   Parent Loop BB4_47 Depth=1
                                        ;     Parent Loop BB4_578 Depth=2
                                        ; =>    This Inner Loop Header: Depth=3
	s_sleep 1
	s_wait_loadcnt_dscnt 0x0
	flat_load_b64 v[50:51], v[32:33] scope:SCOPE_SYS
	s_or_b32 s90, s90, exec_lo
	s_or_b32 s89, s89, exec_lo
                                        ; implicit-def: $vgpr2
	s_wait_xcnt 0x0
	s_and_saveexec_b32 s92, vcc_lo
	s_cbranch_execz .LBB4_583
; %bb.585:                              ;   in Loop: Header=BB4_584 Depth=3
	s_cmp_lt_i32 s91, 0x270f
	s_mov_b32 s93, -1
	s_cselect_b32 s95, -1, 0
	s_cmp_gt_i32 s91, 0x270e
	s_cbranch_scc0 .LBB4_587
; %bb.586:                              ;   in Loop: Header=BB4_584 Depth=3
	s_trap 2
	ds_load_b64 v[10:11], v0
	s_and_not1_b32 s91, s95, exec_lo
	s_mov_b32 s94, 0
	s_wait_storecnt 0x0
	s_wait_loadcnt_dscnt 0x0
	flat_load_b32 v2, v[10:11] scope:SCOPE_SYS
	s_wait_loadcnt_dscnt 0x0
	global_inv scope:SCOPE_SYS
	v_cmp_eq_u32_e64 s13, 0, v2
	s_and_b32 s13, s13, exec_lo
	s_delay_alu instid0(SALU_CYCLE_1)
	s_or_b32 s95, s91, s13
	s_mov_b32 s91, 0
	s_and_saveexec_b32 vcc_hi, s95
	s_cbranch_execz .LBB4_582
	s_branch .LBB4_581
.LBB4_587:                              ;   in Loop: Header=BB4_584 Depth=3
	s_add_co_i32 s91, s91, 1
	s_mov_b32 s94, -1
                                        ; implicit-def: $vgpr2
	s_and_saveexec_b32 vcc_hi, s95
	s_cbranch_execz .LBB4_582
	s_branch .LBB4_581
.LBB4_588:                              ;   in Loop: Header=BB4_578 Depth=2
	s_or_b32 exec_lo, exec_lo, s41
	s_xor_b32 s13, s88, -1
	s_delay_alu instid0(SALU_CYCLE_1) | instskip(NEXT) | instid1(SALU_CYCLE_1)
	s_and_saveexec_b32 s41, s13
	s_xor_b32 s13, exec_lo, s41
	s_cbranch_execz .LBB4_590
; %bb.589:                              ;   in Loop: Header=BB4_578 Depth=2
	v_or_b32_e32 v30, 64, v30
	s_wait_storecnt 0x0
	s_wait_loadcnt_dscnt 0x0
	ds_store_b32 v0, v2
	s_trap 2
.LBB4_590:                              ;   in Loop: Header=BB4_578 Depth=2
	s_or_b32 exec_lo, exec_lo, s13
.LBB4_591:                              ;   in Loop: Header=BB4_578 Depth=2
	s_delay_alu instid0(SALU_CYCLE_1) | instskip(SKIP_4) | instid1(VALU_DEP_1)
	s_or_b32 exec_lo, exec_lo, s40
	v_and_b32_e32 v2, 0x100, v30
	s_mov_b32 s40, 0
	s_mov_b32 s13, exec_lo
	;;#ASMSTART
	s_wakeup
	;;#ASMEND
                                        ; implicit-def: $vgpr10_vgpr11
	v_cmpx_ne_u32_e32 0, v2
	s_xor_b32 s13, exec_lo, s13
	s_cbranch_execz .LBB4_612
; %bb.592:                              ;   in Loop: Header=BB4_578 Depth=2
	v_dual_ashrrev_i32 v41, 31, v40 :: v_dual_bitop2_b32 v2, 7, v114 bitop3:0x40
	s_mov_b32 s40, -1
	s_mov_b32 s41, exec_lo
	s_delay_alu instid0(VALU_DEP_1) | instskip(NEXT) | instid1(VALU_DEP_2)
	v_mad_nc_u64_u32 v[12:13], v2, 24, v[6:7]
	v_lshlrev_b64_e32 v[10:11], 1, v[40:41]
	s_clause 0x1
	flat_load_b32 v14, v[12:13]
	flat_store_b64 v[12:13], v[10:11] offset:8
                                        ; implicit-def: $vgpr10_vgpr11
	s_wait_loadcnt_dscnt 0x1
	v_cmpx_eq_u32_e32 1, v14
	s_cbranch_execz .LBB4_594
; %bb.593:                              ;   in Loop: Header=BB4_578 Depth=2
	flat_load_b32 v10, v[12:13] offset:4 scope:SCOPE_SYS
	s_xor_b32 s40, exec_lo, -1
	s_wait_loadcnt_dscnt 0x0
	v_ashrrev_i32_e32 v11, 31, v10
	s_delay_alu instid0(VALU_DEP_1)
	v_lshrrev_b64 v[10:11], 1, v[10:11]
.LBB4_594:                              ;   in Loop: Header=BB4_578 Depth=2
	s_wait_xcnt 0x0
	s_or_b32 exec_lo, exec_lo, s41
	s_delay_alu instid0(SALU_CYCLE_1)
	s_and_b32 s40, s40, exec_lo
                                        ; implicit-def: $vgpr114_vgpr115
	s_and_not1_saveexec_b32 s13, s13
	s_cbranch_execnz .LBB4_613
.LBB4_595:                              ;   in Loop: Header=BB4_578 Depth=2
	s_or_b32 exec_lo, exec_lo, s13
	s_and_saveexec_b32 s13, s40
.LBB4_596:                              ;   in Loop: Header=BB4_578 Depth=2
	v_mul_u64_e32 v[10:11], v[2:3], v[34:35]
.LBB4_597:                              ;   in Loop: Header=BB4_578 Depth=2
	s_or_b32 exec_lo, exec_lo, s13
	v_and_b32_e32 v2, 0x2000, v30
	s_delay_alu instid0(VALU_DEP_2)
	v_lshl_add_u64 v[10:11], v[10:11], 1, v[36:37]
	s_mov_b32 s13, exec_lo
	ds_store_b64 v0, v[10:11] offset:784
	v_cmpx_ne_u32_e32 0, v2
	s_cbranch_execz .LBB4_599
; %bb.598:                              ;   in Loop: Header=BB4_578 Depth=2
	ds_load_b64 v[10:11], v0 offset:872
	s_wait_dscnt 0x0
	v_add_nc_u64_e32 v[10:11], 1, v[10:11]
	ds_store_b64 v0, v[10:11] offset:872
.LBB4_599:                              ;   in Loop: Header=BB4_578 Depth=2
	s_or_b32 exec_lo, exec_lo, s13
	v_mov_b64_e32 v[114:115], v[8:9]
.LBB4_600:                              ;   in Loop: Header=BB4_578 Depth=2
	s_or_b32 exec_lo, exec_lo, s27
	s_xor_b32 s13, s18, -1
	s_delay_alu instid0(SALU_CYCLE_1) | instskip(NEXT) | instid1(SALU_CYCLE_1)
	s_and_b32 s13, exec_lo, s13
	s_or_b32 s15, s13, s15
	s_and_saveexec_b32 s13, s2
	s_cbranch_execz .LBB4_621
; %bb.601:                              ;   in Loop: Header=BB4_578 Depth=2
	s_and_saveexec_b32 s18, s3
	s_delay_alu instid0(SALU_CYCLE_1)
	s_xor_b32 s18, exec_lo, s18
	s_cbranch_execz .LBB4_618
; %bb.602:                              ;   in Loop: Header=BB4_578 Depth=2
	s_and_saveexec_b32 s27, s6
	s_cbranch_execz .LBB4_617
; %bb.603:                              ;   in Loop: Header=BB4_578 Depth=2
	s_mov_b32 s41, exec_lo
	s_mov_b32 s40, exec_lo
	v_mbcnt_lo_u32_b32 v2, s41, 0
	global_wb scope:SCOPE_DEV
	s_wait_storecnt 0x0
	s_wait_loadcnt_dscnt 0x0
	global_inv scope:SCOPE_DEV
	v_cmpx_eq_u32_e32 0, v2
	s_cbranch_execz .LBB4_605
; %bb.604:                              ;   in Loop: Header=BB4_578 Depth=2
	s_bcnt1_i32_b32 s41, s41
	s_delay_alu instid0(SALU_CYCLE_1)
	v_mov_b32_e32 v2, s41
	s_wait_loadcnt 0x0
	ds_add_u64 v0, v[2:3]
	s_trap 2
.LBB4_605:                              ;   in Loop: Header=BB4_578 Depth=2
	s_or_b32 exec_lo, exec_lo, s40
	s_trap 2
	ds_load_b64 v[8:9], v0
	s_wait_dscnt 0x0
	v_add_nc_u64_e32 v[48:49], v[48:49], v[52:53]
	s_mov_b32 s40, exec_lo
	s_delay_alu instid0(VALU_DEP_1)
	v_cmpx_lt_u64_e64 v[8:9], v[48:49]
	s_cbranch_execz .LBB4_616
; %bb.606:                              ;   in Loop: Header=BB4_578 Depth=2
	s_mov_b32 s41, 0
	s_mov_b32 s90, 0
                                        ; implicit-def: $sgpr88
                                        ; implicit-def: $sgpr89
	s_branch .LBB4_608
.LBB4_607:                              ;   in Loop: Header=BB4_608 Depth=3
	s_or_b32 exec_lo, exec_lo, s92
	s_delay_alu instid0(SALU_CYCLE_1) | instskip(NEXT) | instid1(SALU_CYCLE_1)
	s_and_b32 s91, exec_lo, s93
	s_or_b32 s41, s91, s41
	s_and_not1_b32 s88, s88, exec_lo
	s_and_b32 s91, s89, exec_lo
	s_delay_alu instid0(SALU_CYCLE_1)
	s_or_b32 s88, s88, s91
	s_and_not1_b32 exec_lo, exec_lo, s41
	s_cbranch_execz .LBB4_614
.LBB4_608:                              ;   Parent Loop BB4_47 Depth=1
                                        ;     Parent Loop BB4_578 Depth=2
                                        ; =>    This Inner Loop Header: Depth=3
	s_add_co_i32 s90, s90, 1
	s_delay_alu instid0(SALU_CYCLE_1) | instskip(SKIP_1) | instid1(SALU_CYCLE_1)
	s_cmp_lg_u32 s90, 0x2710
	s_cselect_b32 s91, -1, 0
	s_and_b32 vcc_lo, exec_lo, s91
	s_cbranch_vccz .LBB4_610
; %bb.609:                              ;   in Loop: Header=BB4_608 Depth=3
	s_mov_b32 s93, -1
	s_or_b32 s89, s89, exec_lo
	s_and_saveexec_b32 s92, s91
	s_cbranch_execz .LBB4_607
	s_branch .LBB4_611
.LBB4_610:                              ;   in Loop: Header=BB4_608 Depth=3
	s_trap 2
	ds_load_b64 v[8:9], v0
	s_and_not1_b32 s91, s91, exec_lo
	s_mov_b32 s90, 0
	s_wait_loadcnt_dscnt 0x0
	flat_load_b32 v2, v[8:9] scope:SCOPE_SYS
	s_wait_loadcnt_dscnt 0x0
	global_inv scope:SCOPE_SYS
	v_cmp_eq_u32_e32 vcc_lo, 0, v2
	s_and_b32 s92, vcc_lo, exec_lo
	s_delay_alu instid0(SALU_CYCLE_1)
	s_or_b32 s91, s91, s92
	s_mov_b32 s93, -1
	s_or_b32 s89, s89, exec_lo
	s_and_saveexec_b32 s92, s91
	s_cbranch_execz .LBB4_607
.LBB4_611:                              ;   in Loop: Header=BB4_608 Depth=3
	s_sleep 1
	s_trap 2
	ds_load_b64 v[8:9], v0
	s_wait_dscnt 0x0
	s_and_not1_b32 s89, s89, exec_lo
	v_cmp_ge_u64_e32 vcc_lo, v[8:9], v[48:49]
	s_or_not1_b32 s93, vcc_lo, exec_lo
	s_branch .LBB4_607
.LBB4_612:                              ;   in Loop: Header=BB4_578 Depth=2
	s_and_not1_saveexec_b32 s13, s13
	s_cbranch_execz .LBB4_595
.LBB4_613:                              ;   in Loop: Header=BB4_578 Depth=2
	v_and_b32_e32 v2, 7, v114
	s_or_b32 s40, s40, exec_lo
	s_or_b32 exec_lo, exec_lo, s13
	s_and_saveexec_b32 s13, s40
	s_cbranch_execnz .LBB4_596
	s_branch .LBB4_597
.LBB4_614:                              ;   in Loop: Header=BB4_578 Depth=2
	s_or_b32 exec_lo, exec_lo, s41
	s_and_saveexec_b32 s41, s88
	s_delay_alu instid0(SALU_CYCLE_1)
	s_xor_b32 s41, exec_lo, s41
	s_cbranch_execz .LBB4_616
; %bb.615:                              ;   in Loop: Header=BB4_578 Depth=2
	ds_store_b32 v0, v75
	s_trap 2
.LBB4_616:                              ;   in Loop: Header=BB4_578 Depth=2
	s_or_b32 exec_lo, exec_lo, s40
	;;#ASMSTART
	s_wakeup
	;;#ASMEND
.LBB4_617:                              ;   in Loop: Header=BB4_578 Depth=2
	s_or_b32 exec_lo, exec_lo, s27
.LBB4_618:                              ;   in Loop: Header=BB4_578 Depth=2
	s_and_not1_saveexec_b32 s18, s18
	s_cbranch_execz .LBB4_620
; %bb.619:                              ;   in Loop: Header=BB4_578 Depth=2
	global_wb scope:SCOPE_DEV
	s_wait_storecnt 0x0
	s_wait_loadcnt_dscnt 0x0
	global_inv scope:SCOPE_DEV
	s_barrier_signal -1
	s_barrier_wait -1
.LBB4_620:                              ;   in Loop: Header=BB4_578 Depth=2
	s_or_b32 exec_lo, exec_lo, s18
.LBB4_621:                              ;   in Loop: Header=BB4_578 Depth=2
	s_delay_alu instid0(SALU_CYCLE_1) | instskip(SKIP_2) | instid1(SALU_CYCLE_1)
	s_or_b32 exec_lo, exec_lo, s13
	v_and_b32_e32 v8, 16, v30
	s_and_saveexec_b32 s13, s12
	s_xor_b32 s18, exec_lo, s13
	s_cbranch_execz .LBB4_625
; %bb.622:                              ;   in Loop: Header=BB4_578 Depth=2
	s_trap 2
	ds_load_b32 v2, v0
	v_cmp_lt_i32_e32 vcc_lo, 0, v40
	v_and_b32_e32 v8, 16, v30
	s_wait_dscnt 0x0
	v_readfirstlane_b32 s13, v2
	v_and_b32_e32 v2, 16, v30
	s_cmp_eq_u32 s13, 0
	s_delay_alu instid0(VALU_DEP_1) | instskip(SKIP_1) | instid1(SALU_CYCLE_1)
	v_cmp_ne_u32_e64 s13, 0, v2
	s_cselect_b32 s27, -1, 0
	s_and_b32 s27, vcc_lo, s27
	s_delay_alu instid0(SALU_CYCLE_1) | instskip(NEXT) | instid1(SALU_CYCLE_1)
	s_and_b32 s27, s13, s27
	s_and_saveexec_b32 s13, s27
	s_cbranch_execz .LBB4_624
; %bb.623:                              ;   in Loop: Header=BB4_578 Depth=2
	v_mov_b32_e32 v8, 1
	global_wb scope:SCOPE_SYS
	s_wait_loadcnt 0x0
	s_wait_storecnt 0x0
	global_inv scope:SCOPE_SYS
.LBB4_624:                              ;   in Loop: Header=BB4_578 Depth=2
	s_or_b32 exec_lo, exec_lo, s13
.LBB4_625:                              ;   in Loop: Header=BB4_578 Depth=2
	s_and_not1_saveexec_b32 s13, s18
	s_cbranch_execz .LBB4_644
; %bb.626:                              ;   in Loop: Header=BB4_578 Depth=2
	s_and_saveexec_b32 s18, s3
	s_delay_alu instid0(SALU_CYCLE_1)
	s_xor_b32 s18, exec_lo, s18
	s_cbranch_execz .LBB4_641
; %bb.627:                              ;   in Loop: Header=BB4_578 Depth=2
	s_and_saveexec_b32 s27, s6
	s_cbranch_execz .LBB4_640
; %bb.628:                              ;   in Loop: Header=BB4_578 Depth=2
	s_mov_b32 s41, exec_lo
	s_mov_b32 s40, exec_lo
	v_mbcnt_lo_u32_b32 v2, s41, 0
	;;#ASMSTART
	s_waitcnt lgkmcnt(0) vmcnt(0)
	;;#ASMEND
	s_delay_alu instid0(VALU_DEP_1)
	v_cmpx_eq_u32_e32 0, v2
	s_cbranch_execz .LBB4_630
; %bb.629:                              ;   in Loop: Header=BB4_578 Depth=2
	s_bcnt1_i32_b32 s41, s41
	s_delay_alu instid0(SALU_CYCLE_1)
	v_mov_b32_e32 v2, s41
	s_wait_storecnt 0x0
	s_wait_loadcnt_dscnt 0x0
	ds_add_u64 v0, v[2:3]
	s_trap 2
.LBB4_630:                              ;   in Loop: Header=BB4_578 Depth=2
	s_or_b32 exec_lo, exec_lo, s40
	s_trap 2
	ds_load_b64 v[10:11], v0
	s_wait_dscnt 0x0
	v_add_nc_u64_e32 v[48:49], v[48:49], v[52:53]
	s_mov_b32 s40, exec_lo
	s_delay_alu instid0(VALU_DEP_1)
	v_cmpx_lt_u64_e64 v[10:11], v[48:49]
	s_cbranch_execz .LBB4_639
; %bb.631:                              ;   in Loop: Header=BB4_578 Depth=2
	s_mov_b32 s41, 0
	s_mov_b32 s90, 0
                                        ; implicit-def: $sgpr88
                                        ; implicit-def: $sgpr89
	s_branch .LBB4_633
.LBB4_632:                              ;   in Loop: Header=BB4_633 Depth=3
	s_or_b32 exec_lo, exec_lo, s92
	s_delay_alu instid0(SALU_CYCLE_1) | instskip(NEXT) | instid1(SALU_CYCLE_1)
	s_and_b32 s91, exec_lo, s93
	s_or_b32 s41, s91, s41
	s_and_not1_b32 s88, s88, exec_lo
	s_and_b32 s91, s89, exec_lo
	s_delay_alu instid0(SALU_CYCLE_1)
	s_or_b32 s88, s88, s91
	s_and_not1_b32 exec_lo, exec_lo, s41
	s_cbranch_execz .LBB4_637
.LBB4_633:                              ;   Parent Loop BB4_47 Depth=1
                                        ;     Parent Loop BB4_578 Depth=2
                                        ; =>    This Inner Loop Header: Depth=3
	s_add_co_i32 s90, s90, 1
	s_delay_alu instid0(SALU_CYCLE_1) | instskip(SKIP_1) | instid1(SALU_CYCLE_1)
	s_cmp_lg_u32 s90, 0x2710
	s_cselect_b32 s91, -1, 0
	s_and_b32 vcc_lo, exec_lo, s91
	s_cbranch_vccz .LBB4_635
; %bb.634:                              ;   in Loop: Header=BB4_633 Depth=3
	s_mov_b32 s93, -1
	s_or_b32 s89, s89, exec_lo
	s_and_saveexec_b32 s92, s91
	s_cbranch_execz .LBB4_632
	s_branch .LBB4_636
.LBB4_635:                              ;   in Loop: Header=BB4_633 Depth=3
	s_trap 2
	ds_load_b64 v[10:11], v0
	s_and_not1_b32 s91, s91, exec_lo
	s_mov_b32 s90, 0
	s_wait_storecnt 0x0
	s_wait_loadcnt_dscnt 0x0
	flat_load_b32 v2, v[10:11] scope:SCOPE_SYS
	s_wait_loadcnt_dscnt 0x0
	global_inv scope:SCOPE_SYS
	v_cmp_eq_u32_e32 vcc_lo, 0, v2
	s_and_b32 s92, vcc_lo, exec_lo
	s_delay_alu instid0(SALU_CYCLE_1)
	s_or_b32 s91, s91, s92
	s_mov_b32 s93, -1
	s_or_b32 s89, s89, exec_lo
	s_and_saveexec_b32 s92, s91
	s_cbranch_execz .LBB4_632
.LBB4_636:                              ;   in Loop: Header=BB4_633 Depth=3
	s_sleep 1
	s_trap 2
	ds_load_b64 v[10:11], v0
	s_wait_dscnt 0x0
	s_and_not1_b32 s89, s89, exec_lo
	v_cmp_ge_u64_e32 vcc_lo, v[10:11], v[48:49]
	s_or_not1_b32 s93, vcc_lo, exec_lo
	s_branch .LBB4_632
.LBB4_637:                              ;   in Loop: Header=BB4_578 Depth=2
	s_or_b32 exec_lo, exec_lo, s41
	s_and_saveexec_b32 s41, s88
	s_delay_alu instid0(SALU_CYCLE_1)
	s_xor_b32 s41, exec_lo, s41
	s_cbranch_execz .LBB4_639
; %bb.638:                              ;   in Loop: Header=BB4_578 Depth=2
	ds_store_b32 v0, v75
	s_trap 2
.LBB4_639:                              ;   in Loop: Header=BB4_578 Depth=2
	s_or_b32 exec_lo, exec_lo, s40
	;;#ASMSTART
	s_wakeup
	;;#ASMEND
.LBB4_640:                              ;   in Loop: Header=BB4_578 Depth=2
	s_or_b32 exec_lo, exec_lo, s27
.LBB4_641:                              ;   in Loop: Header=BB4_578 Depth=2
	s_and_not1_saveexec_b32 s18, s18
	s_cbranch_execz .LBB4_643
; %bb.642:                              ;   in Loop: Header=BB4_578 Depth=2
	;;#ASMSTART
	s_waitcnt lgkmcnt(0) vmcnt(0)
	;;#ASMEND
	s_barrier_signal -1
	s_barrier_wait -1
.LBB4_643:                              ;   in Loop: Header=BB4_578 Depth=2
	s_or_b32 exec_lo, exec_lo, s18
.LBB4_644:                              ;   in Loop: Header=BB4_578 Depth=2
	s_delay_alu instid0(SALU_CYCLE_1) | instskip(NEXT) | instid1(SALU_CYCLE_1)
	s_or_b32 exec_lo, exec_lo, s13
	s_mov_b32 s13, exec_lo
	v_cmpx_ne_u32_e32 0, v8
	s_cbranch_execz .LBB4_577
; %bb.645:                              ;   in Loop: Header=BB4_578 Depth=2
	s_and_saveexec_b32 s18, s5
	s_cbranch_execz .LBB4_576
; %bb.646:                              ;   in Loop: Header=BB4_578 Depth=2
	global_wb scope:SCOPE_SYS
	s_wait_storecnt 0x0
	s_wait_loadcnt_dscnt 0x0
	flat_store_b32 v[38:39], v75 scope:SCOPE_SYS
	s_branch .LBB4_576
.LBB4_647:                              ;   in Loop: Header=BB4_47 Depth=1
	s_or_b32 exec_lo, exec_lo, s15
.LBB4_648:                              ;   in Loop: Header=BB4_47 Depth=1
	s_delay_alu instid0(SALU_CYCLE_1) | instskip(NEXT) | instid1(SALU_CYCLE_1)
	s_or_b32 exec_lo, exec_lo, s14
	s_and_not1_b32 vcc_lo, exec_lo, s46
	s_cbranch_vccnz .LBB4_1417
; %bb.649:                              ;   in Loop: Header=BB4_47 Depth=1
	s_mov_b32 s18, 2
	s_branch .LBB4_652
.LBB4_650:                              ;   in Loop: Header=BB4_652 Depth=2
	s_or_b32 exec_lo, exec_lo, s15
.LBB4_651:                              ;   in Loop: Header=BB4_652 Depth=2
	s_delay_alu instid0(SALU_CYCLE_1) | instskip(SKIP_1) | instid1(SALU_CYCLE_1)
	s_or_b32 exec_lo, exec_lo, s14
	s_add_co_i32 s18, s18, 1
	s_cmp_eq_u32 s18, s16
	s_cbranch_scc1 .LBB4_1417
.LBB4_652:                              ;   Parent Loop BB4_47 Depth=1
                                        ; =>  This Loop Header: Depth=2
                                        ;       Child Loop BB4_655 Depth 3
                                        ;         Child Loop BB4_663 Depth 4
                                        ;         Child Loop BB4_691 Depth 4
	;; [unrolled: 1-line block ×4, first 2 shown]
                                        ;           Child Loop BB4_740 Depth 5
                                        ;           Child Loop BB4_809 Depth 5
                                        ;         Child Loop BB4_948 Depth 4
                                        ;           Child Loop BB4_949 Depth 5
                                        ;           Child Loop BB4_1018 Depth 5
                                        ;         Child Loop BB4_1159 Depth 4
                                        ;         Child Loop BB4_1266 Depth 4
                                        ;           Child Loop BB4_1267 Depth 5
                                        ;           Child Loop BB4_1280 Depth 5
                                        ;         Child Loop BB4_1307 Depth 4
                                        ;         Child Loop BB4_1326 Depth 4
                                        ;       Child Loop BB4_1345 Depth 3
                                        ;         Child Loop BB4_1351 Depth 4
                                        ;         Child Loop BB4_1379 Depth 4
                                        ;         Child Loop BB4_1398 Depth 4
	s_sub_co_i32 s13, s44, s18
	s_mov_b32 s88, 0
	s_cmp_ge_i32 s13, s16
	v_mov_b32_e32 v14, 0
	s_cselect_b32 s14, s16, 0
	s_delay_alu instid0(SALU_CYCLE_1) | instskip(NEXT) | instid1(SALU_CYCLE_1)
	s_sub_co_i32 s14, s13, s14
	s_ashr_i32 s15, s14, 31
	s_delay_alu instid0(SALU_CYCLE_1) | instskip(NEXT) | instid1(VALU_DEP_1)
	v_mul_u64_e32 v[16:17], s[14:15], v[112:113]
	v_sub_nc_u64_e32 v[8:9], v[116:117], v[16:17]
	s_delay_alu instid0(VALU_DEP_1) | instskip(NEXT) | instid1(VALU_DEP_1)
	v_min_i64 v[8:9], v[112:113], v[8:9]
	v_max_i32_e32 v56, 0, v8
	v_cmp_lt_i32_e32 vcc_lo, 0, v8
	s_delay_alu instid0(VALU_DEP_2) | instskip(SKIP_1) | instid1(VALU_DEP_1)
	v_add_nc_u32_e32 v2, 31, v56
	s_and_b32 s13, s77, vcc_lo
	v_lshrrev_b32_e32 v2, 1, v2
	s_delay_alu instid0(VALU_DEP_1) | instskip(NEXT) | instid1(VALU_DEP_1)
	v_and_b32_e32 v9, 0x3ffffff0, v2
	v_dual_mov_b32 v2, 0 :: v_dual_max_i32 v12, s45, v9
	s_and_saveexec_b32 s27, s13
	s_cbranch_execz .LBB4_1342
; %bb.653:                              ;   in Loop: Header=BB4_652 Depth=2
	v_mov_b32_e32 v14, 0
	s_mov_b32 s90, 1
	s_mov_b32 s89, -1
	s_branch .LBB4_655
.LBB4_654:                              ;   in Loop: Header=BB4_655 Depth=3
	s_wait_xcnt 0x0
	s_or_b32 exec_lo, exec_lo, s13
	v_dual_add_nc_u32 v14, v12, v14 :: v_dual_mov_b32 v2, s90
	s_xor_b32 s13, s89, -1
	s_mov_b32 s89, 0
	s_mov_b32 s90, 2
	s_delay_alu instid0(VALU_DEP_1) | instskip(SKIP_1) | instid1(SALU_CYCLE_1)
	v_cmp_ge_i32_e32 vcc_lo, v14, v56
	s_or_b32 s13, s13, vcc_lo
	s_and_b32 s13, exec_lo, s13
	s_delay_alu instid0(SALU_CYCLE_1) | instskip(NEXT) | instid1(SALU_CYCLE_1)
	s_or_b32 s88, s13, s88
	s_and_not1_b32 exec_lo, exec_lo, s88
	s_cbranch_execz .LBB4_1341
.LBB4_655:                              ;   Parent Loop BB4_47 Depth=1
                                        ;     Parent Loop BB4_652 Depth=2
                                        ; =>    This Loop Header: Depth=3
                                        ;         Child Loop BB4_663 Depth 4
                                        ;         Child Loop BB4_691 Depth 4
	;; [unrolled: 1-line block ×4, first 2 shown]
                                        ;           Child Loop BB4_740 Depth 5
                                        ;           Child Loop BB4_809 Depth 5
                                        ;         Child Loop BB4_948 Depth 4
                                        ;           Child Loop BB4_949 Depth 5
                                        ;           Child Loop BB4_1018 Depth 5
                                        ;         Child Loop BB4_1159 Depth 4
                                        ;         Child Loop BB4_1266 Depth 4
                                        ;           Child Loop BB4_1267 Depth 5
                                        ;           Child Loop BB4_1280 Depth 5
                                        ;         Child Loop BB4_1307 Depth 4
                                        ;         Child Loop BB4_1326 Depth 4
	s_and_saveexec_b32 s13, s0
	s_cbranch_execz .LBB4_657
; %bb.656:                              ;   in Loop: Header=BB4_655 Depth=3
	s_trap 2
	ds_load_b64 v[8:9], v0
	v_ashrrev_i32_e32 v15, 31, v14
	s_wait_dscnt 0x0
	v_lshl_add_u64 v[8:9], v[118:119], 1, v[8:9]
	s_delay_alu instid0(VALU_DEP_1) | instskip(NEXT) | instid1(VALU_DEP_1)
	v_lshl_add_u64 v[8:9], v[16:17], 1, v[8:9]
	v_lshl_add_u64 v[8:9], v[14:15], 1, v[8:9]
	ds_store_b64 v0, v[8:9]
	ds_store_b64 v0, v[54:55]
.LBB4_657:                              ;   in Loop: Header=BB4_655 Depth=3
	s_or_b32 exec_lo, exec_lo, s13
	v_sub_nc_u32_e32 v2, v56, v14
	v_and_b32_e32 v8, 12, v30
	s_mov_b32 s14, exec_lo
	s_delay_alu instid0(VALU_DEP_2) | instskip(NEXT) | instid1(VALU_DEP_2)
	v_min_i32_e32 v12, v12, v2
	v_cmpx_ne_u32_e32 0, v8
	s_cbranch_execz .LBB4_683
; %bb.658:                              ;   in Loop: Header=BB4_655 Depth=3
	v_and_b32_e32 v2, 8, v30
	v_add_nc_u64_e32 v[8:9], 2, v[114:115]
	s_mov_b32 s15, exec_lo
	s_wait_loadcnt_dscnt 0x1
	s_delay_alu instid0(VALU_DEP_2) | instskip(NEXT) | instid1(VALU_DEP_1)
	v_add_nc_u64_e32 v[10:11], v[50:51], v[2:3]
	v_cmpx_lt_u64_e64 v[10:11], v[8:9]
	s_cbranch_execz .LBB4_670
; %bb.659:                              ;   in Loop: Header=BB4_655 Depth=3
	v_and_b32_e32 v10, 64, v30
	s_mov_b32 s40, 0
	s_mov_b32 s93, 0
                                        ; implicit-def: $sgpr41
                                        ; implicit-def: $sgpr91
                                        ; implicit-def: $sgpr92
	s_delay_alu instid0(VALU_DEP_1)
	v_cmp_eq_u32_e32 vcc_lo, 0, v10
	s_branch .LBB4_663
.LBB4_660:                              ;   in Loop: Header=BB4_663 Depth=4
	s_wait_loadcnt_dscnt 0x0
	v_add_nc_u64_e32 v[18:19], v[50:51], v[2:3]
	s_or_b32 vcc_hi, vcc_hi, exec_lo
	s_delay_alu instid0(VALU_DEP_1)
	v_cmp_ge_u64_e64 s13, v[18:19], v[8:9]
	s_or_not1_b32 s95, s13, exec_lo
.LBB4_661:                              ;   in Loop: Header=BB4_663 Depth=4
	s_or_b32 exec_lo, exec_lo, s31
	s_delay_alu instid0(SALU_CYCLE_1)
	s_and_not1_b32 s13, s92, exec_lo
	s_and_b32 s92, vcc_hi, exec_lo
	s_and_not1_b32 s91, s91, exec_lo
	s_and_b32 s95, s95, exec_lo
	s_or_b32 s92, s13, s92
	s_or_b32 s91, s91, s95
.LBB4_662:                              ;   in Loop: Header=BB4_663 Depth=4
	s_or_b32 exec_lo, exec_lo, s94
	s_delay_alu instid0(SALU_CYCLE_1) | instskip(NEXT) | instid1(SALU_CYCLE_1)
	s_and_b32 s13, exec_lo, s91
	s_or_b32 s40, s13, s40
	s_and_not1_b32 s13, s41, exec_lo
	s_and_b32 s41, s92, exec_lo
	s_delay_alu instid0(SALU_CYCLE_1)
	s_or_b32 s41, s13, s41
	s_and_not1_b32 exec_lo, exec_lo, s40
	s_cbranch_execz .LBB4_667
.LBB4_663:                              ;   Parent Loop BB4_47 Depth=1
                                        ;     Parent Loop BB4_652 Depth=2
                                        ;       Parent Loop BB4_655 Depth=3
                                        ; =>      This Inner Loop Header: Depth=4
	s_sleep 1
	s_wait_loadcnt_dscnt 0x0
	flat_load_b64 v[50:51], v[32:33] scope:SCOPE_SYS
	s_or_b32 s92, s92, exec_lo
	s_or_b32 s91, s91, exec_lo
                                        ; implicit-def: $vgpr10
	s_wait_xcnt 0x0
	s_and_saveexec_b32 s94, vcc_lo
	s_cbranch_execz .LBB4_662
; %bb.664:                              ;   in Loop: Header=BB4_663 Depth=4
	s_cmp_lt_i32 s93, 0x270f
	s_mov_b32 s95, -1
	s_cselect_b32 s30, -1, 0
	s_cmp_gt_i32 s93, 0x270e
	s_cbranch_scc0 .LBB4_666
; %bb.665:                              ;   in Loop: Header=BB4_663 Depth=4
	s_trap 2
	ds_load_b64 v[10:11], v0
	s_and_not1_b32 s93, s30, exec_lo
	s_mov_b32 vcc_hi, 0
	s_wait_storecnt 0x0
	s_wait_loadcnt_dscnt 0x0
	flat_load_b32 v10, v[10:11] scope:SCOPE_SYS
	s_wait_loadcnt_dscnt 0x0
	global_inv scope:SCOPE_SYS
	v_cmp_eq_u32_e64 s13, 0, v10
	s_and_b32 s13, s13, exec_lo
	s_delay_alu instid0(SALU_CYCLE_1)
	s_or_b32 s30, s93, s13
	s_mov_b32 s93, 0
	s_and_saveexec_b32 s31, s30
	s_cbranch_execz .LBB4_661
	s_branch .LBB4_660
.LBB4_666:                              ;   in Loop: Header=BB4_663 Depth=4
	s_add_co_i32 s93, s93, 1
	s_mov_b32 vcc_hi, -1
                                        ; implicit-def: $vgpr10
	s_and_saveexec_b32 s31, s30
	s_cbranch_execz .LBB4_661
	s_branch .LBB4_660
.LBB4_667:                              ;   in Loop: Header=BB4_655 Depth=3
	s_or_b32 exec_lo, exec_lo, s40
	s_xor_b32 s13, s41, -1
	s_delay_alu instid0(SALU_CYCLE_1) | instskip(NEXT) | instid1(SALU_CYCLE_1)
	s_and_saveexec_b32 s40, s13
	s_xor_b32 s13, exec_lo, s40
	s_cbranch_execz .LBB4_669
; %bb.668:                              ;   in Loop: Header=BB4_655 Depth=3
	v_or_b32_e32 v30, 64, v30
	s_wait_storecnt 0x0
	s_wait_loadcnt_dscnt 0x0
	ds_store_b32 v0, v10
	s_trap 2
.LBB4_669:                              ;   in Loop: Header=BB4_655 Depth=3
	s_or_b32 exec_lo, exec_lo, s13
.LBB4_670:                              ;   in Loop: Header=BB4_655 Depth=3
	s_delay_alu instid0(SALU_CYCLE_1) | instskip(SKIP_2) | instid1(VALU_DEP_1)
	s_or_b32 exec_lo, exec_lo, s15
	v_and_b32_e32 v10, 0x108, v30
	;;#ASMSTART
	s_wakeup
	;;#ASMEND
	v_cmp_ne_u32_e32 vcc_lo, 0x108, v10
                                        ; implicit-def: $vgpr10_vgpr11
	s_and_saveexec_b32 s13, vcc_lo
	s_delay_alu instid0(SALU_CYCLE_1)
	s_xor_b32 s13, exec_lo, s13
; %bb.671:                              ;   in Loop: Header=BB4_655 Depth=3
	v_dual_mov_b32 v11, v3 :: v_dual_bitop2_b32 v10, 7, v114 bitop3:0x40
                                        ; implicit-def: $vgpr114_vgpr115
; %bb.672:                              ;   in Loop: Header=BB4_655 Depth=3
	s_and_not1_saveexec_b32 s13, s13
	s_cbranch_execz .LBB4_674
; %bb.673:                              ;   in Loop: Header=BB4_655 Depth=3
	v_dual_ashrrev_i32 v13, 31, v12 :: v_dual_bitop2_b32 v10, 7, v114 bitop3:0x40
	v_mov_b32_e32 v11, v3
	s_delay_alu instid0(VALU_DEP_2) | instskip(NEXT) | instid1(VALU_DEP_3)
	v_mad_nc_u64_u32 v[18:19], v10, 24, v[6:7]
	v_lshlrev_b64_e32 v[20:21], 1, v[12:13]
	flat_store_b64 v[18:19], v[20:21] offset:8
.LBB4_674:                              ;   in Loop: Header=BB4_655 Depth=3
	s_wait_xcnt 0x0
	s_or_b32 exec_lo, exec_lo, s13
	v_and_b32_e32 v13, 0x100, v30
	s_mov_b32 s13, -1
	s_mov_b32 s15, exec_lo
                                        ; implicit-def: $vgpr18_vgpr19
	s_delay_alu instid0(VALU_DEP_1)
	v_cmpx_ne_u32_e32 0, v13
	s_cbranch_execz .LBB4_678
; %bb.675:                              ;   in Loop: Header=BB4_655 Depth=3
	v_mad_nc_u64_u32 v[20:21], v10, 24, v[6:7]
	s_mov_b32 s40, exec_lo
                                        ; implicit-def: $vgpr18_vgpr19
	s_delay_alu instid0(VALU_DEP_1)
	v_mad_u32 v21, v11, 24, v21
	flat_load_b32 v13, v[20:21]
	s_wait_loadcnt_dscnt 0x0
	v_cmp_ne_u32_e32 vcc_lo, 1, v13
	s_wait_xcnt 0x0
	v_cmpx_eq_u32_e32 1, v13
	s_cbranch_execz .LBB4_677
; %bb.676:                              ;   in Loop: Header=BB4_655 Depth=3
	flat_load_b32 v18, v[20:21] offset:4 scope:SCOPE_SYS
	s_wait_loadcnt_dscnt 0x0
	v_ashrrev_i32_e32 v19, 31, v18
	s_delay_alu instid0(VALU_DEP_1)
	v_lshrrev_b64 v[18:19], 1, v[18:19]
.LBB4_677:                              ;   in Loop: Header=BB4_655 Depth=3
	s_wait_xcnt 0x0
	s_or_b32 exec_lo, exec_lo, s40
	s_delay_alu instid0(SALU_CYCLE_1)
	s_or_not1_b32 s13, vcc_lo, exec_lo
.LBB4_678:                              ;   in Loop: Header=BB4_655 Depth=3
	s_or_b32 exec_lo, exec_lo, s15
	s_and_saveexec_b32 s15, s13
; %bb.679:                              ;   in Loop: Header=BB4_655 Depth=3
	v_mul_u64_e32 v[18:19], v[10:11], v[34:35]
; %bb.680:                              ;   in Loop: Header=BB4_655 Depth=3
	s_or_b32 exec_lo, exec_lo, s15
	v_cmp_eq_u32_e32 vcc_lo, 0, v2
	v_and_b32_e32 v13, 0x2000, v30
	s_delay_alu instid0(VALU_DEP_3) | instskip(SKIP_2) | instid1(VALU_DEP_1)
	v_lshl_add_u64 v[10:11], v[18:19], 1, v[36:37]
	s_mov_b32 s13, exec_lo
	v_cndmask_b32_e32 v2, 0xc8, v76, vcc_lo
	v_add_nc_u32_e32 v2, v0, v2
	ds_store_b64 v2, v[10:11] offset:584
	v_cmpx_ne_u32_e32 0, v13
	s_cbranch_execz .LBB4_682
; %bb.681:                              ;   in Loop: Header=BB4_655 Depth=3
	ds_load_b64 v[10:11], v0 offset:872
	s_wait_dscnt 0x0
	v_add_nc_u64_e32 v[10:11], 1, v[10:11]
	ds_store_b64 v0, v[10:11] offset:872
.LBB4_682:                              ;   in Loop: Header=BB4_655 Depth=3
	s_or_b32 exec_lo, exec_lo, s13
	v_mov_b64_e32 v[114:115], v[8:9]
.LBB4_683:                              ;   in Loop: Header=BB4_655 Depth=3
	s_or_b32 exec_lo, exec_lo, s14
	s_and_saveexec_b32 s13, s2
	s_cbranch_execz .LBB4_702
; %bb.684:                              ;   in Loop: Header=BB4_655 Depth=3
	s_and_saveexec_b32 s14, s3
	s_delay_alu instid0(SALU_CYCLE_1)
	s_xor_b32 s14, exec_lo, s14
	s_cbranch_execz .LBB4_699
; %bb.685:                              ;   in Loop: Header=BB4_655 Depth=3
	s_and_saveexec_b32 s15, s6
	s_cbranch_execz .LBB4_698
; %bb.686:                              ;   in Loop: Header=BB4_655 Depth=3
	s_mov_b32 s41, exec_lo
	s_mov_b32 s40, exec_lo
	v_mbcnt_lo_u32_b32 v2, s41, 0
	global_wb scope:SCOPE_DEV
	s_wait_storecnt 0x0
	s_wait_loadcnt_dscnt 0x0
	global_inv scope:SCOPE_DEV
	v_cmpx_eq_u32_e32 0, v2
	s_cbranch_execz .LBB4_688
; %bb.687:                              ;   in Loop: Header=BB4_655 Depth=3
	s_bcnt1_i32_b32 s41, s41
	s_delay_alu instid0(SALU_CYCLE_1)
	v_mov_b32_e32 v2, s41
	s_wait_loadcnt 0x0
	ds_add_u64 v0, v[2:3]
	s_trap 2
.LBB4_688:                              ;   in Loop: Header=BB4_655 Depth=3
	s_or_b32 exec_lo, exec_lo, s40
	s_trap 2
	ds_load_b64 v[8:9], v0
	s_wait_dscnt 0x0
	v_add_nc_u64_e32 v[48:49], v[48:49], v[52:53]
	s_mov_b32 s40, exec_lo
	s_delay_alu instid0(VALU_DEP_1)
	v_cmpx_lt_u64_e64 v[8:9], v[48:49]
	s_cbranch_execz .LBB4_697
; %bb.689:                              ;   in Loop: Header=BB4_655 Depth=3
	s_mov_b32 s41, 0
	s_mov_b32 s93, 0
                                        ; implicit-def: $sgpr91
                                        ; implicit-def: $sgpr92
	s_branch .LBB4_691
.LBB4_690:                              ;   in Loop: Header=BB4_691 Depth=4
	s_or_b32 exec_lo, exec_lo, s95
	s_delay_alu instid0(SALU_CYCLE_1) | instskip(NEXT) | instid1(SALU_CYCLE_1)
	s_and_b32 s94, exec_lo, vcc_lo
	s_or_b32 s41, s94, s41
	s_and_not1_b32 s91, s91, exec_lo
	s_and_b32 s94, s92, exec_lo
	s_delay_alu instid0(SALU_CYCLE_1)
	s_or_b32 s91, s91, s94
	s_and_not1_b32 exec_lo, exec_lo, s41
	s_cbranch_execz .LBB4_695
.LBB4_691:                              ;   Parent Loop BB4_47 Depth=1
                                        ;     Parent Loop BB4_652 Depth=2
                                        ;       Parent Loop BB4_655 Depth=3
                                        ; =>      This Inner Loop Header: Depth=4
	s_add_co_i32 s93, s93, 1
	s_delay_alu instid0(SALU_CYCLE_1) | instskip(SKIP_1) | instid1(SALU_CYCLE_1)
	s_cmp_lg_u32 s93, 0x2710
	s_cselect_b32 s94, -1, 0
	s_and_b32 vcc_lo, exec_lo, s94
	s_cbranch_vccz .LBB4_693
; %bb.692:                              ;   in Loop: Header=BB4_691 Depth=4
	s_mov_b32 vcc_lo, -1
	s_or_b32 s92, s92, exec_lo
	s_and_saveexec_b32 s95, s94
	s_cbranch_execz .LBB4_690
	s_branch .LBB4_694
.LBB4_693:                              ;   in Loop: Header=BB4_691 Depth=4
	s_trap 2
	ds_load_b64 v[8:9], v0
	s_and_not1_b32 s94, s94, exec_lo
	s_mov_b32 s93, 0
	s_wait_loadcnt_dscnt 0x0
	flat_load_b32 v2, v[8:9] scope:SCOPE_SYS
	s_wait_loadcnt_dscnt 0x0
	global_inv scope:SCOPE_SYS
	v_cmp_eq_u32_e32 vcc_lo, 0, v2
	s_and_b32 s95, vcc_lo, exec_lo
	s_delay_alu instid0(SALU_CYCLE_1)
	s_or_b32 s94, s94, s95
	s_mov_b32 vcc_lo, -1
	s_or_b32 s92, s92, exec_lo
	s_and_saveexec_b32 s95, s94
	s_cbranch_execz .LBB4_690
.LBB4_694:                              ;   in Loop: Header=BB4_691 Depth=4
	s_sleep 1
	s_trap 2
	ds_load_b64 v[8:9], v0
	s_wait_dscnt 0x0
	s_and_not1_b32 s92, s92, exec_lo
	v_cmp_ge_u64_e32 vcc_lo, v[8:9], v[48:49]
	s_or_not1_b32 vcc_lo, vcc_lo, exec_lo
	s_branch .LBB4_690
.LBB4_695:                              ;   in Loop: Header=BB4_655 Depth=3
	s_or_b32 exec_lo, exec_lo, s41
	s_and_saveexec_b32 s41, s91
	s_delay_alu instid0(SALU_CYCLE_1)
	s_xor_b32 s41, exec_lo, s41
	s_cbranch_execz .LBB4_697
; %bb.696:                              ;   in Loop: Header=BB4_655 Depth=3
	ds_store_b32 v0, v75
	s_trap 2
.LBB4_697:                              ;   in Loop: Header=BB4_655 Depth=3
	s_or_b32 exec_lo, exec_lo, s40
	;;#ASMSTART
	s_wakeup
	;;#ASMEND
.LBB4_698:                              ;   in Loop: Header=BB4_655 Depth=3
	s_or_b32 exec_lo, exec_lo, s15
.LBB4_699:                              ;   in Loop: Header=BB4_655 Depth=3
	s_and_not1_saveexec_b32 s14, s14
	s_cbranch_execz .LBB4_701
; %bb.700:                              ;   in Loop: Header=BB4_655 Depth=3
	global_wb scope:SCOPE_DEV
	s_wait_storecnt 0x0
	s_wait_loadcnt_dscnt 0x0
	global_inv scope:SCOPE_DEV
	s_barrier_signal -1
	s_barrier_wait -1
.LBB4_701:                              ;   in Loop: Header=BB4_655 Depth=3
	s_or_b32 exec_lo, exec_lo, s14
.LBB4_702:                              ;   in Loop: Header=BB4_655 Depth=3
	s_delay_alu instid0(SALU_CYCLE_1) | instskip(SKIP_4) | instid1(VALU_DEP_1)
	s_or_b32 exec_lo, exec_lo, s13
	s_trap 2
	ds_load_b32 v8, v0
	v_and_b32_e32 v2, 0x4000, v30
	s_xor_b32 s13, s1, -1
	v_cmp_ne_u32_e32 vcc_lo, 0, v2
	s_and_b32 s14, s13, vcc_lo
	s_delay_alu instid0(SALU_CYCLE_1)
	s_and_saveexec_b32 s13, s14
	s_cbranch_execz .LBB4_721
; %bb.703:                              ;   in Loop: Header=BB4_655 Depth=3
	s_and_saveexec_b32 s14, s3
	s_delay_alu instid0(SALU_CYCLE_1)
	s_xor_b32 s14, exec_lo, s14
	s_cbranch_execz .LBB4_718
; %bb.704:                              ;   in Loop: Header=BB4_655 Depth=3
	s_and_saveexec_b32 s15, s6
	s_cbranch_execz .LBB4_717
; %bb.705:                              ;   in Loop: Header=BB4_655 Depth=3
	s_mov_b32 s41, exec_lo
	s_mov_b32 s40, exec_lo
	v_mbcnt_lo_u32_b32 v2, s41, 0
	global_wb scope:SCOPE_DEV
	s_wait_storecnt 0x0
	s_wait_loadcnt_dscnt 0x0
	global_inv scope:SCOPE_DEV
	v_cmpx_eq_u32_e32 0, v2
	s_cbranch_execz .LBB4_707
; %bb.706:                              ;   in Loop: Header=BB4_655 Depth=3
	s_bcnt1_i32_b32 s41, s41
	s_delay_alu instid0(SALU_CYCLE_1)
	v_mov_b32_e32 v2, s41
	s_wait_loadcnt 0x0
	ds_add_u64 v0, v[2:3]
	s_trap 2
.LBB4_707:                              ;   in Loop: Header=BB4_655 Depth=3
	s_or_b32 exec_lo, exec_lo, s40
	s_trap 2
	ds_load_b64 v[10:11], v0
	s_wait_dscnt 0x0
	v_add_nc_u64_e32 v[48:49], v[48:49], v[52:53]
	s_mov_b32 s40, exec_lo
	s_delay_alu instid0(VALU_DEP_1)
	v_cmpx_lt_u64_e64 v[10:11], v[48:49]
	s_cbranch_execz .LBB4_716
; %bb.708:                              ;   in Loop: Header=BB4_655 Depth=3
	s_mov_b32 s41, 0
	s_mov_b32 s93, 0
                                        ; implicit-def: $sgpr91
                                        ; implicit-def: $sgpr92
	s_branch .LBB4_710
.LBB4_709:                              ;   in Loop: Header=BB4_710 Depth=4
	s_or_b32 exec_lo, exec_lo, s95
	s_delay_alu instid0(SALU_CYCLE_1) | instskip(NEXT) | instid1(SALU_CYCLE_1)
	s_and_b32 s94, exec_lo, vcc_lo
	s_or_b32 s41, s94, s41
	s_and_not1_b32 s91, s91, exec_lo
	s_and_b32 s94, s92, exec_lo
	s_delay_alu instid0(SALU_CYCLE_1)
	s_or_b32 s91, s91, s94
	s_and_not1_b32 exec_lo, exec_lo, s41
	s_cbranch_execz .LBB4_714
.LBB4_710:                              ;   Parent Loop BB4_47 Depth=1
                                        ;     Parent Loop BB4_652 Depth=2
                                        ;       Parent Loop BB4_655 Depth=3
                                        ; =>      This Inner Loop Header: Depth=4
	s_add_co_i32 s93, s93, 1
	s_delay_alu instid0(SALU_CYCLE_1) | instskip(SKIP_1) | instid1(SALU_CYCLE_1)
	s_cmp_lg_u32 s93, 0x2710
	s_cselect_b32 s94, -1, 0
	s_and_b32 vcc_lo, exec_lo, s94
	s_cbranch_vccz .LBB4_712
; %bb.711:                              ;   in Loop: Header=BB4_710 Depth=4
	s_mov_b32 vcc_lo, -1
	s_or_b32 s92, s92, exec_lo
	s_and_saveexec_b32 s95, s94
	s_cbranch_execz .LBB4_709
	s_branch .LBB4_713
.LBB4_712:                              ;   in Loop: Header=BB4_710 Depth=4
	s_trap 2
	ds_load_b64 v[10:11], v0
	s_and_not1_b32 s94, s94, exec_lo
	s_mov_b32 s93, 0
	s_wait_loadcnt_dscnt 0x0
	flat_load_b32 v2, v[10:11] scope:SCOPE_SYS
	s_wait_loadcnt_dscnt 0x0
	global_inv scope:SCOPE_SYS
	v_cmp_eq_u32_e32 vcc_lo, 0, v2
	s_and_b32 s95, vcc_lo, exec_lo
	s_delay_alu instid0(SALU_CYCLE_1)
	s_or_b32 s94, s94, s95
	s_mov_b32 vcc_lo, -1
	s_or_b32 s92, s92, exec_lo
	s_and_saveexec_b32 s95, s94
	s_cbranch_execz .LBB4_709
.LBB4_713:                              ;   in Loop: Header=BB4_710 Depth=4
	s_sleep 1
	s_trap 2
	ds_load_b64 v[10:11], v0
	s_wait_dscnt 0x0
	s_and_not1_b32 s92, s92, exec_lo
	v_cmp_ge_u64_e32 vcc_lo, v[10:11], v[48:49]
	s_or_not1_b32 vcc_lo, vcc_lo, exec_lo
	s_branch .LBB4_709
.LBB4_714:                              ;   in Loop: Header=BB4_655 Depth=3
	s_or_b32 exec_lo, exec_lo, s41
	s_and_saveexec_b32 s41, s91
	s_delay_alu instid0(SALU_CYCLE_1)
	s_xor_b32 s41, exec_lo, s41
	s_cbranch_execz .LBB4_716
; %bb.715:                              ;   in Loop: Header=BB4_655 Depth=3
	ds_store_b32 v0, v75
	s_trap 2
.LBB4_716:                              ;   in Loop: Header=BB4_655 Depth=3
	s_or_b32 exec_lo, exec_lo, s40
	;;#ASMSTART
	s_wakeup
	;;#ASMEND
.LBB4_717:                              ;   in Loop: Header=BB4_655 Depth=3
	s_or_b32 exec_lo, exec_lo, s15
.LBB4_718:                              ;   in Loop: Header=BB4_655 Depth=3
	s_and_not1_saveexec_b32 s14, s14
	s_cbranch_execz .LBB4_720
; %bb.719:                              ;   in Loop: Header=BB4_655 Depth=3
	global_wb scope:SCOPE_DEV
	s_wait_storecnt 0x0
	s_wait_loadcnt_dscnt 0x0
	global_inv scope:SCOPE_DEV
	s_barrier_signal -1
	s_barrier_wait -1
.LBB4_720:                              ;   in Loop: Header=BB4_655 Depth=3
	s_or_b32 exec_lo, exec_lo, s14
.LBB4_721:                              ;   in Loop: Header=BB4_655 Depth=3
	s_delay_alu instid0(SALU_CYCLE_1)
	s_or_b32 exec_lo, exec_lo, s13
	s_trap 2
	ds_load_b64 v[18:19], v0
	s_wait_dscnt 0x0
	v_cmp_eq_u64_e32 vcc_lo, 0, v[18:19]
	s_cbranch_vccnz .LBB4_729
; %bb.722:                              ;   in Loop: Header=BB4_655 Depth=3
	s_trap 2
	ds_load_b64 v[20:21], v0
	s_wait_dscnt 0x0
	v_cmp_eq_u64_e32 vcc_lo, 0, v[20:21]
	s_cbranch_vccnz .LBB4_729
; %bb.723:                              ;   in Loop: Header=BB4_655 Depth=3
	s_mov_b32 s13, -1
	s_and_saveexec_b32 s14, s11
	s_cbranch_execz .LBB4_725
; %bb.724:                              ;   in Loop: Header=BB4_655 Depth=3
	ds_load_b32 v2, v0 offset:720
	s_wait_dscnt 0x0
	v_and_b32_e32 v2, 15, v2
	s_delay_alu instid0(VALU_DEP_1)
	v_cmp_eq_u32_e32 vcc_lo, 0, v2
	s_or_not1_b32 s13, vcc_lo, exec_lo
.LBB4_725:                              ;   in Loop: Header=BB4_655 Depth=3
	s_or_b32 exec_lo, exec_lo, s14
	s_and_saveexec_b32 s14, s10
	s_cbranch_execz .LBB4_727
; %bb.726:                              ;   in Loop: Header=BB4_655 Depth=3
	ds_load_b32 v2, v0 offset:784
	s_wait_dscnt 0x0
	v_and_b32_e32 v2, 15, v2
	s_delay_alu instid0(VALU_DEP_1) | instskip(SKIP_3) | instid1(SALU_CYCLE_1)
	v_cmp_eq_u32_e32 vcc_lo, 0, v2
	s_and_b32 s15, s13, vcc_lo
	s_and_not1_b32 s13, s13, exec_lo
	s_and_b32 s15, s15, exec_lo
	s_or_b32 s13, s13, s15
.LBB4_727:                              ;   in Loop: Header=BB4_655 Depth=3
	s_or_b32 exec_lo, exec_lo, s14
	s_xor_b32 s13, s13, -1
	s_mov_b32 s14, -1
	v_cndmask_b32_e64 v2, 0, 1, s13
	v_cmp_eq_u32_e64 s13, 0, v8
	s_delay_alu instid0(VALU_DEP_2)
	v_cmp_ne_u32_e32 vcc_lo, 0, v2
	s_cbranch_vccz .LBB4_734
; %bb.728:                              ;   in Loop: Header=BB4_655 Depth=3
	s_mov_b32 s14, 0
	s_mov_b32 s91, -1
	s_branch .LBB4_735
.LBB4_729:                              ;   in Loop: Header=BB4_655 Depth=3
	s_mov_b32 s13, 0
	s_and_saveexec_b32 s14, s2
	s_cbranch_execnz .LBB4_1300
.LBB4_730:                              ;   in Loop: Header=BB4_655 Depth=3
	s_or_b32 exec_lo, exec_lo, s14
                                        ; implicit-def: $vgpr2
	s_and_saveexec_b32 s14, s12
	s_delay_alu instid0(SALU_CYCLE_1)
	s_xor_b32 s14, exec_lo, s14
	s_cbranch_execz .LBB4_1318
.LBB4_731:                              ;   in Loop: Header=BB4_655 Depth=3
	v_and_b32_e32 v2, 16, v30
	s_delay_alu instid0(VALU_DEP_1) | instskip(SKIP_2) | instid1(SALU_CYCLE_1)
	v_cmp_ne_u32_e32 vcc_lo, 0, v2
	v_and_b32_e32 v2, 16, v30
	s_and_b32 s15, vcc_lo, s13
	s_and_saveexec_b32 s13, s15
	s_cbranch_execz .LBB4_733
; %bb.732:                              ;   in Loop: Header=BB4_655 Depth=3
	v_mov_b32_e32 v2, 1
	global_wb scope:SCOPE_SYS
	s_wait_storecnt 0x0
	s_wait_loadcnt_dscnt 0x0
	global_inv scope:SCOPE_SYS
.LBB4_733:                              ;   in Loop: Header=BB4_655 Depth=3
	s_or_b32 exec_lo, exec_lo, s13
	s_and_not1_saveexec_b32 s13, s14
	s_cbranch_execz .LBB4_1337
	s_branch .LBB4_1319
.LBB4_734:                              ;   in Loop: Header=BB4_655 Depth=3
	s_mov_b32 s91, 0
.LBB4_735:                              ;   in Loop: Header=BB4_655 Depth=3
	v_dual_cndmask_b32 v2, 0, v12, s13 :: v_dual_mov_b32 v44, 0
	s_and_not1_b32 vcc_lo, exec_lo, s14
	s_delay_alu instid0(VALU_DEP_1)
	v_lshlrev_b32_e32 v13, 1, v2
	s_cbranch_vccnz .LBB4_876
; %bb.736:                              ;   in Loop: Header=BB4_655 Depth=3
	s_delay_alu instid0(VALU_DEP_1)
	v_dual_ashrrev_i32 v8, 31, v13 :: v_dual_sub_nc_u32 v15, v13, v64
	s_trap 2
	ds_load_b64 v[22:23], v0
	v_add_nc_u64_e32 v[40:41], v[20:21], v[64:65]
	v_lshrrev_b32_e32 v8, 23, v8
	s_mov_b32 s15, 0
	s_mov_b32 s92, exec_lo
	s_delay_alu instid0(VALU_DEP_1) | instskip(NEXT) | instid1(VALU_DEP_1)
	v_add_nc_u32_e32 v8, v13, v8
	v_and_b32_e32 v57, 0xfffffe00, v8
	s_delay_alu instid0(VALU_DEP_1) | instskip(NEXT) | instid1(VALU_DEP_1)
	v_dual_ashrrev_i32 v8, 9, v8 :: v_dual_sub_nc_u32 v58, v13, v57
	v_sub_nc_u32_e32 v8, v8, v74
	s_delay_alu instid0(VALU_DEP_2) | instskip(NEXT) | instid1(VALU_DEP_1)
	v_cmp_lt_i32_e64 s13, 15, v58
	v_add_co_ci_u32_e64 v59, null, 0, v8, s13
	v_cmpx_lt_i32_e32 15, v15
	s_cbranch_execz .LBB4_878
; %bb.737:                              ;   in Loop: Header=BB4_655 Depth=3
	s_trap 2
	ds_load_b32 v8, v0
	v_add_nc_u64_e32 v[42:43], v[18:19], v[64:65]
	s_wait_dscnt 0x1
	v_add_nc_u64_e32 v[44:45], v[22:23], v[64:65]
	s_mov_b32 s95, 0
	s_mov_b32 s93, 0
                                        ; implicit-def: $sgpr94
	s_wait_dscnt 0x0
	v_lshlrev_b32_e32 v60, 16, v8
	s_branch .LBB4_739
.LBB4_738:                              ;   in Loop: Header=BB4_739 Depth=4
	s_or_b32 exec_lo, exec_lo, s14
	s_delay_alu instid0(VALU_DEP_2) | instskip(SKIP_3) | instid1(SALU_CYCLE_1)
	v_cmp_gt_i32_e32 vcc_lo, 16, v15
	s_or_b32 s93, vcc_lo, s93
	s_and_not1_b32 s14, s94, exec_lo
	s_and_b32 s15, s95, exec_lo
	s_or_b32 s94, s14, s15
	s_and_not1_b32 exec_lo, exec_lo, s93
	s_cbranch_execz .LBB4_877
.LBB4_739:                              ;   Parent Loop BB4_47 Depth=1
                                        ;     Parent Loop BB4_652 Depth=2
                                        ;       Parent Loop BB4_655 Depth=3
                                        ; =>      This Loop Header: Depth=4
                                        ;           Child Loop BB4_740 Depth 5
                                        ;           Child Loop BB4_809 Depth 5
	s_add_co_i32 s14, s33, 0xa0
	s_mov_b64 s[40:41], 0
	s_mov_b32 vcc_hi, s14
	s_mov_b32 s30, -1
.LBB4_740:                              ;   Parent Loop BB4_47 Depth=1
                                        ;     Parent Loop BB4_652 Depth=2
                                        ;       Parent Loop BB4_655 Depth=3
                                        ;         Parent Loop BB4_739 Depth=4
                                        ; =>        This Inner Loop Header: Depth=5
	s_cmp_eq_u32 s40, 1
	s_cselect_b32 vcc_lo, -1, 0
	s_cmp_eq_u32 s40, 0
	v_dual_cndmask_b32 v47, v43, v45 :: v_dual_cndmask_b32 v46, v42, v44
	s_cselect_b32 s14, -1, 0
	s_and_b32 s15, exec_lo, s30
	s_mov_b64 s[40:41], 1
	s_mov_b32 s30, 0
	global_load_b128 v[8:11], v[46:47], off th:TH_LOAD_NT
	s_wait_xcnt 0x0
	v_add_nc_u64_e32 v[46:47], 0x200, v[46:47]
	s_delay_alu instid0(VALU_DEP_1)
	v_dual_cndmask_b32 v43, v43, v47, s14 :: v_dual_cndmask_b32 v42, v42, v46, s14
	v_dual_cndmask_b32 v45, v45, v47 :: v_dual_cndmask_b32 v44, v44, v46
	s_mov_b32 vcc_lo, s15
	s_wait_loadcnt 0x0
	scratch_store_b128 off, v[8:11], vcc_hi
	s_wait_xcnt 0x0
	s_mov_b32 vcc_hi, s56
	s_cbranch_vccnz .LBB4_740
; %bb.741:                              ;   in Loop: Header=BB4_739 Depth=4
	s_and_saveexec_b32 s14, s95
	s_cbranch_execz .LBB4_807
; %bb.742:                              ;   in Loop: Header=BB4_739 Depth=4
	scratch_load_b128 v[8:11], off, s33 offset:192
	s_wait_loadcnt 0x0
	v_lshlrev_b32_e32 v46, 16, v8
	s_delay_alu instid0(VALU_DEP_1) | instskip(NEXT) | instid1(VALU_DEP_1)
	v_mul_f32_e32 v46, v60, v46
	v_and_b32_e32 v47, 0x7f800000, v46
	s_delay_alu instid0(VALU_DEP_1) | instskip(SKIP_2) | instid1(SALU_CYCLE_1)
	v_cmp_ne_u32_e32 vcc_lo, 0x7f800000, v47
                                        ; implicit-def: $vgpr47
	s_wait_xcnt 0x0
	s_and_saveexec_b32 s15, vcc_lo
	s_xor_b32 s15, exec_lo, s15
; %bb.743:                              ;   in Loop: Header=BB4_739 Depth=4
	v_bfe_u32 v47, v46, 16, 1
	s_delay_alu instid0(VALU_DEP_1)
	v_add3_u32 v47, v46, v47, 0x7fff
                                        ; implicit-def: $vgpr46
; %bb.744:                              ;   in Loop: Header=BB4_739 Depth=4
	s_and_not1_saveexec_b32 s15, s15
; %bb.745:                              ;   in Loop: Header=BB4_739 Depth=4
	v_and_b32_e32 v47, 0xffff, v46
	v_or_b32_e32 v61, 0x10000, v46
	s_delay_alu instid0(VALU_DEP_2) | instskip(NEXT) | instid1(VALU_DEP_2)
	v_cmp_eq_u32_e32 vcc_lo, 0, v47
	v_cndmask_b32_e32 v47, v61, v46, vcc_lo
; %bb.746:                              ;   in Loop: Header=BB4_739 Depth=4
	s_or_b32 exec_lo, exec_lo, s15
	v_and_b32_e32 v8, 0xffff0000, v8
	s_delay_alu instid0(VALU_DEP_1) | instskip(NEXT) | instid1(VALU_DEP_1)
	v_mul_f32_e32 v8, v60, v8
	v_and_b32_e32 v46, 0x7f800000, v8
	s_delay_alu instid0(VALU_DEP_1) | instskip(SKIP_1) | instid1(SALU_CYCLE_1)
	v_cmp_ne_u32_e32 vcc_lo, 0x7f800000, v46
                                        ; implicit-def: $vgpr46
	s_and_saveexec_b32 s15, vcc_lo
	s_xor_b32 s15, exec_lo, s15
; %bb.747:                              ;   in Loop: Header=BB4_739 Depth=4
	v_bfe_u32 v46, v8, 16, 1
	s_delay_alu instid0(VALU_DEP_1)
	v_add3_u32 v46, v8, v46, 0x7fff
                                        ; implicit-def: $vgpr8
; %bb.748:                              ;   in Loop: Header=BB4_739 Depth=4
	s_and_not1_saveexec_b32 s15, s15
; %bb.749:                              ;   in Loop: Header=BB4_739 Depth=4
	v_and_b32_e32 v46, 0xffff, v8
	v_or_b32_e32 v61, 0x10000, v8
	s_delay_alu instid0(VALU_DEP_2) | instskip(NEXT) | instid1(VALU_DEP_2)
	v_cmp_eq_u32_e32 vcc_lo, 0, v46
	v_cndmask_b32_e32 v46, v61, v8, vcc_lo
; %bb.750:                              ;   in Loop: Header=BB4_739 Depth=4
	s_or_b32 exec_lo, exec_lo, s15
	v_lshlrev_b32_e32 v8, 16, v9
	s_mov_b32 s15, exec_lo
                                        ; implicit-def: $vgpr91
	s_delay_alu instid0(VALU_DEP_1) | instskip(NEXT) | instid1(VALU_DEP_1)
	v_mul_f32_e32 v8, v60, v8
	v_and_b32_e32 v61, 0x7f800000, v8
	s_delay_alu instid0(VALU_DEP_1)
	v_cmpx_ne_u32_e32 0x7f800000, v61
	s_xor_b32 s15, exec_lo, s15
; %bb.751:                              ;   in Loop: Header=BB4_739 Depth=4
	v_bfe_u32 v61, v8, 16, 1
	s_delay_alu instid0(VALU_DEP_1)
	v_add3_u32 v91, v8, v61, 0x7fff
                                        ; implicit-def: $vgpr8
; %bb.752:                              ;   in Loop: Header=BB4_739 Depth=4
	s_and_not1_saveexec_b32 s15, s15
; %bb.753:                              ;   in Loop: Header=BB4_739 Depth=4
	v_and_b32_e32 v61, 0xffff, v8
	v_or_b32_e32 v62, 0x10000, v8
	s_delay_alu instid0(VALU_DEP_2) | instskip(NEXT) | instid1(VALU_DEP_2)
	v_cmp_eq_u32_e32 vcc_lo, 0, v61
	v_cndmask_b32_e32 v91, v62, v8, vcc_lo
; %bb.754:                              ;   in Loop: Header=BB4_739 Depth=4
	s_or_b32 exec_lo, exec_lo, s15
	v_and_b32_e32 v8, 0xffff0000, v9
	s_mov_b32 s15, exec_lo
                                        ; implicit-def: $vgpr89
	s_delay_alu instid0(VALU_DEP_1) | instskip(NEXT) | instid1(VALU_DEP_1)
	v_mul_f32_e32 v8, v60, v8
	v_and_b32_e32 v9, 0x7f800000, v8
	s_delay_alu instid0(VALU_DEP_1)
	v_cmpx_ne_u32_e32 0x7f800000, v9
	s_xor_b32 s15, exec_lo, s15
; %bb.755:                              ;   in Loop: Header=BB4_739 Depth=4
	v_bfe_u32 v9, v8, 16, 1
	s_delay_alu instid0(VALU_DEP_1)
	v_add3_u32 v89, v8, v9, 0x7fff
                                        ; implicit-def: $vgpr8
; %bb.756:                              ;   in Loop: Header=BB4_739 Depth=4
	s_and_not1_saveexec_b32 s15, s15
; %bb.757:                              ;   in Loop: Header=BB4_739 Depth=4
	v_and_b32_e32 v9, 0xffff, v8
	v_or_b32_e32 v61, 0x10000, v8
	s_delay_alu instid0(VALU_DEP_2) | instskip(NEXT) | instid1(VALU_DEP_2)
	v_cmp_eq_u32_e32 vcc_lo, 0, v9
	v_cndmask_b32_e32 v89, v61, v8, vcc_lo
; %bb.758:                              ;   in Loop: Header=BB4_739 Depth=4
	s_or_b32 exec_lo, exec_lo, s15
	v_lshlrev_b32_e32 v8, 16, v10
	s_mov_b32 s15, exec_lo
                                        ; implicit-def: $vgpr90
	s_delay_alu instid0(VALU_DEP_1) | instskip(NEXT) | instid1(VALU_DEP_1)
	v_mul_f32_e32 v8, v60, v8
	v_and_b32_e32 v9, 0x7f800000, v8
	s_delay_alu instid0(VALU_DEP_1)
	v_cmpx_ne_u32_e32 0x7f800000, v9
	s_xor_b32 s15, exec_lo, s15
; %bb.759:                              ;   in Loop: Header=BB4_739 Depth=4
	v_bfe_u32 v9, v8, 16, 1
	s_delay_alu instid0(VALU_DEP_1)
	v_add3_u32 v90, v8, v9, 0x7fff
                                        ; implicit-def: $vgpr8
; %bb.760:                              ;   in Loop: Header=BB4_739 Depth=4
	s_and_not1_saveexec_b32 s15, s15
; %bb.761:                              ;   in Loop: Header=BB4_739 Depth=4
	v_and_b32_e32 v9, 0xffff, v8
	v_or_b32_e32 v61, 0x10000, v8
	s_delay_alu instid0(VALU_DEP_2) | instskip(NEXT) | instid1(VALU_DEP_2)
	v_cmp_eq_u32_e32 vcc_lo, 0, v9
	v_cndmask_b32_e32 v90, v61, v8, vcc_lo
; %bb.762:                              ;   in Loop: Header=BB4_739 Depth=4
	s_or_b32 exec_lo, exec_lo, s15
	v_and_b32_e32 v8, 0xffff0000, v10
	s_mov_b32 s15, exec_lo
                                        ; implicit-def: $vgpr63
	s_delay_alu instid0(VALU_DEP_1) | instskip(NEXT) | instid1(VALU_DEP_1)
	v_mul_f32_e32 v8, v60, v8
	v_and_b32_e32 v9, 0x7f800000, v8
	s_delay_alu instid0(VALU_DEP_1)
	v_cmpx_ne_u32_e32 0x7f800000, v9
	s_xor_b32 s15, exec_lo, s15
; %bb.763:                              ;   in Loop: Header=BB4_739 Depth=4
	v_bfe_u32 v9, v8, 16, 1
	s_delay_alu instid0(VALU_DEP_1)
	v_add3_u32 v63, v8, v9, 0x7fff
                                        ; implicit-def: $vgpr8
; %bb.764:                              ;   in Loop: Header=BB4_739 Depth=4
	s_and_not1_saveexec_b32 s15, s15
; %bb.765:                              ;   in Loop: Header=BB4_739 Depth=4
	v_and_b32_e32 v9, 0xffff, v8
	v_or_b32_e32 v10, 0x10000, v8
	s_delay_alu instid0(VALU_DEP_2) | instskip(NEXT) | instid1(VALU_DEP_2)
	v_cmp_eq_u32_e32 vcc_lo, 0, v9
	v_cndmask_b32_e32 v63, v10, v8, vcc_lo
; %bb.766:                              ;   in Loop: Header=BB4_739 Depth=4
	s_or_b32 exec_lo, exec_lo, s15
	v_lshlrev_b32_e32 v8, 16, v11
	s_mov_b32 s15, exec_lo
                                        ; implicit-def: $vgpr88
	s_delay_alu instid0(VALU_DEP_1) | instskip(NEXT) | instid1(VALU_DEP_1)
	v_mul_f32_e32 v8, v60, v8
	v_and_b32_e32 v9, 0x7f800000, v8
	s_delay_alu instid0(VALU_DEP_1)
	v_cmpx_ne_u32_e32 0x7f800000, v9
	s_xor_b32 s15, exec_lo, s15
; %bb.767:                              ;   in Loop: Header=BB4_739 Depth=4
	v_bfe_u32 v9, v8, 16, 1
	s_delay_alu instid0(VALU_DEP_1)
	v_add3_u32 v88, v8, v9, 0x7fff
                                        ; implicit-def: $vgpr8
; %bb.768:                              ;   in Loop: Header=BB4_739 Depth=4
	s_and_not1_saveexec_b32 s15, s15
; %bb.769:                              ;   in Loop: Header=BB4_739 Depth=4
	v_and_b32_e32 v9, 0xffff, v8
	v_or_b32_e32 v10, 0x10000, v8
	s_delay_alu instid0(VALU_DEP_2) | instskip(NEXT) | instid1(VALU_DEP_2)
	v_cmp_eq_u32_e32 vcc_lo, 0, v9
	v_cndmask_b32_e32 v88, v10, v8, vcc_lo
; %bb.770:                              ;   in Loop: Header=BB4_739 Depth=4
	s_or_b32 exec_lo, exec_lo, s15
	v_and_b32_e32 v8, 0xffff0000, v11
	s_mov_b32 s15, exec_lo
                                        ; implicit-def: $vgpr61
	s_delay_alu instid0(VALU_DEP_1) | instskip(NEXT) | instid1(VALU_DEP_1)
	v_mul_f32_e32 v8, v60, v8
	v_and_b32_e32 v9, 0x7f800000, v8
	s_delay_alu instid0(VALU_DEP_1)
	v_cmpx_ne_u32_e32 0x7f800000, v9
	s_xor_b32 s15, exec_lo, s15
; %bb.771:                              ;   in Loop: Header=BB4_739 Depth=4
	v_bfe_u32 v9, v8, 16, 1
	s_delay_alu instid0(VALU_DEP_1)
	v_add3_u32 v61, v8, v9, 0x7fff
                                        ; implicit-def: $vgpr8
; %bb.772:                              ;   in Loop: Header=BB4_739 Depth=4
	s_and_not1_saveexec_b32 s15, s15
; %bb.773:                              ;   in Loop: Header=BB4_739 Depth=4
	v_and_b32_e32 v9, 0xffff, v8
	v_or_b32_e32 v10, 0x10000, v8
	s_delay_alu instid0(VALU_DEP_2) | instskip(NEXT) | instid1(VALU_DEP_2)
	v_cmp_eq_u32_e32 vcc_lo, 0, v9
	v_cndmask_b32_e32 v61, v10, v8, vcc_lo
; %bb.774:                              ;   in Loop: Header=BB4_739 Depth=4
	s_or_b32 exec_lo, exec_lo, s15
	scratch_load_b128 v[8:11], off, s33 offset:208
	v_and_b32_e32 v47, 0xffff0000, v47
	s_wait_loadcnt 0x0
	v_lshlrev_b32_e32 v62, 16, v8
	s_delay_alu instid0(VALU_DEP_1) | instskip(NEXT) | instid1(VALU_DEP_1)
	v_add_f32_e32 v47, v47, v62
	v_and_b32_e32 v62, 0x7f800000, v47
	s_delay_alu instid0(VALU_DEP_1) | instskip(SKIP_2) | instid1(SALU_CYCLE_1)
	v_cmp_ne_u32_e32 vcc_lo, 0x7f800000, v62
                                        ; implicit-def: $vgpr62
	s_wait_xcnt 0x0
	s_and_saveexec_b32 s15, vcc_lo
	s_xor_b32 s15, exec_lo, s15
; %bb.775:                              ;   in Loop: Header=BB4_739 Depth=4
	v_bfe_u32 v62, v47, 16, 1
	s_delay_alu instid0(VALU_DEP_1)
	v_add3_u32 v62, v47, v62, 0x7fff
                                        ; implicit-def: $vgpr47
; %bb.776:                              ;   in Loop: Header=BB4_739 Depth=4
	s_and_not1_saveexec_b32 s15, s15
; %bb.777:                              ;   in Loop: Header=BB4_739 Depth=4
	v_and_b32_e32 v62, 0xffff, v47
	v_or_b32_e32 v92, 0x10000, v47
	s_delay_alu instid0(VALU_DEP_2) | instskip(NEXT) | instid1(VALU_DEP_2)
	v_cmp_eq_u32_e32 vcc_lo, 0, v62
	v_cndmask_b32_e32 v62, v92, v47, vcc_lo
; %bb.778:                              ;   in Loop: Header=BB4_739 Depth=4
	s_or_b32 exec_lo, exec_lo, s15
	v_and_b32_e32 v47, 0xffff0000, v8
	v_and_b32_e32 v46, 0xffff0000, v46
	s_delay_alu instid0(VALU_DEP_2) | instskip(NEXT) | instid1(VALU_DEP_1)
	v_mov_b32_e32 v8, v47
	v_pk_add_f32 v[46:47], v[8:9], v[46:47]
	s_delay_alu instid0(VALU_DEP_1) | instskip(NEXT) | instid1(VALU_DEP_1)
	v_and_b32_e32 v8, 0x7f800000, v46
	v_cmp_ne_u32_e32 vcc_lo, 0x7f800000, v8
                                        ; implicit-def: $vgpr8
	s_and_saveexec_b32 s15, vcc_lo
	s_delay_alu instid0(SALU_CYCLE_1)
	s_xor_b32 s15, exec_lo, s15
; %bb.779:                              ;   in Loop: Header=BB4_739 Depth=4
	v_bfe_u32 v8, v46, 16, 1
	s_delay_alu instid0(VALU_DEP_1)
	v_add3_u32 v8, v46, v8, 0x7fff
                                        ; implicit-def: $vgpr46_vgpr47
; %bb.780:                              ;   in Loop: Header=BB4_739 Depth=4
	s_and_not1_saveexec_b32 s15, s15
; %bb.781:                              ;   in Loop: Header=BB4_739 Depth=4
	v_and_b32_e32 v8, 0xffff, v46
	v_or_b32_e32 v47, 0x10000, v46
	s_delay_alu instid0(VALU_DEP_2) | instskip(NEXT) | instid1(VALU_DEP_2)
	v_cmp_eq_u32_e32 vcc_lo, 0, v8
	v_cndmask_b32_e32 v8, v47, v46, vcc_lo
; %bb.782:                              ;   in Loop: Header=BB4_739 Depth=4
	s_or_b32 exec_lo, exec_lo, s15
	v_and_b32_e32 v46, 0xffff0000, v91
	v_lshlrev_b32_e32 v47, 16, v9
	s_delay_alu instid0(VALU_DEP_1) | instskip(NEXT) | instid1(VALU_DEP_1)
	v_add_f32_e32 v47, v46, v47
	v_and_b32_e32 v46, 0x7f800000, v47
	s_delay_alu instid0(VALU_DEP_1) | instskip(SKIP_1) | instid1(SALU_CYCLE_1)
	v_cmp_ne_u32_e32 vcc_lo, 0x7f800000, v46
                                        ; implicit-def: $vgpr46
	s_and_saveexec_b32 s15, vcc_lo
	s_xor_b32 s15, exec_lo, s15
; %bb.783:                              ;   in Loop: Header=BB4_739 Depth=4
	v_bfe_u32 v46, v47, 16, 1
	s_delay_alu instid0(VALU_DEP_1)
	v_add3_u32 v46, v47, v46, 0x7fff
                                        ; implicit-def: $vgpr47
; %bb.784:                              ;   in Loop: Header=BB4_739 Depth=4
	s_and_not1_saveexec_b32 s15, s15
; %bb.785:                              ;   in Loop: Header=BB4_739 Depth=4
	v_and_b32_e32 v46, 0xffff, v47
	v_or_b32_e32 v91, 0x10000, v47
	s_delay_alu instid0(VALU_DEP_2) | instskip(NEXT) | instid1(VALU_DEP_2)
	v_cmp_eq_u32_e32 vcc_lo, 0, v46
	v_cndmask_b32_e32 v46, v91, v47, vcc_lo
; %bb.786:                              ;   in Loop: Header=BB4_739 Depth=4
	s_or_b32 exec_lo, exec_lo, s15
	v_and_b32_e32 v9, 0xffff0000, v9
	v_and_b32_e32 v47, 0xffff0000, v89
	s_delay_alu instid0(VALU_DEP_1) | instskip(NEXT) | instid1(VALU_DEP_1)
	v_add_f32_e32 v47, v47, v9
	v_and_b32_e32 v9, 0x7f800000, v47
	s_delay_alu instid0(VALU_DEP_1) | instskip(SKIP_1) | instid1(SALU_CYCLE_1)
	v_cmp_ne_u32_e32 vcc_lo, 0x7f800000, v9
                                        ; implicit-def: $vgpr9
	s_and_saveexec_b32 s15, vcc_lo
	s_xor_b32 s15, exec_lo, s15
; %bb.787:                              ;   in Loop: Header=BB4_739 Depth=4
	v_bfe_u32 v9, v47, 16, 1
	s_delay_alu instid0(VALU_DEP_1)
	v_add3_u32 v9, v47, v9, 0x7fff
                                        ; implicit-def: $vgpr47
; %bb.788:                              ;   in Loop: Header=BB4_739 Depth=4
	s_and_not1_saveexec_b32 s15, s15
; %bb.789:                              ;   in Loop: Header=BB4_739 Depth=4
	v_and_b32_e32 v9, 0xffff, v47
	v_or_b32_e32 v89, 0x10000, v47
	s_delay_alu instid0(VALU_DEP_2) | instskip(NEXT) | instid1(VALU_DEP_2)
	v_cmp_eq_u32_e32 vcc_lo, 0, v9
	v_cndmask_b32_e32 v9, v89, v47, vcc_lo
; %bb.790:                              ;   in Loop: Header=BB4_739 Depth=4
	s_or_b32 exec_lo, exec_lo, s15
	v_and_b32_e32 v47, 0xffff0000, v90
	v_lshlrev_b32_e32 v89, 16, v10
	s_delay_alu instid0(VALU_DEP_1) | instskip(NEXT) | instid1(VALU_DEP_1)
	v_add_f32_e32 v89, v47, v89
	v_and_b32_e32 v47, 0x7f800000, v89
	s_delay_alu instid0(VALU_DEP_1) | instskip(SKIP_1) | instid1(SALU_CYCLE_1)
	v_cmp_ne_u32_e32 vcc_lo, 0x7f800000, v47
                                        ; implicit-def: $vgpr47
	s_and_saveexec_b32 s15, vcc_lo
	s_xor_b32 s15, exec_lo, s15
; %bb.791:                              ;   in Loop: Header=BB4_739 Depth=4
	v_bfe_u32 v47, v89, 16, 1
	s_delay_alu instid0(VALU_DEP_1)
	v_add3_u32 v47, v89, v47, 0x7fff
                                        ; implicit-def: $vgpr89
; %bb.792:                              ;   in Loop: Header=BB4_739 Depth=4
	s_and_not1_saveexec_b32 s15, s15
; %bb.793:                              ;   in Loop: Header=BB4_739 Depth=4
	v_and_b32_e32 v47, 0xffff, v89
	v_or_b32_e32 v90, 0x10000, v89
	s_delay_alu instid0(VALU_DEP_2) | instskip(NEXT) | instid1(VALU_DEP_2)
	v_cmp_eq_u32_e32 vcc_lo, 0, v47
	v_cndmask_b32_e32 v47, v90, v89, vcc_lo
; %bb.794:                              ;   in Loop: Header=BB4_739 Depth=4
	s_or_b32 exec_lo, exec_lo, s15
	v_and_b32_e32 v10, 0xffff0000, v10
	v_and_b32_e32 v63, 0xffff0000, v63
	s_delay_alu instid0(VALU_DEP_1) | instskip(NEXT) | instid1(VALU_DEP_1)
	v_add_f32_e32 v63, v63, v10
	v_and_b32_e32 v10, 0x7f800000, v63
	s_delay_alu instid0(VALU_DEP_1) | instskip(SKIP_1) | instid1(SALU_CYCLE_1)
	v_cmp_ne_u32_e32 vcc_lo, 0x7f800000, v10
                                        ; implicit-def: $vgpr10
	s_and_saveexec_b32 s15, vcc_lo
	s_xor_b32 s15, exec_lo, s15
; %bb.795:                              ;   in Loop: Header=BB4_739 Depth=4
	v_bfe_u32 v10, v63, 16, 1
	s_delay_alu instid0(VALU_DEP_1)
	v_add3_u32 v10, v63, v10, 0x7fff
                                        ; implicit-def: $vgpr63
; %bb.796:                              ;   in Loop: Header=BB4_739 Depth=4
	s_and_not1_saveexec_b32 s15, s15
; %bb.797:                              ;   in Loop: Header=BB4_739 Depth=4
	v_and_b32_e32 v10, 0xffff, v63
	v_or_b32_e32 v89, 0x10000, v63
	s_delay_alu instid0(VALU_DEP_2) | instskip(NEXT) | instid1(VALU_DEP_2)
	v_cmp_eq_u32_e32 vcc_lo, 0, v10
	v_cndmask_b32_e32 v10, v89, v63, vcc_lo
; %bb.798:                              ;   in Loop: Header=BB4_739 Depth=4
	s_or_b32 exec_lo, exec_lo, s15
	v_and_b32_e32 v63, 0xffff0000, v88
	v_lshlrev_b32_e32 v88, 16, v11
	s_delay_alu instid0(VALU_DEP_1) | instskip(NEXT) | instid1(VALU_DEP_1)
	v_add_f32_e32 v88, v63, v88
	v_and_b32_e32 v63, 0x7f800000, v88
	s_delay_alu instid0(VALU_DEP_1) | instskip(SKIP_1) | instid1(SALU_CYCLE_1)
	v_cmp_ne_u32_e32 vcc_lo, 0x7f800000, v63
                                        ; implicit-def: $vgpr63
	s_and_saveexec_b32 s15, vcc_lo
	s_xor_b32 s15, exec_lo, s15
; %bb.799:                              ;   in Loop: Header=BB4_739 Depth=4
	v_bfe_u32 v63, v88, 16, 1
	s_delay_alu instid0(VALU_DEP_1)
	v_add3_u32 v63, v88, v63, 0x7fff
                                        ; implicit-def: $vgpr88
; %bb.800:                              ;   in Loop: Header=BB4_739 Depth=4
	s_and_not1_saveexec_b32 s15, s15
; %bb.801:                              ;   in Loop: Header=BB4_739 Depth=4
	v_and_b32_e32 v63, 0xffff, v88
	v_or_b32_e32 v89, 0x10000, v88
	s_delay_alu instid0(VALU_DEP_2) | instskip(NEXT) | instid1(VALU_DEP_2)
	v_cmp_eq_u32_e32 vcc_lo, 0, v63
	v_cndmask_b32_e32 v63, v89, v88, vcc_lo
; %bb.802:                              ;   in Loop: Header=BB4_739 Depth=4
	s_or_b32 exec_lo, exec_lo, s15
	v_and_b32_e32 v11, 0xffff0000, v11
	v_and_b32_e32 v61, 0xffff0000, v61
	s_delay_alu instid0(VALU_DEP_1) | instskip(NEXT) | instid1(VALU_DEP_1)
	v_add_f32_e32 v61, v61, v11
	v_and_b32_e32 v11, 0x7f800000, v61
	s_delay_alu instid0(VALU_DEP_1) | instskip(SKIP_1) | instid1(SALU_CYCLE_1)
	v_cmp_ne_u32_e32 vcc_lo, 0x7f800000, v11
                                        ; implicit-def: $vgpr11
	s_and_saveexec_b32 s15, vcc_lo
	s_xor_b32 s15, exec_lo, s15
; %bb.803:                              ;   in Loop: Header=BB4_739 Depth=4
	v_bfe_u32 v11, v61, 16, 1
	s_delay_alu instid0(VALU_DEP_1)
	v_add3_u32 v11, v61, v11, 0x7fff
                                        ; implicit-def: $vgpr61
; %bb.804:                              ;   in Loop: Header=BB4_739 Depth=4
	s_and_not1_saveexec_b32 s15, s15
; %bb.805:                              ;   in Loop: Header=BB4_739 Depth=4
	v_and_b32_e32 v11, 0xffff, v61
	v_or_b32_e32 v88, 0x10000, v61
	s_delay_alu instid0(VALU_DEP_2) | instskip(NEXT) | instid1(VALU_DEP_2)
	v_cmp_eq_u32_e32 vcc_lo, 0, v11
	v_cndmask_b32_e32 v11, v88, v61, vcc_lo
; %bb.806:                              ;   in Loop: Header=BB4_739 Depth=4
	s_or_b32 exec_lo, exec_lo, s15
	v_dual_lshrrev_b32 v46, 16, v46 :: v_dual_lshrrev_b32 v47, 16, v47
	v_dual_lshrrev_b32 v61, 16, v62 :: v_dual_lshrrev_b32 v62, 16, v63
	s_delay_alu instid0(VALU_DEP_2) | instskip(NEXT) | instid1(VALU_DEP_3)
	v_and_or_b32 v9, 0xffff0000, v9, v46
	v_and_or_b32 v10, 0xffff0000, v10, v47
	s_delay_alu instid0(VALU_DEP_3) | instskip(NEXT) | instid1(VALU_DEP_4)
	v_and_or_b32 v8, 0xffff0000, v8, v61
	v_and_or_b32 v11, 0xffff0000, v11, v62
	global_store_b128 v[40:41], v[8:11], off th:TH_STORE_NT
	s_wait_xcnt 0x0
	v_add_nc_u64_e32 v[40:41], v[100:101], v[40:41]
	scratch_store_b128 off, v[8:11], s33 offset:192
.LBB4_807:                              ;   in Loop: Header=BB4_739 Depth=4
	s_wait_xcnt 0x0
	s_or_b32 exec_lo, exec_lo, s14
	v_sub_nc_u32_e32 v15, v15, v78
	v_add_nc_u64_e32 v[42:43], v[42:43], v[84:85]
	v_add_nc_u64_e32 v[44:45], v[44:45], v[84:85]
	s_delay_alu instid0(VALU_DEP_3)
	v_cmp_lt_i32_e64 s95, 15, v15
	s_and_saveexec_b32 vcc_hi, s95
	s_cbranch_execz .LBB4_810
; %bb.808:                              ;   in Loop: Header=BB4_739 Depth=4
	s_add_co_i32 s14, s33, 0xc0
	s_mov_b64 s[40:41], 0
	s_mov_b32 s30, s14
	s_mov_b32 s31, -1
.LBB4_809:                              ;   Parent Loop BB4_47 Depth=1
                                        ;     Parent Loop BB4_652 Depth=2
                                        ;       Parent Loop BB4_655 Depth=3
                                        ;         Parent Loop BB4_739 Depth=4
                                        ; =>        This Inner Loop Header: Depth=5
	s_cmp_eq_u32 s40, 1
	s_cselect_b32 vcc_lo, -1, 0
	s_cmp_eq_u32 s40, 0
	v_dual_cndmask_b32 v47, v43, v45 :: v_dual_cndmask_b32 v46, v42, v44
	s_cselect_b32 s14, -1, 0
	s_and_b32 s15, exec_lo, s31
	s_mov_b64 s[40:41], 1
	s_mov_b32 s31, 0
	global_load_b128 v[8:11], v[46:47], off th:TH_LOAD_NT
	s_wait_xcnt 0x0
	v_add_nc_u64_e32 v[46:47], 0x200, v[46:47]
	s_delay_alu instid0(VALU_DEP_1)
	v_dual_cndmask_b32 v43, v43, v47, s14 :: v_dual_cndmask_b32 v42, v42, v46, s14
	v_dual_cndmask_b32 v45, v45, v47 :: v_dual_cndmask_b32 v44, v44, v46
	s_mov_b32 vcc_lo, s15
	s_wait_loadcnt 0x0
	scratch_store_b128 off, v[8:11], s30
	s_wait_xcnt 0x0
	s_mov_b32 s30, s47
	s_cbranch_vccnz .LBB4_809
.LBB4_810:                              ;   in Loop: Header=BB4_739 Depth=4
	s_or_b32 exec_lo, exec_lo, vcc_hi
	scratch_load_b128 v[8:11], off, s33 offset:160
	s_wait_loadcnt 0x0
	v_lshlrev_b32_e32 v46, 16, v8
	s_delay_alu instid0(VALU_DEP_1) | instskip(NEXT) | instid1(VALU_DEP_1)
	v_mul_f32_e32 v46, v60, v46
	v_and_b32_e32 v47, 0x7f800000, v46
	s_delay_alu instid0(VALU_DEP_1) | instskip(SKIP_2) | instid1(SALU_CYCLE_1)
	v_cmp_ne_u32_e32 vcc_lo, 0x7f800000, v47
                                        ; implicit-def: $vgpr47
	s_wait_xcnt 0x0
	s_and_saveexec_b32 s14, vcc_lo
	s_xor_b32 s14, exec_lo, s14
; %bb.811:                              ;   in Loop: Header=BB4_739 Depth=4
	v_bfe_u32 v47, v46, 16, 1
	s_delay_alu instid0(VALU_DEP_1)
	v_add3_u32 v47, v46, v47, 0x7fff
                                        ; implicit-def: $vgpr46
; %bb.812:                              ;   in Loop: Header=BB4_739 Depth=4
	s_and_not1_saveexec_b32 s14, s14
; %bb.813:                              ;   in Loop: Header=BB4_739 Depth=4
	v_and_b32_e32 v47, 0xffff, v46
	v_or_b32_e32 v61, 0x10000, v46
	s_delay_alu instid0(VALU_DEP_2) | instskip(NEXT) | instid1(VALU_DEP_2)
	v_cmp_eq_u32_e32 vcc_lo, 0, v47
	v_cndmask_b32_e32 v47, v61, v46, vcc_lo
; %bb.814:                              ;   in Loop: Header=BB4_739 Depth=4
	s_or_b32 exec_lo, exec_lo, s14
	v_and_b32_e32 v8, 0xffff0000, v8
	s_delay_alu instid0(VALU_DEP_1) | instskip(NEXT) | instid1(VALU_DEP_1)
	v_mul_f32_e32 v8, v60, v8
	v_and_b32_e32 v46, 0x7f800000, v8
	s_delay_alu instid0(VALU_DEP_1) | instskip(SKIP_1) | instid1(SALU_CYCLE_1)
	v_cmp_ne_u32_e32 vcc_lo, 0x7f800000, v46
                                        ; implicit-def: $vgpr46
	s_and_saveexec_b32 s14, vcc_lo
	s_xor_b32 s14, exec_lo, s14
; %bb.815:                              ;   in Loop: Header=BB4_739 Depth=4
	v_bfe_u32 v46, v8, 16, 1
	s_delay_alu instid0(VALU_DEP_1)
	v_add3_u32 v46, v8, v46, 0x7fff
                                        ; implicit-def: $vgpr8
; %bb.816:                              ;   in Loop: Header=BB4_739 Depth=4
	s_and_not1_saveexec_b32 s14, s14
; %bb.817:                              ;   in Loop: Header=BB4_739 Depth=4
	v_and_b32_e32 v46, 0xffff, v8
	v_or_b32_e32 v61, 0x10000, v8
	s_delay_alu instid0(VALU_DEP_2) | instskip(NEXT) | instid1(VALU_DEP_2)
	v_cmp_eq_u32_e32 vcc_lo, 0, v46
	v_cndmask_b32_e32 v46, v61, v8, vcc_lo
; %bb.818:                              ;   in Loop: Header=BB4_739 Depth=4
	s_or_b32 exec_lo, exec_lo, s14
	v_lshlrev_b32_e32 v8, 16, v9
	s_mov_b32 s14, exec_lo
                                        ; implicit-def: $vgpr91
	s_delay_alu instid0(VALU_DEP_1) | instskip(NEXT) | instid1(VALU_DEP_1)
	v_mul_f32_e32 v8, v60, v8
	v_and_b32_e32 v61, 0x7f800000, v8
	s_delay_alu instid0(VALU_DEP_1)
	v_cmpx_ne_u32_e32 0x7f800000, v61
	s_xor_b32 s14, exec_lo, s14
; %bb.819:                              ;   in Loop: Header=BB4_739 Depth=4
	v_bfe_u32 v61, v8, 16, 1
	s_delay_alu instid0(VALU_DEP_1)
	v_add3_u32 v91, v8, v61, 0x7fff
                                        ; implicit-def: $vgpr8
; %bb.820:                              ;   in Loop: Header=BB4_739 Depth=4
	s_and_not1_saveexec_b32 s14, s14
; %bb.821:                              ;   in Loop: Header=BB4_739 Depth=4
	v_and_b32_e32 v61, 0xffff, v8
	v_or_b32_e32 v62, 0x10000, v8
	s_delay_alu instid0(VALU_DEP_2) | instskip(NEXT) | instid1(VALU_DEP_2)
	v_cmp_eq_u32_e32 vcc_lo, 0, v61
	v_cndmask_b32_e32 v91, v62, v8, vcc_lo
; %bb.822:                              ;   in Loop: Header=BB4_739 Depth=4
	s_or_b32 exec_lo, exec_lo, s14
	v_and_b32_e32 v8, 0xffff0000, v9
	s_mov_b32 s14, exec_lo
                                        ; implicit-def: $vgpr89
	s_delay_alu instid0(VALU_DEP_1) | instskip(NEXT) | instid1(VALU_DEP_1)
	v_mul_f32_e32 v8, v60, v8
	v_and_b32_e32 v9, 0x7f800000, v8
	s_delay_alu instid0(VALU_DEP_1)
	v_cmpx_ne_u32_e32 0x7f800000, v9
	s_xor_b32 s14, exec_lo, s14
; %bb.823:                              ;   in Loop: Header=BB4_739 Depth=4
	v_bfe_u32 v9, v8, 16, 1
	s_delay_alu instid0(VALU_DEP_1)
	v_add3_u32 v89, v8, v9, 0x7fff
                                        ; implicit-def: $vgpr8
; %bb.824:                              ;   in Loop: Header=BB4_739 Depth=4
	s_and_not1_saveexec_b32 s14, s14
; %bb.825:                              ;   in Loop: Header=BB4_739 Depth=4
	v_and_b32_e32 v9, 0xffff, v8
	v_or_b32_e32 v61, 0x10000, v8
	s_delay_alu instid0(VALU_DEP_2) | instskip(NEXT) | instid1(VALU_DEP_2)
	v_cmp_eq_u32_e32 vcc_lo, 0, v9
	v_cndmask_b32_e32 v89, v61, v8, vcc_lo
; %bb.826:                              ;   in Loop: Header=BB4_739 Depth=4
	s_or_b32 exec_lo, exec_lo, s14
	v_lshlrev_b32_e32 v8, 16, v10
	s_mov_b32 s14, exec_lo
                                        ; implicit-def: $vgpr90
	s_delay_alu instid0(VALU_DEP_1) | instskip(NEXT) | instid1(VALU_DEP_1)
	v_mul_f32_e32 v8, v60, v8
	v_and_b32_e32 v9, 0x7f800000, v8
	s_delay_alu instid0(VALU_DEP_1)
	v_cmpx_ne_u32_e32 0x7f800000, v9
	s_xor_b32 s14, exec_lo, s14
; %bb.827:                              ;   in Loop: Header=BB4_739 Depth=4
	v_bfe_u32 v9, v8, 16, 1
	s_delay_alu instid0(VALU_DEP_1)
	v_add3_u32 v90, v8, v9, 0x7fff
                                        ; implicit-def: $vgpr8
; %bb.828:                              ;   in Loop: Header=BB4_739 Depth=4
	s_and_not1_saveexec_b32 s14, s14
; %bb.829:                              ;   in Loop: Header=BB4_739 Depth=4
	v_and_b32_e32 v9, 0xffff, v8
	v_or_b32_e32 v61, 0x10000, v8
	s_delay_alu instid0(VALU_DEP_2) | instskip(NEXT) | instid1(VALU_DEP_2)
	v_cmp_eq_u32_e32 vcc_lo, 0, v9
	v_cndmask_b32_e32 v90, v61, v8, vcc_lo
; %bb.830:                              ;   in Loop: Header=BB4_739 Depth=4
	s_or_b32 exec_lo, exec_lo, s14
	v_and_b32_e32 v8, 0xffff0000, v10
	s_mov_b32 s14, exec_lo
                                        ; implicit-def: $vgpr63
	s_delay_alu instid0(VALU_DEP_1) | instskip(NEXT) | instid1(VALU_DEP_1)
	v_mul_f32_e32 v8, v60, v8
	v_and_b32_e32 v9, 0x7f800000, v8
	s_delay_alu instid0(VALU_DEP_1)
	v_cmpx_ne_u32_e32 0x7f800000, v9
	s_xor_b32 s14, exec_lo, s14
; %bb.831:                              ;   in Loop: Header=BB4_739 Depth=4
	v_bfe_u32 v9, v8, 16, 1
	s_delay_alu instid0(VALU_DEP_1)
	v_add3_u32 v63, v8, v9, 0x7fff
                                        ; implicit-def: $vgpr8
; %bb.832:                              ;   in Loop: Header=BB4_739 Depth=4
	s_and_not1_saveexec_b32 s14, s14
; %bb.833:                              ;   in Loop: Header=BB4_739 Depth=4
	v_and_b32_e32 v9, 0xffff, v8
	v_or_b32_e32 v10, 0x10000, v8
	s_delay_alu instid0(VALU_DEP_2) | instskip(NEXT) | instid1(VALU_DEP_2)
	v_cmp_eq_u32_e32 vcc_lo, 0, v9
	v_cndmask_b32_e32 v63, v10, v8, vcc_lo
; %bb.834:                              ;   in Loop: Header=BB4_739 Depth=4
	s_or_b32 exec_lo, exec_lo, s14
	v_lshlrev_b32_e32 v8, 16, v11
	s_mov_b32 s14, exec_lo
                                        ; implicit-def: $vgpr88
	s_delay_alu instid0(VALU_DEP_1) | instskip(NEXT) | instid1(VALU_DEP_1)
	v_mul_f32_e32 v8, v60, v8
	v_and_b32_e32 v9, 0x7f800000, v8
	s_delay_alu instid0(VALU_DEP_1)
	v_cmpx_ne_u32_e32 0x7f800000, v9
	s_xor_b32 s14, exec_lo, s14
; %bb.835:                              ;   in Loop: Header=BB4_739 Depth=4
	v_bfe_u32 v9, v8, 16, 1
	s_delay_alu instid0(VALU_DEP_1)
	v_add3_u32 v88, v8, v9, 0x7fff
                                        ; implicit-def: $vgpr8
; %bb.836:                              ;   in Loop: Header=BB4_739 Depth=4
	s_and_not1_saveexec_b32 s14, s14
; %bb.837:                              ;   in Loop: Header=BB4_739 Depth=4
	v_and_b32_e32 v9, 0xffff, v8
	v_or_b32_e32 v10, 0x10000, v8
	s_delay_alu instid0(VALU_DEP_2) | instskip(NEXT) | instid1(VALU_DEP_2)
	v_cmp_eq_u32_e32 vcc_lo, 0, v9
	v_cndmask_b32_e32 v88, v10, v8, vcc_lo
; %bb.838:                              ;   in Loop: Header=BB4_739 Depth=4
	s_or_b32 exec_lo, exec_lo, s14
	v_and_b32_e32 v8, 0xffff0000, v11
	s_mov_b32 s14, exec_lo
                                        ; implicit-def: $vgpr62
	s_delay_alu instid0(VALU_DEP_1) | instskip(NEXT) | instid1(VALU_DEP_1)
	v_mul_f32_e32 v8, v60, v8
	v_and_b32_e32 v9, 0x7f800000, v8
	s_delay_alu instid0(VALU_DEP_1)
	v_cmpx_ne_u32_e32 0x7f800000, v9
	s_xor_b32 s14, exec_lo, s14
; %bb.839:                              ;   in Loop: Header=BB4_739 Depth=4
	v_bfe_u32 v9, v8, 16, 1
	s_delay_alu instid0(VALU_DEP_1)
	v_add3_u32 v62, v8, v9, 0x7fff
                                        ; implicit-def: $vgpr8
; %bb.840:                              ;   in Loop: Header=BB4_739 Depth=4
	s_and_not1_saveexec_b32 s14, s14
; %bb.841:                              ;   in Loop: Header=BB4_739 Depth=4
	v_and_b32_e32 v9, 0xffff, v8
	v_or_b32_e32 v10, 0x10000, v8
	s_delay_alu instid0(VALU_DEP_2) | instskip(NEXT) | instid1(VALU_DEP_2)
	v_cmp_eq_u32_e32 vcc_lo, 0, v9
	v_cndmask_b32_e32 v62, v10, v8, vcc_lo
; %bb.842:                              ;   in Loop: Header=BB4_739 Depth=4
	s_or_b32 exec_lo, exec_lo, s14
	scratch_load_b128 v[8:11], off, s33 offset:176
	v_and_b32_e32 v47, 0xffff0000, v47
	s_wait_loadcnt 0x0
	v_lshlrev_b32_e32 v61, 16, v8
	s_delay_alu instid0(VALU_DEP_1) | instskip(NEXT) | instid1(VALU_DEP_1)
	v_add_f32_e32 v47, v47, v61
	v_and_b32_e32 v61, 0x7f800000, v47
	s_delay_alu instid0(VALU_DEP_1) | instskip(SKIP_2) | instid1(SALU_CYCLE_1)
	v_cmp_ne_u32_e32 vcc_lo, 0x7f800000, v61
                                        ; implicit-def: $vgpr61
	s_wait_xcnt 0x0
	s_and_saveexec_b32 s14, vcc_lo
	s_xor_b32 s14, exec_lo, s14
; %bb.843:                              ;   in Loop: Header=BB4_739 Depth=4
	v_bfe_u32 v61, v47, 16, 1
	s_delay_alu instid0(VALU_DEP_1)
	v_add3_u32 v61, v47, v61, 0x7fff
                                        ; implicit-def: $vgpr47
; %bb.844:                              ;   in Loop: Header=BB4_739 Depth=4
	s_and_not1_saveexec_b32 s14, s14
; %bb.845:                              ;   in Loop: Header=BB4_739 Depth=4
	v_and_b32_e32 v61, 0xffff, v47
	v_or_b32_e32 v92, 0x10000, v47
	s_delay_alu instid0(VALU_DEP_2) | instskip(NEXT) | instid1(VALU_DEP_2)
	v_cmp_eq_u32_e32 vcc_lo, 0, v61
	v_cndmask_b32_e32 v61, v92, v47, vcc_lo
; %bb.846:                              ;   in Loop: Header=BB4_739 Depth=4
	s_or_b32 exec_lo, exec_lo, s14
	v_and_b32_e32 v47, 0xffff0000, v8
	v_and_b32_e32 v46, 0xffff0000, v46
	s_delay_alu instid0(VALU_DEP_2) | instskip(NEXT) | instid1(VALU_DEP_1)
	v_mov_b32_e32 v8, v47
	v_pk_add_f32 v[46:47], v[8:9], v[46:47]
	s_delay_alu instid0(VALU_DEP_1) | instskip(NEXT) | instid1(VALU_DEP_1)
	v_and_b32_e32 v8, 0x7f800000, v46
	v_cmp_ne_u32_e32 vcc_lo, 0x7f800000, v8
                                        ; implicit-def: $vgpr8
	s_and_saveexec_b32 s14, vcc_lo
	s_delay_alu instid0(SALU_CYCLE_1)
	s_xor_b32 s14, exec_lo, s14
; %bb.847:                              ;   in Loop: Header=BB4_739 Depth=4
	v_bfe_u32 v8, v46, 16, 1
	s_delay_alu instid0(VALU_DEP_1)
	v_add3_u32 v8, v46, v8, 0x7fff
                                        ; implicit-def: $vgpr46_vgpr47
; %bb.848:                              ;   in Loop: Header=BB4_739 Depth=4
	s_and_not1_saveexec_b32 s14, s14
; %bb.849:                              ;   in Loop: Header=BB4_739 Depth=4
	v_and_b32_e32 v8, 0xffff, v46
	v_or_b32_e32 v47, 0x10000, v46
	s_delay_alu instid0(VALU_DEP_2) | instskip(NEXT) | instid1(VALU_DEP_2)
	v_cmp_eq_u32_e32 vcc_lo, 0, v8
	v_cndmask_b32_e32 v8, v47, v46, vcc_lo
; %bb.850:                              ;   in Loop: Header=BB4_739 Depth=4
	s_or_b32 exec_lo, exec_lo, s14
	v_and_b32_e32 v46, 0xffff0000, v91
	v_lshlrev_b32_e32 v47, 16, v9
	s_delay_alu instid0(VALU_DEP_1) | instskip(NEXT) | instid1(VALU_DEP_1)
	v_add_f32_e32 v47, v46, v47
	v_and_b32_e32 v46, 0x7f800000, v47
	s_delay_alu instid0(VALU_DEP_1) | instskip(SKIP_1) | instid1(SALU_CYCLE_1)
	v_cmp_ne_u32_e32 vcc_lo, 0x7f800000, v46
                                        ; implicit-def: $vgpr46
	s_and_saveexec_b32 s14, vcc_lo
	s_xor_b32 s14, exec_lo, s14
; %bb.851:                              ;   in Loop: Header=BB4_739 Depth=4
	v_bfe_u32 v46, v47, 16, 1
	s_delay_alu instid0(VALU_DEP_1)
	v_add3_u32 v46, v47, v46, 0x7fff
                                        ; implicit-def: $vgpr47
; %bb.852:                              ;   in Loop: Header=BB4_739 Depth=4
	s_and_not1_saveexec_b32 s14, s14
; %bb.853:                              ;   in Loop: Header=BB4_739 Depth=4
	v_and_b32_e32 v46, 0xffff, v47
	v_or_b32_e32 v91, 0x10000, v47
	s_delay_alu instid0(VALU_DEP_2) | instskip(NEXT) | instid1(VALU_DEP_2)
	v_cmp_eq_u32_e32 vcc_lo, 0, v46
	v_cndmask_b32_e32 v46, v91, v47, vcc_lo
; %bb.854:                              ;   in Loop: Header=BB4_739 Depth=4
	s_or_b32 exec_lo, exec_lo, s14
	v_and_b32_e32 v9, 0xffff0000, v9
	v_and_b32_e32 v47, 0xffff0000, v89
	s_delay_alu instid0(VALU_DEP_1) | instskip(NEXT) | instid1(VALU_DEP_1)
	v_add_f32_e32 v47, v47, v9
	v_and_b32_e32 v9, 0x7f800000, v47
	s_delay_alu instid0(VALU_DEP_1) | instskip(SKIP_1) | instid1(SALU_CYCLE_1)
	v_cmp_ne_u32_e32 vcc_lo, 0x7f800000, v9
                                        ; implicit-def: $vgpr9
	s_and_saveexec_b32 s14, vcc_lo
	s_xor_b32 s14, exec_lo, s14
; %bb.855:                              ;   in Loop: Header=BB4_739 Depth=4
	v_bfe_u32 v9, v47, 16, 1
	s_delay_alu instid0(VALU_DEP_1)
	v_add3_u32 v9, v47, v9, 0x7fff
                                        ; implicit-def: $vgpr47
; %bb.856:                              ;   in Loop: Header=BB4_739 Depth=4
	s_and_not1_saveexec_b32 s14, s14
; %bb.857:                              ;   in Loop: Header=BB4_739 Depth=4
	v_and_b32_e32 v9, 0xffff, v47
	v_or_b32_e32 v89, 0x10000, v47
	s_delay_alu instid0(VALU_DEP_2) | instskip(NEXT) | instid1(VALU_DEP_2)
	v_cmp_eq_u32_e32 vcc_lo, 0, v9
	v_cndmask_b32_e32 v9, v89, v47, vcc_lo
; %bb.858:                              ;   in Loop: Header=BB4_739 Depth=4
	s_or_b32 exec_lo, exec_lo, s14
	v_and_b32_e32 v47, 0xffff0000, v90
	v_lshlrev_b32_e32 v89, 16, v10
	s_delay_alu instid0(VALU_DEP_1) | instskip(NEXT) | instid1(VALU_DEP_1)
	v_add_f32_e32 v89, v47, v89
	v_and_b32_e32 v47, 0x7f800000, v89
	s_delay_alu instid0(VALU_DEP_1) | instskip(SKIP_1) | instid1(SALU_CYCLE_1)
	v_cmp_ne_u32_e32 vcc_lo, 0x7f800000, v47
                                        ; implicit-def: $vgpr47
	s_and_saveexec_b32 s14, vcc_lo
	s_xor_b32 s14, exec_lo, s14
; %bb.859:                              ;   in Loop: Header=BB4_739 Depth=4
	v_bfe_u32 v47, v89, 16, 1
	s_delay_alu instid0(VALU_DEP_1)
	v_add3_u32 v47, v89, v47, 0x7fff
                                        ; implicit-def: $vgpr89
; %bb.860:                              ;   in Loop: Header=BB4_739 Depth=4
	s_and_not1_saveexec_b32 s14, s14
; %bb.861:                              ;   in Loop: Header=BB4_739 Depth=4
	v_and_b32_e32 v47, 0xffff, v89
	v_or_b32_e32 v90, 0x10000, v89
	s_delay_alu instid0(VALU_DEP_2) | instskip(NEXT) | instid1(VALU_DEP_2)
	v_cmp_eq_u32_e32 vcc_lo, 0, v47
	v_cndmask_b32_e32 v47, v90, v89, vcc_lo
; %bb.862:                              ;   in Loop: Header=BB4_739 Depth=4
	s_or_b32 exec_lo, exec_lo, s14
	v_and_b32_e32 v10, 0xffff0000, v10
	v_and_b32_e32 v63, 0xffff0000, v63
	s_delay_alu instid0(VALU_DEP_1) | instskip(NEXT) | instid1(VALU_DEP_1)
	v_add_f32_e32 v63, v63, v10
	v_and_b32_e32 v10, 0x7f800000, v63
	s_delay_alu instid0(VALU_DEP_1) | instskip(SKIP_1) | instid1(SALU_CYCLE_1)
	v_cmp_ne_u32_e32 vcc_lo, 0x7f800000, v10
                                        ; implicit-def: $vgpr10
	s_and_saveexec_b32 s14, vcc_lo
	s_xor_b32 s14, exec_lo, s14
; %bb.863:                              ;   in Loop: Header=BB4_739 Depth=4
	v_bfe_u32 v10, v63, 16, 1
	s_delay_alu instid0(VALU_DEP_1)
	v_add3_u32 v10, v63, v10, 0x7fff
                                        ; implicit-def: $vgpr63
; %bb.864:                              ;   in Loop: Header=BB4_739 Depth=4
	s_and_not1_saveexec_b32 s14, s14
; %bb.865:                              ;   in Loop: Header=BB4_739 Depth=4
	v_and_b32_e32 v10, 0xffff, v63
	v_or_b32_e32 v89, 0x10000, v63
	s_delay_alu instid0(VALU_DEP_2) | instskip(NEXT) | instid1(VALU_DEP_2)
	v_cmp_eq_u32_e32 vcc_lo, 0, v10
	v_cndmask_b32_e32 v10, v89, v63, vcc_lo
; %bb.866:                              ;   in Loop: Header=BB4_739 Depth=4
	s_or_b32 exec_lo, exec_lo, s14
	v_and_b32_e32 v63, 0xffff0000, v88
	v_lshlrev_b32_e32 v88, 16, v11
	s_delay_alu instid0(VALU_DEP_1) | instskip(NEXT) | instid1(VALU_DEP_1)
	v_add_f32_e32 v88, v63, v88
	v_and_b32_e32 v63, 0x7f800000, v88
	s_delay_alu instid0(VALU_DEP_1) | instskip(SKIP_1) | instid1(SALU_CYCLE_1)
	v_cmp_ne_u32_e32 vcc_lo, 0x7f800000, v63
                                        ; implicit-def: $vgpr63
	s_and_saveexec_b32 s14, vcc_lo
	s_xor_b32 s14, exec_lo, s14
; %bb.867:                              ;   in Loop: Header=BB4_739 Depth=4
	v_bfe_u32 v63, v88, 16, 1
	s_delay_alu instid0(VALU_DEP_1)
	v_add3_u32 v63, v88, v63, 0x7fff
                                        ; implicit-def: $vgpr88
; %bb.868:                              ;   in Loop: Header=BB4_739 Depth=4
	s_and_not1_saveexec_b32 s14, s14
; %bb.869:                              ;   in Loop: Header=BB4_739 Depth=4
	v_and_b32_e32 v63, 0xffff, v88
	v_or_b32_e32 v89, 0x10000, v88
	s_delay_alu instid0(VALU_DEP_2) | instskip(NEXT) | instid1(VALU_DEP_2)
	v_cmp_eq_u32_e32 vcc_lo, 0, v63
	v_cndmask_b32_e32 v63, v89, v88, vcc_lo
; %bb.870:                              ;   in Loop: Header=BB4_739 Depth=4
	s_or_b32 exec_lo, exec_lo, s14
	v_and_b32_e32 v11, 0xffff0000, v11
	v_and_b32_e32 v62, 0xffff0000, v62
	s_delay_alu instid0(VALU_DEP_1) | instskip(NEXT) | instid1(VALU_DEP_1)
	v_add_f32_e32 v62, v62, v11
	v_and_b32_e32 v11, 0x7f800000, v62
	s_delay_alu instid0(VALU_DEP_1) | instskip(SKIP_1) | instid1(SALU_CYCLE_1)
	v_cmp_ne_u32_e32 vcc_lo, 0x7f800000, v11
                                        ; implicit-def: $vgpr11
	s_and_saveexec_b32 s14, vcc_lo
	s_xor_b32 s14, exec_lo, s14
; %bb.871:                              ;   in Loop: Header=BB4_739 Depth=4
	v_bfe_u32 v11, v62, 16, 1
	s_delay_alu instid0(VALU_DEP_1)
	v_add3_u32 v11, v62, v11, 0x7fff
                                        ; implicit-def: $vgpr62
; %bb.872:                              ;   in Loop: Header=BB4_739 Depth=4
	s_and_not1_saveexec_b32 s14, s14
; %bb.873:                              ;   in Loop: Header=BB4_739 Depth=4
	v_and_b32_e32 v11, 0xffff, v62
	v_or_b32_e32 v88, 0x10000, v62
	s_delay_alu instid0(VALU_DEP_2) | instskip(NEXT) | instid1(VALU_DEP_2)
	v_cmp_eq_u32_e32 vcc_lo, 0, v11
	v_cndmask_b32_e32 v11, v88, v62, vcc_lo
; %bb.874:                              ;   in Loop: Header=BB4_739 Depth=4
	s_or_b32 exec_lo, exec_lo, s14
	v_dual_lshrrev_b32 v46, 16, v46 :: v_dual_lshrrev_b32 v61, 16, v61
	v_dual_lshrrev_b32 v47, 16, v47 :: v_dual_sub_nc_u32 v59, v59, v52
	v_lshrrev_b32_e32 v62, 16, v63
	s_delay_alu instid0(VALU_DEP_3) | instskip(NEXT) | instid1(VALU_DEP_4)
	v_and_or_b32 v9, 0xffff0000, v9, v46
	v_and_or_b32 v8, 0xffff0000, v8, v61
	s_delay_alu instid0(VALU_DEP_4) | instskip(NEXT) | instid1(VALU_DEP_4)
	v_and_or_b32 v10, 0xffff0000, v10, v47
	v_and_or_b32 v11, 0xffff0000, v11, v62
	global_store_b128 v[40:41], v[8:11], off th:TH_STORE_NT
	s_wait_xcnt 0x0
	v_add_nc_u64_e32 v[40:41], 0x200, v[40:41]
	scratch_store_b128 off, v[8:11], s33 offset:160
	s_wait_xcnt 0x0
	s_and_saveexec_b32 s14, s95
	s_cbranch_execz .LBB4_738
; %bb.875:                              ;   in Loop: Header=BB4_739 Depth=4
	v_add_nc_u64_e32 v[42:43], v[42:43], v[84:85]
	v_add_nc_u64_e32 v[44:45], v[44:45], v[84:85]
	;; [unrolled: 1-line block ×3, first 2 shown]
	v_sub_nc_u32_e32 v15, v15, v78
	v_sub_nc_u32_e32 v59, v59, v52
	s_branch .LBB4_738
.LBB4_876:                              ;   in Loop: Header=BB4_655 Depth=3
	v_dual_mov_b32 v8, v0 :: v_dual_mov_b32 v45, v73
	s_and_saveexec_b32 s15, s91
	s_cbranch_execnz .LBB4_1156
	s_branch .LBB4_1299
.LBB4_877:                              ;   in Loop: Header=BB4_655 Depth=3
	s_or_b32 exec_lo, exec_lo, s93
	s_delay_alu instid0(SALU_CYCLE_1)
	s_and_b32 s15, s94, exec_lo
.LBB4_878:                              ;   in Loop: Header=BB4_655 Depth=3
	s_or_b32 exec_lo, exec_lo, s92
	s_and_saveexec_b32 s14, s15
	s_cbranch_execz .LBB4_944
; %bb.879:                              ;   in Loop: Header=BB4_655 Depth=3
	s_trap 2
	scratch_load_b128 v[8:11], off, s33 offset:192
	ds_load_b32 v15, v0
	s_wait_loadcnt_dscnt 0x0
	v_dual_lshlrev_b32 v15, 16, v15 :: v_dual_lshlrev_b32 v42, 16, v8
	s_delay_alu instid0(VALU_DEP_1) | instskip(NEXT) | instid1(VALU_DEP_1)
	v_mul_f32_e32 v42, v15, v42
	v_and_b32_e32 v43, 0x7f800000, v42
	s_delay_alu instid0(VALU_DEP_1) | instskip(SKIP_2) | instid1(SALU_CYCLE_1)
	v_cmp_ne_u32_e32 vcc_lo, 0x7f800000, v43
                                        ; implicit-def: $vgpr43
	s_wait_xcnt 0x0
	s_and_saveexec_b32 s15, vcc_lo
	s_xor_b32 s15, exec_lo, s15
; %bb.880:                              ;   in Loop: Header=BB4_655 Depth=3
	v_bfe_u32 v43, v42, 16, 1
	s_delay_alu instid0(VALU_DEP_1)
	v_add3_u32 v43, v42, v43, 0x7fff
                                        ; implicit-def: $vgpr42
; %bb.881:                              ;   in Loop: Header=BB4_655 Depth=3
	s_and_not1_saveexec_b32 s15, s15
; %bb.882:                              ;   in Loop: Header=BB4_655 Depth=3
	v_and_b32_e32 v43, 0xffff, v42
	v_or_b32_e32 v44, 0x10000, v42
	s_delay_alu instid0(VALU_DEP_2) | instskip(NEXT) | instid1(VALU_DEP_2)
	v_cmp_eq_u32_e32 vcc_lo, 0, v43
	v_cndmask_b32_e32 v43, v44, v42, vcc_lo
; %bb.883:                              ;   in Loop: Header=BB4_655 Depth=3
	s_or_b32 exec_lo, exec_lo, s15
	v_and_b32_e32 v8, 0xffff0000, v8
	s_delay_alu instid0(VALU_DEP_1) | instskip(NEXT) | instid1(VALU_DEP_1)
	v_mul_f32_e32 v8, v15, v8
	v_and_b32_e32 v42, 0x7f800000, v8
	s_delay_alu instid0(VALU_DEP_1) | instskip(SKIP_1) | instid1(SALU_CYCLE_1)
	v_cmp_ne_u32_e32 vcc_lo, 0x7f800000, v42
                                        ; implicit-def: $vgpr42
	s_and_saveexec_b32 s15, vcc_lo
	s_xor_b32 s15, exec_lo, s15
; %bb.884:                              ;   in Loop: Header=BB4_655 Depth=3
	v_bfe_u32 v42, v8, 16, 1
	s_delay_alu instid0(VALU_DEP_1)
	v_add3_u32 v42, v8, v42, 0x7fff
                                        ; implicit-def: $vgpr8
; %bb.885:                              ;   in Loop: Header=BB4_655 Depth=3
	s_and_not1_saveexec_b32 s15, s15
; %bb.886:                              ;   in Loop: Header=BB4_655 Depth=3
	v_and_b32_e32 v42, 0xffff, v8
	v_or_b32_e32 v44, 0x10000, v8
	s_delay_alu instid0(VALU_DEP_2) | instskip(NEXT) | instid1(VALU_DEP_2)
	v_cmp_eq_u32_e32 vcc_lo, 0, v42
	v_cndmask_b32_e32 v42, v44, v8, vcc_lo
; %bb.887:                              ;   in Loop: Header=BB4_655 Depth=3
	s_or_b32 exec_lo, exec_lo, s15
	v_lshlrev_b32_e32 v8, 16, v9
	s_mov_b32 s15, exec_lo
                                        ; implicit-def: $vgpr61
	s_delay_alu instid0(VALU_DEP_1) | instskip(NEXT) | instid1(VALU_DEP_1)
	v_mul_f32_e32 v8, v15, v8
	v_and_b32_e32 v44, 0x7f800000, v8
	s_delay_alu instid0(VALU_DEP_1)
	v_cmpx_ne_u32_e32 0x7f800000, v44
	s_xor_b32 s15, exec_lo, s15
; %bb.888:                              ;   in Loop: Header=BB4_655 Depth=3
	v_bfe_u32 v44, v8, 16, 1
	s_delay_alu instid0(VALU_DEP_1)
	v_add3_u32 v61, v8, v44, 0x7fff
                                        ; implicit-def: $vgpr8
; %bb.889:                              ;   in Loop: Header=BB4_655 Depth=3
	s_and_not1_saveexec_b32 s15, s15
; %bb.890:                              ;   in Loop: Header=BB4_655 Depth=3
	v_and_b32_e32 v44, 0xffff, v8
	v_or_b32_e32 v45, 0x10000, v8
	s_delay_alu instid0(VALU_DEP_2) | instskip(NEXT) | instid1(VALU_DEP_2)
	v_cmp_eq_u32_e32 vcc_lo, 0, v44
	v_cndmask_b32_e32 v61, v45, v8, vcc_lo
; %bb.891:                              ;   in Loop: Header=BB4_655 Depth=3
	s_or_b32 exec_lo, exec_lo, s15
	v_and_b32_e32 v8, 0xffff0000, v9
	s_mov_b32 s15, exec_lo
                                        ; implicit-def: $vgpr47
	s_delay_alu instid0(VALU_DEP_1) | instskip(NEXT) | instid1(VALU_DEP_1)
	v_mul_f32_e32 v8, v15, v8
	v_and_b32_e32 v9, 0x7f800000, v8
	s_delay_alu instid0(VALU_DEP_1)
	v_cmpx_ne_u32_e32 0x7f800000, v9
	s_xor_b32 s15, exec_lo, s15
; %bb.892:                              ;   in Loop: Header=BB4_655 Depth=3
	v_bfe_u32 v9, v8, 16, 1
	s_delay_alu instid0(VALU_DEP_1)
	v_add3_u32 v47, v8, v9, 0x7fff
                                        ; implicit-def: $vgpr8
; %bb.893:                              ;   in Loop: Header=BB4_655 Depth=3
	s_and_not1_saveexec_b32 s15, s15
; %bb.894:                              ;   in Loop: Header=BB4_655 Depth=3
	v_and_b32_e32 v9, 0xffff, v8
	v_or_b32_e32 v44, 0x10000, v8
	s_delay_alu instid0(VALU_DEP_2) | instskip(NEXT) | instid1(VALU_DEP_2)
	v_cmp_eq_u32_e32 vcc_lo, 0, v9
	v_cndmask_b32_e32 v47, v44, v8, vcc_lo
; %bb.895:                              ;   in Loop: Header=BB4_655 Depth=3
	s_or_b32 exec_lo, exec_lo, s15
	v_lshlrev_b32_e32 v8, 16, v10
	s_mov_b32 s15, exec_lo
                                        ; implicit-def: $vgpr60
	s_delay_alu instid0(VALU_DEP_1) | instskip(NEXT) | instid1(VALU_DEP_1)
	v_mul_f32_e32 v8, v15, v8
	v_and_b32_e32 v9, 0x7f800000, v8
	s_delay_alu instid0(VALU_DEP_1)
	v_cmpx_ne_u32_e32 0x7f800000, v9
	s_xor_b32 s15, exec_lo, s15
; %bb.896:                              ;   in Loop: Header=BB4_655 Depth=3
	v_bfe_u32 v9, v8, 16, 1
	s_delay_alu instid0(VALU_DEP_1)
	v_add3_u32 v60, v8, v9, 0x7fff
                                        ; implicit-def: $vgpr8
; %bb.897:                              ;   in Loop: Header=BB4_655 Depth=3
	s_and_not1_saveexec_b32 s15, s15
; %bb.898:                              ;   in Loop: Header=BB4_655 Depth=3
	v_and_b32_e32 v9, 0xffff, v8
	v_or_b32_e32 v44, 0x10000, v8
	s_delay_alu instid0(VALU_DEP_2) | instskip(NEXT) | instid1(VALU_DEP_2)
	v_cmp_eq_u32_e32 vcc_lo, 0, v9
	v_cndmask_b32_e32 v60, v44, v8, vcc_lo
; %bb.899:                              ;   in Loop: Header=BB4_655 Depth=3
	s_or_b32 exec_lo, exec_lo, s15
	v_and_b32_e32 v8, 0xffff0000, v10
	s_mov_b32 s15, exec_lo
                                        ; implicit-def: $vgpr45
	s_delay_alu instid0(VALU_DEP_1) | instskip(NEXT) | instid1(VALU_DEP_1)
	v_mul_f32_e32 v8, v15, v8
	v_and_b32_e32 v9, 0x7f800000, v8
	s_delay_alu instid0(VALU_DEP_1)
	v_cmpx_ne_u32_e32 0x7f800000, v9
	s_xor_b32 s15, exec_lo, s15
; %bb.900:                              ;   in Loop: Header=BB4_655 Depth=3
	v_bfe_u32 v9, v8, 16, 1
	s_delay_alu instid0(VALU_DEP_1)
	v_add3_u32 v45, v8, v9, 0x7fff
                                        ; implicit-def: $vgpr8
; %bb.901:                              ;   in Loop: Header=BB4_655 Depth=3
	s_and_not1_saveexec_b32 s15, s15
; %bb.902:                              ;   in Loop: Header=BB4_655 Depth=3
	v_and_b32_e32 v9, 0xffff, v8
	v_or_b32_e32 v10, 0x10000, v8
	s_delay_alu instid0(VALU_DEP_2) | instskip(NEXT) | instid1(VALU_DEP_2)
	v_cmp_eq_u32_e32 vcc_lo, 0, v9
	v_cndmask_b32_e32 v45, v10, v8, vcc_lo
; %bb.903:                              ;   in Loop: Header=BB4_655 Depth=3
	s_or_b32 exec_lo, exec_lo, s15
	v_lshlrev_b32_e32 v8, 16, v11
	s_mov_b32 s15, exec_lo
                                        ; implicit-def: $vgpr46
	s_delay_alu instid0(VALU_DEP_1) | instskip(NEXT) | instid1(VALU_DEP_1)
	v_mul_f32_e32 v8, v15, v8
	v_and_b32_e32 v9, 0x7f800000, v8
	s_delay_alu instid0(VALU_DEP_1)
	v_cmpx_ne_u32_e32 0x7f800000, v9
	s_xor_b32 s15, exec_lo, s15
; %bb.904:                              ;   in Loop: Header=BB4_655 Depth=3
	v_bfe_u32 v9, v8, 16, 1
	s_delay_alu instid0(VALU_DEP_1)
	v_add3_u32 v46, v8, v9, 0x7fff
                                        ; implicit-def: $vgpr8
; %bb.905:                              ;   in Loop: Header=BB4_655 Depth=3
	s_and_not1_saveexec_b32 s15, s15
; %bb.906:                              ;   in Loop: Header=BB4_655 Depth=3
	v_and_b32_e32 v9, 0xffff, v8
	v_or_b32_e32 v10, 0x10000, v8
	s_delay_alu instid0(VALU_DEP_2) | instskip(NEXT) | instid1(VALU_DEP_2)
	v_cmp_eq_u32_e32 vcc_lo, 0, v9
	v_cndmask_b32_e32 v46, v10, v8, vcc_lo
; %bb.907:                              ;   in Loop: Header=BB4_655 Depth=3
	s_or_b32 exec_lo, exec_lo, s15
	v_and_b32_e32 v8, 0xffff0000, v11
	s_mov_b32 s15, exec_lo
	s_delay_alu instid0(VALU_DEP_1) | instskip(NEXT) | instid1(VALU_DEP_1)
	v_mul_f32_e32 v8, v15, v8
                                        ; implicit-def: $vgpr15
	v_and_b32_e32 v9, 0x7f800000, v8
	s_delay_alu instid0(VALU_DEP_1)
	v_cmpx_ne_u32_e32 0x7f800000, v9
	s_xor_b32 s15, exec_lo, s15
; %bb.908:                              ;   in Loop: Header=BB4_655 Depth=3
	v_bfe_u32 v9, v8, 16, 1
	s_delay_alu instid0(VALU_DEP_1)
	v_add3_u32 v15, v8, v9, 0x7fff
                                        ; implicit-def: $vgpr8
; %bb.909:                              ;   in Loop: Header=BB4_655 Depth=3
	s_and_not1_saveexec_b32 s15, s15
; %bb.910:                              ;   in Loop: Header=BB4_655 Depth=3
	v_and_b32_e32 v9, 0xffff, v8
	v_or_b32_e32 v10, 0x10000, v8
	s_delay_alu instid0(VALU_DEP_2) | instskip(NEXT) | instid1(VALU_DEP_2)
	v_cmp_eq_u32_e32 vcc_lo, 0, v9
	v_cndmask_b32_e32 v15, v10, v8, vcc_lo
; %bb.911:                              ;   in Loop: Header=BB4_655 Depth=3
	s_or_b32 exec_lo, exec_lo, s15
	scratch_load_b128 v[8:11], off, s33 offset:208
	v_and_b32_e32 v43, 0xffff0000, v43
	s_wait_loadcnt 0x0
	v_lshlrev_b32_e32 v44, 16, v8
	s_delay_alu instid0(VALU_DEP_1) | instskip(NEXT) | instid1(VALU_DEP_1)
	v_add_f32_e32 v43, v43, v44
	v_and_b32_e32 v44, 0x7f800000, v43
	s_delay_alu instid0(VALU_DEP_1) | instskip(SKIP_2) | instid1(SALU_CYCLE_1)
	v_cmp_ne_u32_e32 vcc_lo, 0x7f800000, v44
                                        ; implicit-def: $vgpr44
	s_wait_xcnt 0x0
	s_and_saveexec_b32 s15, vcc_lo
	s_xor_b32 s15, exec_lo, s15
; %bb.912:                              ;   in Loop: Header=BB4_655 Depth=3
	v_bfe_u32 v44, v43, 16, 1
	s_delay_alu instid0(VALU_DEP_1)
	v_add3_u32 v44, v43, v44, 0x7fff
                                        ; implicit-def: $vgpr43
; %bb.913:                              ;   in Loop: Header=BB4_655 Depth=3
	s_and_not1_saveexec_b32 s15, s15
; %bb.914:                              ;   in Loop: Header=BB4_655 Depth=3
	v_and_b32_e32 v44, 0xffff, v43
	v_or_b32_e32 v62, 0x10000, v43
	s_delay_alu instid0(VALU_DEP_2) | instskip(NEXT) | instid1(VALU_DEP_2)
	v_cmp_eq_u32_e32 vcc_lo, 0, v44
	v_cndmask_b32_e32 v44, v62, v43, vcc_lo
; %bb.915:                              ;   in Loop: Header=BB4_655 Depth=3
	s_or_b32 exec_lo, exec_lo, s15
	v_and_b32_e32 v43, 0xffff0000, v8
	v_and_b32_e32 v42, 0xffff0000, v42
	s_delay_alu instid0(VALU_DEP_2) | instskip(NEXT) | instid1(VALU_DEP_1)
	v_mov_b32_e32 v8, v43
	v_pk_add_f32 v[42:43], v[8:9], v[42:43]
	s_delay_alu instid0(VALU_DEP_1) | instskip(NEXT) | instid1(VALU_DEP_1)
	v_and_b32_e32 v8, 0x7f800000, v42
	v_cmp_ne_u32_e32 vcc_lo, 0x7f800000, v8
                                        ; implicit-def: $vgpr8
	s_and_saveexec_b32 s15, vcc_lo
	s_delay_alu instid0(SALU_CYCLE_1)
	s_xor_b32 s15, exec_lo, s15
; %bb.916:                              ;   in Loop: Header=BB4_655 Depth=3
	v_bfe_u32 v8, v42, 16, 1
	s_delay_alu instid0(VALU_DEP_1)
	v_add3_u32 v8, v42, v8, 0x7fff
                                        ; implicit-def: $vgpr42_vgpr43
; %bb.917:                              ;   in Loop: Header=BB4_655 Depth=3
	s_and_not1_saveexec_b32 s15, s15
; %bb.918:                              ;   in Loop: Header=BB4_655 Depth=3
	v_and_b32_e32 v8, 0xffff, v42
	v_or_b32_e32 v43, 0x10000, v42
	s_delay_alu instid0(VALU_DEP_2) | instskip(NEXT) | instid1(VALU_DEP_2)
	v_cmp_eq_u32_e32 vcc_lo, 0, v8
	v_cndmask_b32_e32 v8, v43, v42, vcc_lo
; %bb.919:                              ;   in Loop: Header=BB4_655 Depth=3
	s_or_b32 exec_lo, exec_lo, s15
	v_and_b32_e32 v42, 0xffff0000, v61
	v_lshlrev_b32_e32 v43, 16, v9
	s_delay_alu instid0(VALU_DEP_1) | instskip(NEXT) | instid1(VALU_DEP_1)
	v_add_f32_e32 v43, v42, v43
	v_and_b32_e32 v42, 0x7f800000, v43
	s_delay_alu instid0(VALU_DEP_1) | instskip(SKIP_1) | instid1(SALU_CYCLE_1)
	v_cmp_ne_u32_e32 vcc_lo, 0x7f800000, v42
                                        ; implicit-def: $vgpr42
	s_and_saveexec_b32 s15, vcc_lo
	s_xor_b32 s15, exec_lo, s15
; %bb.920:                              ;   in Loop: Header=BB4_655 Depth=3
	v_bfe_u32 v42, v43, 16, 1
	s_delay_alu instid0(VALU_DEP_1)
	v_add3_u32 v42, v43, v42, 0x7fff
                                        ; implicit-def: $vgpr43
; %bb.921:                              ;   in Loop: Header=BB4_655 Depth=3
	s_and_not1_saveexec_b32 s15, s15
; %bb.922:                              ;   in Loop: Header=BB4_655 Depth=3
	v_and_b32_e32 v42, 0xffff, v43
	v_or_b32_e32 v61, 0x10000, v43
	s_delay_alu instid0(VALU_DEP_2) | instskip(NEXT) | instid1(VALU_DEP_2)
	v_cmp_eq_u32_e32 vcc_lo, 0, v42
	v_cndmask_b32_e32 v42, v61, v43, vcc_lo
; %bb.923:                              ;   in Loop: Header=BB4_655 Depth=3
	s_or_b32 exec_lo, exec_lo, s15
	v_and_b32_e32 v9, 0xffff0000, v9
	v_and_b32_e32 v43, 0xffff0000, v47
	s_delay_alu instid0(VALU_DEP_1) | instskip(NEXT) | instid1(VALU_DEP_1)
	v_add_f32_e32 v43, v43, v9
	v_and_b32_e32 v9, 0x7f800000, v43
	s_delay_alu instid0(VALU_DEP_1) | instskip(SKIP_1) | instid1(SALU_CYCLE_1)
	v_cmp_ne_u32_e32 vcc_lo, 0x7f800000, v9
                                        ; implicit-def: $vgpr9
	s_and_saveexec_b32 s15, vcc_lo
	s_xor_b32 s15, exec_lo, s15
; %bb.924:                              ;   in Loop: Header=BB4_655 Depth=3
	v_bfe_u32 v9, v43, 16, 1
	s_delay_alu instid0(VALU_DEP_1)
	v_add3_u32 v9, v43, v9, 0x7fff
                                        ; implicit-def: $vgpr43
; %bb.925:                              ;   in Loop: Header=BB4_655 Depth=3
	s_and_not1_saveexec_b32 s15, s15
; %bb.926:                              ;   in Loop: Header=BB4_655 Depth=3
	v_and_b32_e32 v9, 0xffff, v43
	v_or_b32_e32 v47, 0x10000, v43
	s_delay_alu instid0(VALU_DEP_2) | instskip(NEXT) | instid1(VALU_DEP_2)
	v_cmp_eq_u32_e32 vcc_lo, 0, v9
	v_cndmask_b32_e32 v9, v47, v43, vcc_lo
; %bb.927:                              ;   in Loop: Header=BB4_655 Depth=3
	s_or_b32 exec_lo, exec_lo, s15
	v_and_b32_e32 v43, 0xffff0000, v60
	v_lshlrev_b32_e32 v47, 16, v10
	s_delay_alu instid0(VALU_DEP_1) | instskip(NEXT) | instid1(VALU_DEP_1)
	v_add_f32_e32 v47, v43, v47
	v_and_b32_e32 v43, 0x7f800000, v47
	s_delay_alu instid0(VALU_DEP_1) | instskip(SKIP_1) | instid1(SALU_CYCLE_1)
	v_cmp_ne_u32_e32 vcc_lo, 0x7f800000, v43
                                        ; implicit-def: $vgpr43
	s_and_saveexec_b32 s15, vcc_lo
	s_xor_b32 s15, exec_lo, s15
; %bb.928:                              ;   in Loop: Header=BB4_655 Depth=3
	v_bfe_u32 v43, v47, 16, 1
	s_delay_alu instid0(VALU_DEP_1)
	v_add3_u32 v43, v47, v43, 0x7fff
                                        ; implicit-def: $vgpr47
; %bb.929:                              ;   in Loop: Header=BB4_655 Depth=3
	s_and_not1_saveexec_b32 s15, s15
; %bb.930:                              ;   in Loop: Header=BB4_655 Depth=3
	v_and_b32_e32 v43, 0xffff, v47
	v_or_b32_e32 v60, 0x10000, v47
	s_delay_alu instid0(VALU_DEP_2) | instskip(NEXT) | instid1(VALU_DEP_2)
	v_cmp_eq_u32_e32 vcc_lo, 0, v43
	v_cndmask_b32_e32 v43, v60, v47, vcc_lo
; %bb.931:                              ;   in Loop: Header=BB4_655 Depth=3
	s_or_b32 exec_lo, exec_lo, s15
	v_and_b32_e32 v10, 0xffff0000, v10
	v_and_b32_e32 v45, 0xffff0000, v45
	s_delay_alu instid0(VALU_DEP_1) | instskip(NEXT) | instid1(VALU_DEP_1)
	v_add_f32_e32 v45, v45, v10
	v_and_b32_e32 v10, 0x7f800000, v45
	s_delay_alu instid0(VALU_DEP_1) | instskip(SKIP_1) | instid1(SALU_CYCLE_1)
	v_cmp_ne_u32_e32 vcc_lo, 0x7f800000, v10
                                        ; implicit-def: $vgpr10
	s_and_saveexec_b32 s15, vcc_lo
	s_xor_b32 s15, exec_lo, s15
; %bb.932:                              ;   in Loop: Header=BB4_655 Depth=3
	v_bfe_u32 v10, v45, 16, 1
	s_delay_alu instid0(VALU_DEP_1)
	v_add3_u32 v10, v45, v10, 0x7fff
                                        ; implicit-def: $vgpr45
; %bb.933:                              ;   in Loop: Header=BB4_655 Depth=3
	s_and_not1_saveexec_b32 s15, s15
; %bb.934:                              ;   in Loop: Header=BB4_655 Depth=3
	v_and_b32_e32 v10, 0xffff, v45
	v_or_b32_e32 v47, 0x10000, v45
	s_delay_alu instid0(VALU_DEP_2) | instskip(NEXT) | instid1(VALU_DEP_2)
	v_cmp_eq_u32_e32 vcc_lo, 0, v10
	v_cndmask_b32_e32 v10, v47, v45, vcc_lo
; %bb.935:                              ;   in Loop: Header=BB4_655 Depth=3
	s_or_b32 exec_lo, exec_lo, s15
	v_and_b32_e32 v45, 0xffff0000, v46
	v_lshlrev_b32_e32 v46, 16, v11
	s_delay_alu instid0(VALU_DEP_1) | instskip(NEXT) | instid1(VALU_DEP_1)
	v_add_f32_e32 v46, v45, v46
	v_and_b32_e32 v45, 0x7f800000, v46
	s_delay_alu instid0(VALU_DEP_1) | instskip(SKIP_1) | instid1(SALU_CYCLE_1)
	v_cmp_ne_u32_e32 vcc_lo, 0x7f800000, v45
                                        ; implicit-def: $vgpr45
	s_and_saveexec_b32 s15, vcc_lo
	s_xor_b32 s15, exec_lo, s15
; %bb.936:                              ;   in Loop: Header=BB4_655 Depth=3
	v_bfe_u32 v45, v46, 16, 1
	s_delay_alu instid0(VALU_DEP_1)
	v_add3_u32 v45, v46, v45, 0x7fff
                                        ; implicit-def: $vgpr46
; %bb.937:                              ;   in Loop: Header=BB4_655 Depth=3
	s_and_not1_saveexec_b32 s15, s15
; %bb.938:                              ;   in Loop: Header=BB4_655 Depth=3
	v_and_b32_e32 v45, 0xffff, v46
	v_or_b32_e32 v47, 0x10000, v46
	s_delay_alu instid0(VALU_DEP_2) | instskip(NEXT) | instid1(VALU_DEP_2)
	v_cmp_eq_u32_e32 vcc_lo, 0, v45
	v_cndmask_b32_e32 v45, v47, v46, vcc_lo
; %bb.939:                              ;   in Loop: Header=BB4_655 Depth=3
	s_or_b32 exec_lo, exec_lo, s15
	v_and_b32_e32 v11, 0xffff0000, v11
	v_and_b32_e32 v15, 0xffff0000, v15
	s_delay_alu instid0(VALU_DEP_1) | instskip(NEXT) | instid1(VALU_DEP_1)
	v_add_f32_e32 v15, v15, v11
	v_and_b32_e32 v11, 0x7f800000, v15
	s_delay_alu instid0(VALU_DEP_1) | instskip(SKIP_1) | instid1(SALU_CYCLE_1)
	v_cmp_ne_u32_e32 vcc_lo, 0x7f800000, v11
                                        ; implicit-def: $vgpr11
	s_and_saveexec_b32 s15, vcc_lo
	s_xor_b32 s15, exec_lo, s15
; %bb.940:                              ;   in Loop: Header=BB4_655 Depth=3
	v_bfe_u32 v11, v15, 16, 1
	s_delay_alu instid0(VALU_DEP_1)
	v_add3_u32 v11, v15, v11, 0x7fff
                                        ; implicit-def: $vgpr15
; %bb.941:                              ;   in Loop: Header=BB4_655 Depth=3
	s_and_not1_saveexec_b32 s15, s15
; %bb.942:                              ;   in Loop: Header=BB4_655 Depth=3
	v_and_b32_e32 v11, 0xffff, v15
	v_or_b32_e32 v46, 0x10000, v15
	s_delay_alu instid0(VALU_DEP_2) | instskip(NEXT) | instid1(VALU_DEP_2)
	v_cmp_eq_u32_e32 vcc_lo, 0, v11
	v_cndmask_b32_e32 v11, v46, v15, vcc_lo
; %bb.943:                              ;   in Loop: Header=BB4_655 Depth=3
	s_or_b32 exec_lo, exec_lo, s15
	v_dual_lshrrev_b32 v15, 16, v42 :: v_dual_lshrrev_b32 v42, 16, v44
	v_dual_lshrrev_b32 v43, 16, v43 :: v_dual_lshrrev_b32 v44, 16, v45
	s_delay_alu instid0(VALU_DEP_2) | instskip(NEXT) | instid1(VALU_DEP_3)
	v_and_or_b32 v9, 0xffff0000, v9, v15
	v_and_or_b32 v8, 0xffff0000, v8, v42
	s_delay_alu instid0(VALU_DEP_3) | instskip(NEXT) | instid1(VALU_DEP_4)
	v_and_or_b32 v10, 0xffff0000, v10, v43
	v_and_or_b32 v11, 0xffff0000, v11, v44
	global_store_b128 v[40:41], v[8:11], off th:TH_STORE_NT
.LBB4_944:                              ;   in Loop: Header=BB4_655 Depth=3
	s_wait_xcnt 0x0
	s_or_b32 exec_lo, exec_lo, s14
	v_and_b32_e32 v9, 14, v13
	s_mov_b32 s92, exec_lo
                                        ; implicit-def: $vgpr13
                                        ; implicit-def: $vgpr44
                                        ; implicit-def: $vgpr8
                                        ; implicit-def: $vgpr45
	s_delay_alu instid0(VALU_DEP_1) | instskip(NEXT) | instid1(VALU_DEP_1)
	v_cndmask_b32_e64 v15, v58, v9, s13
	v_cmpx_ne_u32_e32 0, v15
	s_cbranch_execz .LBB4_1155
; %bb.945:                              ;   in Loop: Header=BB4_655 Depth=3
	v_cmp_lt_i32_e32 vcc_lo, 0, v59
	s_mov_b32 s15, 0
	s_mov_b32 s93, exec_lo
	v_dual_sub_nc_u32 v9, v58, v9 :: v_dual_ashrrev_i32 v13, 31, v15
	v_cndmask_b32_e32 v8, 0, v52, vcc_lo
	s_delay_alu instid0(VALU_DEP_1) | instskip(NEXT) | instid1(VALU_DEP_1)
	v_sub_nc_u32_e32 v8, v8, v59
	v_lshl_or_b32 v8, v8, 5, v73
	s_delay_alu instid0(VALU_DEP_1) | instskip(NEXT) | instid1(VALU_DEP_1)
	v_ashrrev_i32_e32 v10, 31, v8
	v_lshrrev_b32_e32 v10, 27, v10
	s_delay_alu instid0(VALU_DEP_1) | instskip(NEXT) | instid1(VALU_DEP_1)
	v_add_nc_u32_e32 v10, v8, v10
	v_and_b32_e32 v11, 0xffffffe0, v10
	s_delay_alu instid0(VALU_DEP_1) | instskip(SKIP_1) | instid1(VALU_DEP_2)
	v_dual_sub_nc_u32 v47, v8, v11 :: v_dual_lshrrev_b32 v8, 23, v13
	v_dual_ashrrev_i32 v10, 5, v10 :: v_dual_cndmask_b32 v9, 0, v9, s13
	v_dual_lshlrev_b32 v11, 4, v47 :: v_dual_add_nc_u32 v13, v15, v8
	s_delay_alu instid0(VALU_DEP_2) | instskip(NEXT) | instid1(VALU_DEP_2)
	v_add_nc_u32_e32 v46, v9, v57
	v_lshl_add_u32 v11, v10, 9, v11
	s_delay_alu instid0(VALU_DEP_3) | instskip(NEXT) | instid1(VALU_DEP_2)
	v_and_b32_e32 v57, 0xfffffe00, v13
	v_dual_ashrrev_i32 v13, 9, v13 :: v_dual_add_nc_u32 v8, v11, v46
	s_delay_alu instid0(VALU_DEP_1) | instskip(NEXT) | instid1(VALU_DEP_1)
	v_dual_sub_nc_u32 v58, v15, v57 :: v_dual_ashrrev_i32 v9, 31, v8
	v_cmp_lt_i32_e64 s13, 15, v58
	s_delay_alu instid0(VALU_DEP_2) | instskip(NEXT) | instid1(VALU_DEP_2)
	v_add_nc_u64_e32 v[40:41], v[8:9], v[20:21]
	v_add_co_ci_u32_e64 v42, null, 0, v13, s13
	s_delay_alu instid0(VALU_DEP_1) | instskip(NEXT) | instid1(VALU_DEP_1)
	v_dual_sub_nc_u32 v13, v15, v11 :: v_dual_sub_nc_u32 v59, v42, v10
	v_cmpx_lt_i32_e32 15, v13
	s_cbranch_execz .LBB4_1086
; %bb.946:                              ;   in Loop: Header=BB4_655 Depth=3
	s_trap 2
	ds_load_b32 v10, v0
	v_add_nc_u64_e32 v[42:43], v[8:9], v[18:19]
	s_wait_dscnt 0x1
	v_add_nc_u64_e32 v[22:23], v[8:9], v[22:23]
	s_mov_b32 vcc_hi, 0
	s_mov_b32 s94, 0
                                        ; implicit-def: $sgpr95
	s_wait_dscnt 0x0
	v_lshlrev_b32_e32 v60, 16, v10
	s_branch .LBB4_948
.LBB4_947:                              ;   in Loop: Header=BB4_948 Depth=4
	s_or_b32 exec_lo, exec_lo, s14
	s_delay_alu instid0(VALU_DEP_1) | instskip(SKIP_3) | instid1(SALU_CYCLE_1)
	v_cmp_gt_i32_e32 vcc_lo, 16, v13
	s_or_b32 s94, vcc_lo, s94
	s_and_not1_b32 s14, s95, exec_lo
	s_and_b32 s15, vcc_hi, exec_lo
	s_or_b32 s95, s14, s15
	s_and_not1_b32 exec_lo, exec_lo, s94
	s_cbranch_execz .LBB4_1085
.LBB4_948:                              ;   Parent Loop BB4_47 Depth=1
                                        ;     Parent Loop BB4_652 Depth=2
                                        ;       Parent Loop BB4_655 Depth=3
                                        ; =>      This Loop Header: Depth=4
                                        ;           Child Loop BB4_949 Depth 5
                                        ;           Child Loop BB4_1018 Depth 5
	s_add_co_i32 s14, s33, 0xa0
	s_mov_b64 s[40:41], 0
	s_mov_b32 s30, s14
	s_mov_b32 s31, -1
.LBB4_949:                              ;   Parent Loop BB4_47 Depth=1
                                        ;     Parent Loop BB4_652 Depth=2
                                        ;       Parent Loop BB4_655 Depth=3
                                        ;         Parent Loop BB4_948 Depth=4
                                        ; =>        This Inner Loop Header: Depth=5
	s_cmp_eq_u32 s40, 1
	s_cselect_b32 vcc_lo, -1, 0
	s_cmp_eq_u32 s40, 0
	v_dual_cndmask_b32 v45, v43, v23 :: v_dual_cndmask_b32 v44, v42, v22
	s_cselect_b32 s14, -1, 0
	s_and_b32 s15, exec_lo, s31
	s_mov_b64 s[40:41], 1
	s_mov_b32 s31, 0
	global_load_b128 v[8:11], v[44:45], off th:TH_LOAD_NT
	s_wait_xcnt 0x0
	v_add_nc_u64_e32 v[44:45], 0x200, v[44:45]
	s_delay_alu instid0(VALU_DEP_1)
	v_dual_cndmask_b32 v43, v43, v45, s14 :: v_dual_cndmask_b32 v42, v42, v44, s14
	v_dual_cndmask_b32 v23, v23, v45 :: v_dual_cndmask_b32 v22, v22, v44
	s_mov_b32 vcc_lo, s15
	s_wait_loadcnt 0x0
	scratch_store_b128 off, v[8:11], s30
	s_wait_xcnt 0x0
	s_mov_b32 s30, s58
	s_cbranch_vccnz .LBB4_949
; %bb.950:                              ;   in Loop: Header=BB4_948 Depth=4
	s_and_saveexec_b32 s14, vcc_hi
	s_cbranch_execz .LBB4_1016
; %bb.951:                              ;   in Loop: Header=BB4_948 Depth=4
	scratch_load_b128 v[8:11], off, s33 offset:192
	s_wait_loadcnt 0x0
	v_lshlrev_b32_e32 v44, 16, v8
	s_delay_alu instid0(VALU_DEP_1) | instskip(NEXT) | instid1(VALU_DEP_1)
	v_mul_f32_e32 v44, v60, v44
	v_and_b32_e32 v45, 0x7f800000, v44
	s_delay_alu instid0(VALU_DEP_1) | instskip(SKIP_2) | instid1(SALU_CYCLE_1)
	v_cmp_ne_u32_e32 vcc_lo, 0x7f800000, v45
                                        ; implicit-def: $vgpr45
	s_wait_xcnt 0x0
	s_and_saveexec_b32 s15, vcc_lo
	s_xor_b32 s15, exec_lo, s15
; %bb.952:                              ;   in Loop: Header=BB4_948 Depth=4
	v_bfe_u32 v45, v44, 16, 1
	s_delay_alu instid0(VALU_DEP_1)
	v_add3_u32 v45, v44, v45, 0x7fff
                                        ; implicit-def: $vgpr44
; %bb.953:                              ;   in Loop: Header=BB4_948 Depth=4
	s_and_not1_saveexec_b32 s15, s15
; %bb.954:                              ;   in Loop: Header=BB4_948 Depth=4
	v_and_b32_e32 v45, 0xffff, v44
	v_or_b32_e32 v61, 0x10000, v44
	s_delay_alu instid0(VALU_DEP_2) | instskip(NEXT) | instid1(VALU_DEP_2)
	v_cmp_eq_u32_e32 vcc_lo, 0, v45
	v_cndmask_b32_e32 v45, v61, v44, vcc_lo
; %bb.955:                              ;   in Loop: Header=BB4_948 Depth=4
	s_or_b32 exec_lo, exec_lo, s15
	v_and_b32_e32 v8, 0xffff0000, v8
	s_delay_alu instid0(VALU_DEP_1) | instskip(NEXT) | instid1(VALU_DEP_1)
	v_mul_f32_e32 v8, v60, v8
	v_and_b32_e32 v44, 0x7f800000, v8
	s_delay_alu instid0(VALU_DEP_1) | instskip(SKIP_1) | instid1(SALU_CYCLE_1)
	v_cmp_ne_u32_e32 vcc_lo, 0x7f800000, v44
                                        ; implicit-def: $vgpr44
	s_and_saveexec_b32 s15, vcc_lo
	s_xor_b32 s15, exec_lo, s15
; %bb.956:                              ;   in Loop: Header=BB4_948 Depth=4
	v_bfe_u32 v44, v8, 16, 1
	s_delay_alu instid0(VALU_DEP_1)
	v_add3_u32 v44, v8, v44, 0x7fff
                                        ; implicit-def: $vgpr8
; %bb.957:                              ;   in Loop: Header=BB4_948 Depth=4
	s_and_not1_saveexec_b32 s15, s15
; %bb.958:                              ;   in Loop: Header=BB4_948 Depth=4
	v_and_b32_e32 v44, 0xffff, v8
	v_or_b32_e32 v61, 0x10000, v8
	s_delay_alu instid0(VALU_DEP_2) | instskip(NEXT) | instid1(VALU_DEP_2)
	v_cmp_eq_u32_e32 vcc_lo, 0, v44
	v_cndmask_b32_e32 v44, v61, v8, vcc_lo
; %bb.959:                              ;   in Loop: Header=BB4_948 Depth=4
	s_or_b32 exec_lo, exec_lo, s15
	v_lshlrev_b32_e32 v8, 16, v9
	s_mov_b32 s15, exec_lo
                                        ; implicit-def: $vgpr91
	s_delay_alu instid0(VALU_DEP_1) | instskip(NEXT) | instid1(VALU_DEP_1)
	v_mul_f32_e32 v8, v60, v8
	v_and_b32_e32 v61, 0x7f800000, v8
	s_delay_alu instid0(VALU_DEP_1)
	v_cmpx_ne_u32_e32 0x7f800000, v61
	s_xor_b32 s15, exec_lo, s15
; %bb.960:                              ;   in Loop: Header=BB4_948 Depth=4
	v_bfe_u32 v61, v8, 16, 1
	s_delay_alu instid0(VALU_DEP_1)
	v_add3_u32 v91, v8, v61, 0x7fff
                                        ; implicit-def: $vgpr8
; %bb.961:                              ;   in Loop: Header=BB4_948 Depth=4
	s_and_not1_saveexec_b32 s15, s15
; %bb.962:                              ;   in Loop: Header=BB4_948 Depth=4
	v_and_b32_e32 v61, 0xffff, v8
	v_or_b32_e32 v62, 0x10000, v8
	s_delay_alu instid0(VALU_DEP_2) | instskip(NEXT) | instid1(VALU_DEP_2)
	v_cmp_eq_u32_e32 vcc_lo, 0, v61
	v_cndmask_b32_e32 v91, v62, v8, vcc_lo
; %bb.963:                              ;   in Loop: Header=BB4_948 Depth=4
	s_or_b32 exec_lo, exec_lo, s15
	v_and_b32_e32 v8, 0xffff0000, v9
	s_mov_b32 s15, exec_lo
                                        ; implicit-def: $vgpr89
	s_delay_alu instid0(VALU_DEP_1) | instskip(NEXT) | instid1(VALU_DEP_1)
	v_mul_f32_e32 v8, v60, v8
	v_and_b32_e32 v9, 0x7f800000, v8
	s_delay_alu instid0(VALU_DEP_1)
	v_cmpx_ne_u32_e32 0x7f800000, v9
	s_xor_b32 s15, exec_lo, s15
; %bb.964:                              ;   in Loop: Header=BB4_948 Depth=4
	v_bfe_u32 v9, v8, 16, 1
	s_delay_alu instid0(VALU_DEP_1)
	v_add3_u32 v89, v8, v9, 0x7fff
                                        ; implicit-def: $vgpr8
; %bb.965:                              ;   in Loop: Header=BB4_948 Depth=4
	s_and_not1_saveexec_b32 s15, s15
; %bb.966:                              ;   in Loop: Header=BB4_948 Depth=4
	v_and_b32_e32 v9, 0xffff, v8
	v_or_b32_e32 v61, 0x10000, v8
	s_delay_alu instid0(VALU_DEP_2) | instskip(NEXT) | instid1(VALU_DEP_2)
	v_cmp_eq_u32_e32 vcc_lo, 0, v9
	v_cndmask_b32_e32 v89, v61, v8, vcc_lo
; %bb.967:                              ;   in Loop: Header=BB4_948 Depth=4
	s_or_b32 exec_lo, exec_lo, s15
	v_lshlrev_b32_e32 v8, 16, v10
	s_mov_b32 s15, exec_lo
                                        ; implicit-def: $vgpr90
	s_delay_alu instid0(VALU_DEP_1) | instskip(NEXT) | instid1(VALU_DEP_1)
	v_mul_f32_e32 v8, v60, v8
	v_and_b32_e32 v9, 0x7f800000, v8
	s_delay_alu instid0(VALU_DEP_1)
	v_cmpx_ne_u32_e32 0x7f800000, v9
	s_xor_b32 s15, exec_lo, s15
; %bb.968:                              ;   in Loop: Header=BB4_948 Depth=4
	v_bfe_u32 v9, v8, 16, 1
	s_delay_alu instid0(VALU_DEP_1)
	v_add3_u32 v90, v8, v9, 0x7fff
                                        ; implicit-def: $vgpr8
; %bb.969:                              ;   in Loop: Header=BB4_948 Depth=4
	s_and_not1_saveexec_b32 s15, s15
; %bb.970:                              ;   in Loop: Header=BB4_948 Depth=4
	v_and_b32_e32 v9, 0xffff, v8
	v_or_b32_e32 v61, 0x10000, v8
	s_delay_alu instid0(VALU_DEP_2) | instskip(NEXT) | instid1(VALU_DEP_2)
	v_cmp_eq_u32_e32 vcc_lo, 0, v9
	v_cndmask_b32_e32 v90, v61, v8, vcc_lo
; %bb.971:                              ;   in Loop: Header=BB4_948 Depth=4
	s_or_b32 exec_lo, exec_lo, s15
	v_and_b32_e32 v8, 0xffff0000, v10
	s_mov_b32 s15, exec_lo
                                        ; implicit-def: $vgpr63
	s_delay_alu instid0(VALU_DEP_1) | instskip(NEXT) | instid1(VALU_DEP_1)
	v_mul_f32_e32 v8, v60, v8
	v_and_b32_e32 v9, 0x7f800000, v8
	s_delay_alu instid0(VALU_DEP_1)
	v_cmpx_ne_u32_e32 0x7f800000, v9
	s_xor_b32 s15, exec_lo, s15
; %bb.972:                              ;   in Loop: Header=BB4_948 Depth=4
	v_bfe_u32 v9, v8, 16, 1
	s_delay_alu instid0(VALU_DEP_1)
	v_add3_u32 v63, v8, v9, 0x7fff
                                        ; implicit-def: $vgpr8
; %bb.973:                              ;   in Loop: Header=BB4_948 Depth=4
	s_and_not1_saveexec_b32 s15, s15
; %bb.974:                              ;   in Loop: Header=BB4_948 Depth=4
	v_and_b32_e32 v9, 0xffff, v8
	v_or_b32_e32 v10, 0x10000, v8
	s_delay_alu instid0(VALU_DEP_2) | instskip(NEXT) | instid1(VALU_DEP_2)
	v_cmp_eq_u32_e32 vcc_lo, 0, v9
	v_cndmask_b32_e32 v63, v10, v8, vcc_lo
; %bb.975:                              ;   in Loop: Header=BB4_948 Depth=4
	s_or_b32 exec_lo, exec_lo, s15
	v_lshlrev_b32_e32 v8, 16, v11
	s_mov_b32 s15, exec_lo
                                        ; implicit-def: $vgpr88
	s_delay_alu instid0(VALU_DEP_1) | instskip(NEXT) | instid1(VALU_DEP_1)
	v_mul_f32_e32 v8, v60, v8
	v_and_b32_e32 v9, 0x7f800000, v8
	s_delay_alu instid0(VALU_DEP_1)
	v_cmpx_ne_u32_e32 0x7f800000, v9
	s_xor_b32 s15, exec_lo, s15
; %bb.976:                              ;   in Loop: Header=BB4_948 Depth=4
	v_bfe_u32 v9, v8, 16, 1
	s_delay_alu instid0(VALU_DEP_1)
	v_add3_u32 v88, v8, v9, 0x7fff
                                        ; implicit-def: $vgpr8
; %bb.977:                              ;   in Loop: Header=BB4_948 Depth=4
	s_and_not1_saveexec_b32 s15, s15
; %bb.978:                              ;   in Loop: Header=BB4_948 Depth=4
	v_and_b32_e32 v9, 0xffff, v8
	v_or_b32_e32 v10, 0x10000, v8
	s_delay_alu instid0(VALU_DEP_2) | instskip(NEXT) | instid1(VALU_DEP_2)
	v_cmp_eq_u32_e32 vcc_lo, 0, v9
	v_cndmask_b32_e32 v88, v10, v8, vcc_lo
; %bb.979:                              ;   in Loop: Header=BB4_948 Depth=4
	s_or_b32 exec_lo, exec_lo, s15
	v_and_b32_e32 v8, 0xffff0000, v11
	s_mov_b32 s15, exec_lo
                                        ; implicit-def: $vgpr61
	s_delay_alu instid0(VALU_DEP_1) | instskip(NEXT) | instid1(VALU_DEP_1)
	v_mul_f32_e32 v8, v60, v8
	v_and_b32_e32 v9, 0x7f800000, v8
	s_delay_alu instid0(VALU_DEP_1)
	v_cmpx_ne_u32_e32 0x7f800000, v9
	s_xor_b32 s15, exec_lo, s15
; %bb.980:                              ;   in Loop: Header=BB4_948 Depth=4
	v_bfe_u32 v9, v8, 16, 1
	s_delay_alu instid0(VALU_DEP_1)
	v_add3_u32 v61, v8, v9, 0x7fff
                                        ; implicit-def: $vgpr8
; %bb.981:                              ;   in Loop: Header=BB4_948 Depth=4
	s_and_not1_saveexec_b32 s15, s15
; %bb.982:                              ;   in Loop: Header=BB4_948 Depth=4
	v_and_b32_e32 v9, 0xffff, v8
	v_or_b32_e32 v10, 0x10000, v8
	s_delay_alu instid0(VALU_DEP_2) | instskip(NEXT) | instid1(VALU_DEP_2)
	v_cmp_eq_u32_e32 vcc_lo, 0, v9
	v_cndmask_b32_e32 v61, v10, v8, vcc_lo
; %bb.983:                              ;   in Loop: Header=BB4_948 Depth=4
	s_or_b32 exec_lo, exec_lo, s15
	scratch_load_b128 v[8:11], off, s33 offset:208
	v_and_b32_e32 v45, 0xffff0000, v45
	s_wait_loadcnt 0x0
	v_lshlrev_b32_e32 v62, 16, v8
	s_delay_alu instid0(VALU_DEP_1) | instskip(NEXT) | instid1(VALU_DEP_1)
	v_add_f32_e32 v45, v45, v62
	v_and_b32_e32 v62, 0x7f800000, v45
	s_delay_alu instid0(VALU_DEP_1) | instskip(SKIP_2) | instid1(SALU_CYCLE_1)
	v_cmp_ne_u32_e32 vcc_lo, 0x7f800000, v62
                                        ; implicit-def: $vgpr62
	s_wait_xcnt 0x0
	s_and_saveexec_b32 s15, vcc_lo
	s_xor_b32 s15, exec_lo, s15
; %bb.984:                              ;   in Loop: Header=BB4_948 Depth=4
	v_bfe_u32 v62, v45, 16, 1
	s_delay_alu instid0(VALU_DEP_1)
	v_add3_u32 v62, v45, v62, 0x7fff
                                        ; implicit-def: $vgpr45
; %bb.985:                              ;   in Loop: Header=BB4_948 Depth=4
	s_and_not1_saveexec_b32 s15, s15
; %bb.986:                              ;   in Loop: Header=BB4_948 Depth=4
	v_and_b32_e32 v62, 0xffff, v45
	v_or_b32_e32 v92, 0x10000, v45
	s_delay_alu instid0(VALU_DEP_2) | instskip(NEXT) | instid1(VALU_DEP_2)
	v_cmp_eq_u32_e32 vcc_lo, 0, v62
	v_cndmask_b32_e32 v62, v92, v45, vcc_lo
; %bb.987:                              ;   in Loop: Header=BB4_948 Depth=4
	s_or_b32 exec_lo, exec_lo, s15
	v_and_b32_e32 v45, 0xffff0000, v8
	v_and_b32_e32 v44, 0xffff0000, v44
	s_delay_alu instid0(VALU_DEP_2) | instskip(NEXT) | instid1(VALU_DEP_1)
	v_mov_b32_e32 v8, v45
	v_pk_add_f32 v[44:45], v[8:9], v[44:45]
	s_delay_alu instid0(VALU_DEP_1) | instskip(NEXT) | instid1(VALU_DEP_1)
	v_and_b32_e32 v8, 0x7f800000, v44
	v_cmp_ne_u32_e32 vcc_lo, 0x7f800000, v8
                                        ; implicit-def: $vgpr8
	s_and_saveexec_b32 s15, vcc_lo
	s_delay_alu instid0(SALU_CYCLE_1)
	s_xor_b32 s15, exec_lo, s15
; %bb.988:                              ;   in Loop: Header=BB4_948 Depth=4
	v_bfe_u32 v8, v44, 16, 1
	s_delay_alu instid0(VALU_DEP_1)
	v_add3_u32 v8, v44, v8, 0x7fff
                                        ; implicit-def: $vgpr44_vgpr45
; %bb.989:                              ;   in Loop: Header=BB4_948 Depth=4
	s_and_not1_saveexec_b32 s15, s15
; %bb.990:                              ;   in Loop: Header=BB4_948 Depth=4
	v_and_b32_e32 v8, 0xffff, v44
	v_or_b32_e32 v45, 0x10000, v44
	s_delay_alu instid0(VALU_DEP_2) | instskip(NEXT) | instid1(VALU_DEP_2)
	v_cmp_eq_u32_e32 vcc_lo, 0, v8
	v_cndmask_b32_e32 v8, v45, v44, vcc_lo
; %bb.991:                              ;   in Loop: Header=BB4_948 Depth=4
	s_or_b32 exec_lo, exec_lo, s15
	v_and_b32_e32 v44, 0xffff0000, v91
	v_lshlrev_b32_e32 v45, 16, v9
	s_delay_alu instid0(VALU_DEP_1) | instskip(NEXT) | instid1(VALU_DEP_1)
	v_add_f32_e32 v45, v44, v45
	v_and_b32_e32 v44, 0x7f800000, v45
	s_delay_alu instid0(VALU_DEP_1) | instskip(SKIP_1) | instid1(SALU_CYCLE_1)
	v_cmp_ne_u32_e32 vcc_lo, 0x7f800000, v44
                                        ; implicit-def: $vgpr44
	s_and_saveexec_b32 s15, vcc_lo
	s_xor_b32 s15, exec_lo, s15
; %bb.992:                              ;   in Loop: Header=BB4_948 Depth=4
	v_bfe_u32 v44, v45, 16, 1
	s_delay_alu instid0(VALU_DEP_1)
	v_add3_u32 v44, v45, v44, 0x7fff
                                        ; implicit-def: $vgpr45
; %bb.993:                              ;   in Loop: Header=BB4_948 Depth=4
	s_and_not1_saveexec_b32 s15, s15
; %bb.994:                              ;   in Loop: Header=BB4_948 Depth=4
	v_and_b32_e32 v44, 0xffff, v45
	v_or_b32_e32 v91, 0x10000, v45
	s_delay_alu instid0(VALU_DEP_2) | instskip(NEXT) | instid1(VALU_DEP_2)
	v_cmp_eq_u32_e32 vcc_lo, 0, v44
	v_cndmask_b32_e32 v44, v91, v45, vcc_lo
; %bb.995:                              ;   in Loop: Header=BB4_948 Depth=4
	s_or_b32 exec_lo, exec_lo, s15
	v_and_b32_e32 v9, 0xffff0000, v9
	v_and_b32_e32 v45, 0xffff0000, v89
	s_delay_alu instid0(VALU_DEP_1) | instskip(NEXT) | instid1(VALU_DEP_1)
	v_add_f32_e32 v45, v45, v9
	v_and_b32_e32 v9, 0x7f800000, v45
	s_delay_alu instid0(VALU_DEP_1) | instskip(SKIP_1) | instid1(SALU_CYCLE_1)
	v_cmp_ne_u32_e32 vcc_lo, 0x7f800000, v9
                                        ; implicit-def: $vgpr9
	s_and_saveexec_b32 s15, vcc_lo
	s_xor_b32 s15, exec_lo, s15
; %bb.996:                              ;   in Loop: Header=BB4_948 Depth=4
	v_bfe_u32 v9, v45, 16, 1
	s_delay_alu instid0(VALU_DEP_1)
	v_add3_u32 v9, v45, v9, 0x7fff
                                        ; implicit-def: $vgpr45
; %bb.997:                              ;   in Loop: Header=BB4_948 Depth=4
	s_and_not1_saveexec_b32 s15, s15
; %bb.998:                              ;   in Loop: Header=BB4_948 Depth=4
	v_and_b32_e32 v9, 0xffff, v45
	v_or_b32_e32 v89, 0x10000, v45
	s_delay_alu instid0(VALU_DEP_2) | instskip(NEXT) | instid1(VALU_DEP_2)
	v_cmp_eq_u32_e32 vcc_lo, 0, v9
	v_cndmask_b32_e32 v9, v89, v45, vcc_lo
; %bb.999:                              ;   in Loop: Header=BB4_948 Depth=4
	s_or_b32 exec_lo, exec_lo, s15
	v_and_b32_e32 v45, 0xffff0000, v90
	v_lshlrev_b32_e32 v89, 16, v10
	s_delay_alu instid0(VALU_DEP_1) | instskip(NEXT) | instid1(VALU_DEP_1)
	v_add_f32_e32 v89, v45, v89
	v_and_b32_e32 v45, 0x7f800000, v89
	s_delay_alu instid0(VALU_DEP_1) | instskip(SKIP_1) | instid1(SALU_CYCLE_1)
	v_cmp_ne_u32_e32 vcc_lo, 0x7f800000, v45
                                        ; implicit-def: $vgpr45
	s_and_saveexec_b32 s15, vcc_lo
	s_xor_b32 s15, exec_lo, s15
; %bb.1000:                             ;   in Loop: Header=BB4_948 Depth=4
	v_bfe_u32 v45, v89, 16, 1
	s_delay_alu instid0(VALU_DEP_1)
	v_add3_u32 v45, v89, v45, 0x7fff
                                        ; implicit-def: $vgpr89
; %bb.1001:                             ;   in Loop: Header=BB4_948 Depth=4
	s_and_not1_saveexec_b32 s15, s15
; %bb.1002:                             ;   in Loop: Header=BB4_948 Depth=4
	v_and_b32_e32 v45, 0xffff, v89
	v_or_b32_e32 v90, 0x10000, v89
	s_delay_alu instid0(VALU_DEP_2) | instskip(NEXT) | instid1(VALU_DEP_2)
	v_cmp_eq_u32_e32 vcc_lo, 0, v45
	v_cndmask_b32_e32 v45, v90, v89, vcc_lo
; %bb.1003:                             ;   in Loop: Header=BB4_948 Depth=4
	s_or_b32 exec_lo, exec_lo, s15
	v_and_b32_e32 v10, 0xffff0000, v10
	v_and_b32_e32 v63, 0xffff0000, v63
	s_delay_alu instid0(VALU_DEP_1) | instskip(NEXT) | instid1(VALU_DEP_1)
	v_add_f32_e32 v63, v63, v10
	v_and_b32_e32 v10, 0x7f800000, v63
	s_delay_alu instid0(VALU_DEP_1) | instskip(SKIP_1) | instid1(SALU_CYCLE_1)
	v_cmp_ne_u32_e32 vcc_lo, 0x7f800000, v10
                                        ; implicit-def: $vgpr10
	s_and_saveexec_b32 s15, vcc_lo
	s_xor_b32 s15, exec_lo, s15
; %bb.1004:                             ;   in Loop: Header=BB4_948 Depth=4
	v_bfe_u32 v10, v63, 16, 1
	s_delay_alu instid0(VALU_DEP_1)
	v_add3_u32 v10, v63, v10, 0x7fff
                                        ; implicit-def: $vgpr63
; %bb.1005:                             ;   in Loop: Header=BB4_948 Depth=4
	s_and_not1_saveexec_b32 s15, s15
; %bb.1006:                             ;   in Loop: Header=BB4_948 Depth=4
	v_and_b32_e32 v10, 0xffff, v63
	v_or_b32_e32 v89, 0x10000, v63
	s_delay_alu instid0(VALU_DEP_2) | instskip(NEXT) | instid1(VALU_DEP_2)
	v_cmp_eq_u32_e32 vcc_lo, 0, v10
	v_cndmask_b32_e32 v10, v89, v63, vcc_lo
; %bb.1007:                             ;   in Loop: Header=BB4_948 Depth=4
	s_or_b32 exec_lo, exec_lo, s15
	v_and_b32_e32 v63, 0xffff0000, v88
	v_lshlrev_b32_e32 v88, 16, v11
	s_delay_alu instid0(VALU_DEP_1) | instskip(NEXT) | instid1(VALU_DEP_1)
	v_add_f32_e32 v88, v63, v88
	v_and_b32_e32 v63, 0x7f800000, v88
	s_delay_alu instid0(VALU_DEP_1) | instskip(SKIP_1) | instid1(SALU_CYCLE_1)
	v_cmp_ne_u32_e32 vcc_lo, 0x7f800000, v63
                                        ; implicit-def: $vgpr63
	s_and_saveexec_b32 s15, vcc_lo
	s_xor_b32 s15, exec_lo, s15
; %bb.1008:                             ;   in Loop: Header=BB4_948 Depth=4
	v_bfe_u32 v63, v88, 16, 1
	s_delay_alu instid0(VALU_DEP_1)
	v_add3_u32 v63, v88, v63, 0x7fff
                                        ; implicit-def: $vgpr88
; %bb.1009:                             ;   in Loop: Header=BB4_948 Depth=4
	s_and_not1_saveexec_b32 s15, s15
; %bb.1010:                             ;   in Loop: Header=BB4_948 Depth=4
	v_and_b32_e32 v63, 0xffff, v88
	v_or_b32_e32 v89, 0x10000, v88
	s_delay_alu instid0(VALU_DEP_2) | instskip(NEXT) | instid1(VALU_DEP_2)
	v_cmp_eq_u32_e32 vcc_lo, 0, v63
	v_cndmask_b32_e32 v63, v89, v88, vcc_lo
; %bb.1011:                             ;   in Loop: Header=BB4_948 Depth=4
	s_or_b32 exec_lo, exec_lo, s15
	v_and_b32_e32 v11, 0xffff0000, v11
	v_and_b32_e32 v61, 0xffff0000, v61
	s_delay_alu instid0(VALU_DEP_1) | instskip(NEXT) | instid1(VALU_DEP_1)
	v_add_f32_e32 v61, v61, v11
	v_and_b32_e32 v11, 0x7f800000, v61
	s_delay_alu instid0(VALU_DEP_1) | instskip(SKIP_1) | instid1(SALU_CYCLE_1)
	v_cmp_ne_u32_e32 vcc_lo, 0x7f800000, v11
                                        ; implicit-def: $vgpr11
	s_and_saveexec_b32 s15, vcc_lo
	s_xor_b32 s15, exec_lo, s15
; %bb.1012:                             ;   in Loop: Header=BB4_948 Depth=4
	v_bfe_u32 v11, v61, 16, 1
	s_delay_alu instid0(VALU_DEP_1)
	v_add3_u32 v11, v61, v11, 0x7fff
                                        ; implicit-def: $vgpr61
; %bb.1013:                             ;   in Loop: Header=BB4_948 Depth=4
	s_and_not1_saveexec_b32 s15, s15
; %bb.1014:                             ;   in Loop: Header=BB4_948 Depth=4
	v_and_b32_e32 v11, 0xffff, v61
	v_or_b32_e32 v88, 0x10000, v61
	s_delay_alu instid0(VALU_DEP_2) | instskip(NEXT) | instid1(VALU_DEP_2)
	v_cmp_eq_u32_e32 vcc_lo, 0, v11
	v_cndmask_b32_e32 v11, v88, v61, vcc_lo
; %bb.1015:                             ;   in Loop: Header=BB4_948 Depth=4
	s_or_b32 exec_lo, exec_lo, s15
	v_dual_lshrrev_b32 v44, 16, v44 :: v_dual_lshrrev_b32 v61, 16, v62
	v_dual_lshrrev_b32 v45, 16, v45 :: v_dual_lshrrev_b32 v62, 16, v63
	s_delay_alu instid0(VALU_DEP_2) | instskip(NEXT) | instid1(VALU_DEP_3)
	v_and_or_b32 v9, 0xffff0000, v9, v44
	v_and_or_b32 v8, 0xffff0000, v8, v61
	s_delay_alu instid0(VALU_DEP_3) | instskip(NEXT) | instid1(VALU_DEP_4)
	v_and_or_b32 v10, 0xffff0000, v10, v45
	v_and_or_b32 v11, 0xffff0000, v11, v62
	global_store_b128 v[40:41], v[8:11], off th:TH_STORE_NT
	s_wait_xcnt 0x0
	v_add_nc_u64_e32 v[40:41], v[100:101], v[40:41]
	scratch_store_b128 off, v[8:11], s33 offset:192
.LBB4_1016:                             ;   in Loop: Header=BB4_948 Depth=4
	s_wait_xcnt 0x0
	s_or_b32 exec_lo, exec_lo, s14
	v_sub_nc_u32_e32 v13, v13, v78
	v_add_nc_u64_e32 v[42:43], v[42:43], v[84:85]
	v_add_nc_u64_e32 v[22:23], v[22:23], v[84:85]
	s_delay_alu instid0(VALU_DEP_3)
	v_cmp_lt_i32_e64 vcc_hi, 15, v13
	s_and_saveexec_b32 s30, vcc_hi
	s_cbranch_execz .LBB4_1019
; %bb.1017:                             ;   in Loop: Header=BB4_948 Depth=4
	s_add_co_i32 s14, s33, 0xc0
	s_mov_b64 s[40:41], 0
	s_mov_b32 s31, s14
	s_mov_b32 s34, -1
.LBB4_1018:                             ;   Parent Loop BB4_47 Depth=1
                                        ;     Parent Loop BB4_652 Depth=2
                                        ;       Parent Loop BB4_655 Depth=3
                                        ;         Parent Loop BB4_948 Depth=4
                                        ; =>        This Inner Loop Header: Depth=5
	s_cmp_eq_u32 s40, 1
	s_cselect_b32 vcc_lo, -1, 0
	s_cmp_eq_u32 s40, 0
	v_dual_cndmask_b32 v45, v43, v23 :: v_dual_cndmask_b32 v44, v42, v22
	s_cselect_b32 s14, -1, 0
	s_and_b32 s15, exec_lo, s34
	s_mov_b64 s[40:41], 1
	s_mov_b32 s34, 0
	global_load_b128 v[8:11], v[44:45], off th:TH_LOAD_NT
	s_wait_xcnt 0x0
	v_add_nc_u64_e32 v[44:45], 0x200, v[44:45]
	s_delay_alu instid0(VALU_DEP_1)
	v_dual_cndmask_b32 v43, v43, v45, s14 :: v_dual_cndmask_b32 v42, v42, v44, s14
	v_dual_cndmask_b32 v23, v23, v45 :: v_dual_cndmask_b32 v22, v22, v44
	s_mov_b32 vcc_lo, s15
	s_wait_loadcnt 0x0
	scratch_store_b128 off, v[8:11], s31
	s_wait_xcnt 0x0
	s_mov_b32 s31, s57
	s_cbranch_vccnz .LBB4_1018
.LBB4_1019:                             ;   in Loop: Header=BB4_948 Depth=4
	s_or_b32 exec_lo, exec_lo, s30
	scratch_load_b128 v[8:11], off, s33 offset:160
	s_wait_loadcnt 0x0
	v_lshlrev_b32_e32 v44, 16, v8
	s_delay_alu instid0(VALU_DEP_1) | instskip(NEXT) | instid1(VALU_DEP_1)
	v_mul_f32_e32 v44, v60, v44
	v_and_b32_e32 v45, 0x7f800000, v44
	s_delay_alu instid0(VALU_DEP_1) | instskip(SKIP_2) | instid1(SALU_CYCLE_1)
	v_cmp_ne_u32_e32 vcc_lo, 0x7f800000, v45
                                        ; implicit-def: $vgpr45
	s_wait_xcnt 0x0
	s_and_saveexec_b32 s14, vcc_lo
	s_xor_b32 s14, exec_lo, s14
; %bb.1020:                             ;   in Loop: Header=BB4_948 Depth=4
	v_bfe_u32 v45, v44, 16, 1
	s_delay_alu instid0(VALU_DEP_1)
	v_add3_u32 v45, v44, v45, 0x7fff
                                        ; implicit-def: $vgpr44
; %bb.1021:                             ;   in Loop: Header=BB4_948 Depth=4
	s_and_not1_saveexec_b32 s14, s14
; %bb.1022:                             ;   in Loop: Header=BB4_948 Depth=4
	v_and_b32_e32 v45, 0xffff, v44
	v_or_b32_e32 v61, 0x10000, v44
	s_delay_alu instid0(VALU_DEP_2) | instskip(NEXT) | instid1(VALU_DEP_2)
	v_cmp_eq_u32_e32 vcc_lo, 0, v45
	v_cndmask_b32_e32 v45, v61, v44, vcc_lo
; %bb.1023:                             ;   in Loop: Header=BB4_948 Depth=4
	s_or_b32 exec_lo, exec_lo, s14
	v_and_b32_e32 v8, 0xffff0000, v8
	s_delay_alu instid0(VALU_DEP_1) | instskip(NEXT) | instid1(VALU_DEP_1)
	v_mul_f32_e32 v8, v60, v8
	v_and_b32_e32 v44, 0x7f800000, v8
	s_delay_alu instid0(VALU_DEP_1) | instskip(SKIP_1) | instid1(SALU_CYCLE_1)
	v_cmp_ne_u32_e32 vcc_lo, 0x7f800000, v44
                                        ; implicit-def: $vgpr44
	s_and_saveexec_b32 s14, vcc_lo
	s_xor_b32 s14, exec_lo, s14
; %bb.1024:                             ;   in Loop: Header=BB4_948 Depth=4
	v_bfe_u32 v44, v8, 16, 1
	s_delay_alu instid0(VALU_DEP_1)
	v_add3_u32 v44, v8, v44, 0x7fff
                                        ; implicit-def: $vgpr8
; %bb.1025:                             ;   in Loop: Header=BB4_948 Depth=4
	s_and_not1_saveexec_b32 s14, s14
; %bb.1026:                             ;   in Loop: Header=BB4_948 Depth=4
	v_and_b32_e32 v44, 0xffff, v8
	v_or_b32_e32 v61, 0x10000, v8
	s_delay_alu instid0(VALU_DEP_2) | instskip(NEXT) | instid1(VALU_DEP_2)
	v_cmp_eq_u32_e32 vcc_lo, 0, v44
	v_cndmask_b32_e32 v44, v61, v8, vcc_lo
; %bb.1027:                             ;   in Loop: Header=BB4_948 Depth=4
	s_or_b32 exec_lo, exec_lo, s14
	v_lshlrev_b32_e32 v8, 16, v9
	s_mov_b32 s14, exec_lo
                                        ; implicit-def: $vgpr91
	s_delay_alu instid0(VALU_DEP_1) | instskip(NEXT) | instid1(VALU_DEP_1)
	v_mul_f32_e32 v8, v60, v8
	v_and_b32_e32 v61, 0x7f800000, v8
	s_delay_alu instid0(VALU_DEP_1)
	v_cmpx_ne_u32_e32 0x7f800000, v61
	s_xor_b32 s14, exec_lo, s14
; %bb.1028:                             ;   in Loop: Header=BB4_948 Depth=4
	v_bfe_u32 v61, v8, 16, 1
	s_delay_alu instid0(VALU_DEP_1)
	v_add3_u32 v91, v8, v61, 0x7fff
                                        ; implicit-def: $vgpr8
; %bb.1029:                             ;   in Loop: Header=BB4_948 Depth=4
	s_and_not1_saveexec_b32 s14, s14
; %bb.1030:                             ;   in Loop: Header=BB4_948 Depth=4
	v_and_b32_e32 v61, 0xffff, v8
	v_or_b32_e32 v62, 0x10000, v8
	s_delay_alu instid0(VALU_DEP_2) | instskip(NEXT) | instid1(VALU_DEP_2)
	v_cmp_eq_u32_e32 vcc_lo, 0, v61
	v_cndmask_b32_e32 v91, v62, v8, vcc_lo
; %bb.1031:                             ;   in Loop: Header=BB4_948 Depth=4
	s_or_b32 exec_lo, exec_lo, s14
	v_and_b32_e32 v8, 0xffff0000, v9
	s_mov_b32 s14, exec_lo
                                        ; implicit-def: $vgpr89
	s_delay_alu instid0(VALU_DEP_1) | instskip(NEXT) | instid1(VALU_DEP_1)
	v_mul_f32_e32 v8, v60, v8
	v_and_b32_e32 v9, 0x7f800000, v8
	s_delay_alu instid0(VALU_DEP_1)
	v_cmpx_ne_u32_e32 0x7f800000, v9
	s_xor_b32 s14, exec_lo, s14
; %bb.1032:                             ;   in Loop: Header=BB4_948 Depth=4
	v_bfe_u32 v9, v8, 16, 1
	s_delay_alu instid0(VALU_DEP_1)
	v_add3_u32 v89, v8, v9, 0x7fff
                                        ; implicit-def: $vgpr8
; %bb.1033:                             ;   in Loop: Header=BB4_948 Depth=4
	s_and_not1_saveexec_b32 s14, s14
; %bb.1034:                             ;   in Loop: Header=BB4_948 Depth=4
	v_and_b32_e32 v9, 0xffff, v8
	v_or_b32_e32 v61, 0x10000, v8
	s_delay_alu instid0(VALU_DEP_2) | instskip(NEXT) | instid1(VALU_DEP_2)
	v_cmp_eq_u32_e32 vcc_lo, 0, v9
	v_cndmask_b32_e32 v89, v61, v8, vcc_lo
; %bb.1035:                             ;   in Loop: Header=BB4_948 Depth=4
	s_or_b32 exec_lo, exec_lo, s14
	v_lshlrev_b32_e32 v8, 16, v10
	s_mov_b32 s14, exec_lo
                                        ; implicit-def: $vgpr90
	s_delay_alu instid0(VALU_DEP_1) | instskip(NEXT) | instid1(VALU_DEP_1)
	v_mul_f32_e32 v8, v60, v8
	v_and_b32_e32 v9, 0x7f800000, v8
	s_delay_alu instid0(VALU_DEP_1)
	v_cmpx_ne_u32_e32 0x7f800000, v9
	s_xor_b32 s14, exec_lo, s14
; %bb.1036:                             ;   in Loop: Header=BB4_948 Depth=4
	v_bfe_u32 v9, v8, 16, 1
	s_delay_alu instid0(VALU_DEP_1)
	v_add3_u32 v90, v8, v9, 0x7fff
                                        ; implicit-def: $vgpr8
; %bb.1037:                             ;   in Loop: Header=BB4_948 Depth=4
	s_and_not1_saveexec_b32 s14, s14
; %bb.1038:                             ;   in Loop: Header=BB4_948 Depth=4
	v_and_b32_e32 v9, 0xffff, v8
	v_or_b32_e32 v61, 0x10000, v8
	s_delay_alu instid0(VALU_DEP_2) | instskip(NEXT) | instid1(VALU_DEP_2)
	v_cmp_eq_u32_e32 vcc_lo, 0, v9
	v_cndmask_b32_e32 v90, v61, v8, vcc_lo
; %bb.1039:                             ;   in Loop: Header=BB4_948 Depth=4
	s_or_b32 exec_lo, exec_lo, s14
	v_and_b32_e32 v8, 0xffff0000, v10
	s_mov_b32 s14, exec_lo
                                        ; implicit-def: $vgpr63
	s_delay_alu instid0(VALU_DEP_1) | instskip(NEXT) | instid1(VALU_DEP_1)
	v_mul_f32_e32 v8, v60, v8
	v_and_b32_e32 v9, 0x7f800000, v8
	s_delay_alu instid0(VALU_DEP_1)
	v_cmpx_ne_u32_e32 0x7f800000, v9
	s_xor_b32 s14, exec_lo, s14
; %bb.1040:                             ;   in Loop: Header=BB4_948 Depth=4
	v_bfe_u32 v9, v8, 16, 1
	s_delay_alu instid0(VALU_DEP_1)
	v_add3_u32 v63, v8, v9, 0x7fff
                                        ; implicit-def: $vgpr8
; %bb.1041:                             ;   in Loop: Header=BB4_948 Depth=4
	s_and_not1_saveexec_b32 s14, s14
; %bb.1042:                             ;   in Loop: Header=BB4_948 Depth=4
	v_and_b32_e32 v9, 0xffff, v8
	v_or_b32_e32 v10, 0x10000, v8
	s_delay_alu instid0(VALU_DEP_2) | instskip(NEXT) | instid1(VALU_DEP_2)
	v_cmp_eq_u32_e32 vcc_lo, 0, v9
	v_cndmask_b32_e32 v63, v10, v8, vcc_lo
; %bb.1043:                             ;   in Loop: Header=BB4_948 Depth=4
	s_or_b32 exec_lo, exec_lo, s14
	v_lshlrev_b32_e32 v8, 16, v11
	s_mov_b32 s14, exec_lo
                                        ; implicit-def: $vgpr88
	s_delay_alu instid0(VALU_DEP_1) | instskip(NEXT) | instid1(VALU_DEP_1)
	v_mul_f32_e32 v8, v60, v8
	v_and_b32_e32 v9, 0x7f800000, v8
	s_delay_alu instid0(VALU_DEP_1)
	v_cmpx_ne_u32_e32 0x7f800000, v9
	s_xor_b32 s14, exec_lo, s14
; %bb.1044:                             ;   in Loop: Header=BB4_948 Depth=4
	v_bfe_u32 v9, v8, 16, 1
	s_delay_alu instid0(VALU_DEP_1)
	v_add3_u32 v88, v8, v9, 0x7fff
                                        ; implicit-def: $vgpr8
; %bb.1045:                             ;   in Loop: Header=BB4_948 Depth=4
	s_and_not1_saveexec_b32 s14, s14
; %bb.1046:                             ;   in Loop: Header=BB4_948 Depth=4
	v_and_b32_e32 v9, 0xffff, v8
	v_or_b32_e32 v10, 0x10000, v8
	s_delay_alu instid0(VALU_DEP_2) | instskip(NEXT) | instid1(VALU_DEP_2)
	v_cmp_eq_u32_e32 vcc_lo, 0, v9
	v_cndmask_b32_e32 v88, v10, v8, vcc_lo
; %bb.1047:                             ;   in Loop: Header=BB4_948 Depth=4
	s_or_b32 exec_lo, exec_lo, s14
	v_and_b32_e32 v8, 0xffff0000, v11
	s_mov_b32 s14, exec_lo
                                        ; implicit-def: $vgpr62
	s_delay_alu instid0(VALU_DEP_1) | instskip(NEXT) | instid1(VALU_DEP_1)
	v_mul_f32_e32 v8, v60, v8
	v_and_b32_e32 v9, 0x7f800000, v8
	s_delay_alu instid0(VALU_DEP_1)
	v_cmpx_ne_u32_e32 0x7f800000, v9
	s_xor_b32 s14, exec_lo, s14
; %bb.1048:                             ;   in Loop: Header=BB4_948 Depth=4
	v_bfe_u32 v9, v8, 16, 1
	s_delay_alu instid0(VALU_DEP_1)
	v_add3_u32 v62, v8, v9, 0x7fff
                                        ; implicit-def: $vgpr8
; %bb.1049:                             ;   in Loop: Header=BB4_948 Depth=4
	s_and_not1_saveexec_b32 s14, s14
; %bb.1050:                             ;   in Loop: Header=BB4_948 Depth=4
	v_and_b32_e32 v9, 0xffff, v8
	v_or_b32_e32 v10, 0x10000, v8
	s_delay_alu instid0(VALU_DEP_2) | instskip(NEXT) | instid1(VALU_DEP_2)
	v_cmp_eq_u32_e32 vcc_lo, 0, v9
	v_cndmask_b32_e32 v62, v10, v8, vcc_lo
; %bb.1051:                             ;   in Loop: Header=BB4_948 Depth=4
	s_or_b32 exec_lo, exec_lo, s14
	scratch_load_b128 v[8:11], off, s33 offset:176
	v_and_b32_e32 v45, 0xffff0000, v45
	s_wait_loadcnt 0x0
	v_lshlrev_b32_e32 v61, 16, v8
	s_delay_alu instid0(VALU_DEP_1) | instskip(NEXT) | instid1(VALU_DEP_1)
	v_add_f32_e32 v45, v45, v61
	v_and_b32_e32 v61, 0x7f800000, v45
	s_delay_alu instid0(VALU_DEP_1) | instskip(SKIP_2) | instid1(SALU_CYCLE_1)
	v_cmp_ne_u32_e32 vcc_lo, 0x7f800000, v61
                                        ; implicit-def: $vgpr61
	s_wait_xcnt 0x0
	s_and_saveexec_b32 s14, vcc_lo
	s_xor_b32 s14, exec_lo, s14
; %bb.1052:                             ;   in Loop: Header=BB4_948 Depth=4
	v_bfe_u32 v61, v45, 16, 1
	s_delay_alu instid0(VALU_DEP_1)
	v_add3_u32 v61, v45, v61, 0x7fff
                                        ; implicit-def: $vgpr45
; %bb.1053:                             ;   in Loop: Header=BB4_948 Depth=4
	s_and_not1_saveexec_b32 s14, s14
; %bb.1054:                             ;   in Loop: Header=BB4_948 Depth=4
	v_and_b32_e32 v61, 0xffff, v45
	v_or_b32_e32 v92, 0x10000, v45
	s_delay_alu instid0(VALU_DEP_2) | instskip(NEXT) | instid1(VALU_DEP_2)
	v_cmp_eq_u32_e32 vcc_lo, 0, v61
	v_cndmask_b32_e32 v61, v92, v45, vcc_lo
; %bb.1055:                             ;   in Loop: Header=BB4_948 Depth=4
	s_or_b32 exec_lo, exec_lo, s14
	v_and_b32_e32 v45, 0xffff0000, v8
	v_and_b32_e32 v44, 0xffff0000, v44
	s_delay_alu instid0(VALU_DEP_2) | instskip(NEXT) | instid1(VALU_DEP_1)
	v_mov_b32_e32 v8, v45
	v_pk_add_f32 v[44:45], v[8:9], v[44:45]
	s_delay_alu instid0(VALU_DEP_1) | instskip(NEXT) | instid1(VALU_DEP_1)
	v_and_b32_e32 v8, 0x7f800000, v44
	v_cmp_ne_u32_e32 vcc_lo, 0x7f800000, v8
                                        ; implicit-def: $vgpr8
	s_and_saveexec_b32 s14, vcc_lo
	s_delay_alu instid0(SALU_CYCLE_1)
	s_xor_b32 s14, exec_lo, s14
; %bb.1056:                             ;   in Loop: Header=BB4_948 Depth=4
	v_bfe_u32 v8, v44, 16, 1
	s_delay_alu instid0(VALU_DEP_1)
	v_add3_u32 v8, v44, v8, 0x7fff
                                        ; implicit-def: $vgpr44_vgpr45
; %bb.1057:                             ;   in Loop: Header=BB4_948 Depth=4
	s_and_not1_saveexec_b32 s14, s14
; %bb.1058:                             ;   in Loop: Header=BB4_948 Depth=4
	v_and_b32_e32 v8, 0xffff, v44
	v_or_b32_e32 v45, 0x10000, v44
	s_delay_alu instid0(VALU_DEP_2) | instskip(NEXT) | instid1(VALU_DEP_2)
	v_cmp_eq_u32_e32 vcc_lo, 0, v8
	v_cndmask_b32_e32 v8, v45, v44, vcc_lo
; %bb.1059:                             ;   in Loop: Header=BB4_948 Depth=4
	s_or_b32 exec_lo, exec_lo, s14
	v_and_b32_e32 v44, 0xffff0000, v91
	v_lshlrev_b32_e32 v45, 16, v9
	s_delay_alu instid0(VALU_DEP_1) | instskip(NEXT) | instid1(VALU_DEP_1)
	v_add_f32_e32 v45, v44, v45
	v_and_b32_e32 v44, 0x7f800000, v45
	s_delay_alu instid0(VALU_DEP_1) | instskip(SKIP_1) | instid1(SALU_CYCLE_1)
	v_cmp_ne_u32_e32 vcc_lo, 0x7f800000, v44
                                        ; implicit-def: $vgpr44
	s_and_saveexec_b32 s14, vcc_lo
	s_xor_b32 s14, exec_lo, s14
; %bb.1060:                             ;   in Loop: Header=BB4_948 Depth=4
	v_bfe_u32 v44, v45, 16, 1
	s_delay_alu instid0(VALU_DEP_1)
	v_add3_u32 v44, v45, v44, 0x7fff
                                        ; implicit-def: $vgpr45
; %bb.1061:                             ;   in Loop: Header=BB4_948 Depth=4
	s_and_not1_saveexec_b32 s14, s14
; %bb.1062:                             ;   in Loop: Header=BB4_948 Depth=4
	v_and_b32_e32 v44, 0xffff, v45
	v_or_b32_e32 v91, 0x10000, v45
	s_delay_alu instid0(VALU_DEP_2) | instskip(NEXT) | instid1(VALU_DEP_2)
	v_cmp_eq_u32_e32 vcc_lo, 0, v44
	v_cndmask_b32_e32 v44, v91, v45, vcc_lo
; %bb.1063:                             ;   in Loop: Header=BB4_948 Depth=4
	s_or_b32 exec_lo, exec_lo, s14
	v_and_b32_e32 v9, 0xffff0000, v9
	v_and_b32_e32 v45, 0xffff0000, v89
	s_delay_alu instid0(VALU_DEP_1) | instskip(NEXT) | instid1(VALU_DEP_1)
	v_add_f32_e32 v45, v45, v9
	v_and_b32_e32 v9, 0x7f800000, v45
	s_delay_alu instid0(VALU_DEP_1) | instskip(SKIP_1) | instid1(SALU_CYCLE_1)
	v_cmp_ne_u32_e32 vcc_lo, 0x7f800000, v9
                                        ; implicit-def: $vgpr9
	s_and_saveexec_b32 s14, vcc_lo
	s_xor_b32 s14, exec_lo, s14
; %bb.1064:                             ;   in Loop: Header=BB4_948 Depth=4
	v_bfe_u32 v9, v45, 16, 1
	s_delay_alu instid0(VALU_DEP_1)
	v_add3_u32 v9, v45, v9, 0x7fff
                                        ; implicit-def: $vgpr45
; %bb.1065:                             ;   in Loop: Header=BB4_948 Depth=4
	s_and_not1_saveexec_b32 s14, s14
; %bb.1066:                             ;   in Loop: Header=BB4_948 Depth=4
	v_and_b32_e32 v9, 0xffff, v45
	v_or_b32_e32 v89, 0x10000, v45
	s_delay_alu instid0(VALU_DEP_2) | instskip(NEXT) | instid1(VALU_DEP_2)
	v_cmp_eq_u32_e32 vcc_lo, 0, v9
	v_cndmask_b32_e32 v9, v89, v45, vcc_lo
; %bb.1067:                             ;   in Loop: Header=BB4_948 Depth=4
	s_or_b32 exec_lo, exec_lo, s14
	v_and_b32_e32 v45, 0xffff0000, v90
	v_lshlrev_b32_e32 v89, 16, v10
	s_delay_alu instid0(VALU_DEP_1) | instskip(NEXT) | instid1(VALU_DEP_1)
	v_add_f32_e32 v89, v45, v89
	v_and_b32_e32 v45, 0x7f800000, v89
	s_delay_alu instid0(VALU_DEP_1) | instskip(SKIP_1) | instid1(SALU_CYCLE_1)
	v_cmp_ne_u32_e32 vcc_lo, 0x7f800000, v45
                                        ; implicit-def: $vgpr45
	s_and_saveexec_b32 s14, vcc_lo
	s_xor_b32 s14, exec_lo, s14
; %bb.1068:                             ;   in Loop: Header=BB4_948 Depth=4
	v_bfe_u32 v45, v89, 16, 1
	s_delay_alu instid0(VALU_DEP_1)
	v_add3_u32 v45, v89, v45, 0x7fff
                                        ; implicit-def: $vgpr89
; %bb.1069:                             ;   in Loop: Header=BB4_948 Depth=4
	s_and_not1_saveexec_b32 s14, s14
; %bb.1070:                             ;   in Loop: Header=BB4_948 Depth=4
	v_and_b32_e32 v45, 0xffff, v89
	v_or_b32_e32 v90, 0x10000, v89
	s_delay_alu instid0(VALU_DEP_2) | instskip(NEXT) | instid1(VALU_DEP_2)
	v_cmp_eq_u32_e32 vcc_lo, 0, v45
	v_cndmask_b32_e32 v45, v90, v89, vcc_lo
; %bb.1071:                             ;   in Loop: Header=BB4_948 Depth=4
	s_or_b32 exec_lo, exec_lo, s14
	v_and_b32_e32 v10, 0xffff0000, v10
	v_and_b32_e32 v63, 0xffff0000, v63
	s_delay_alu instid0(VALU_DEP_1) | instskip(NEXT) | instid1(VALU_DEP_1)
	v_add_f32_e32 v63, v63, v10
	v_and_b32_e32 v10, 0x7f800000, v63
	s_delay_alu instid0(VALU_DEP_1) | instskip(SKIP_1) | instid1(SALU_CYCLE_1)
	v_cmp_ne_u32_e32 vcc_lo, 0x7f800000, v10
                                        ; implicit-def: $vgpr10
	s_and_saveexec_b32 s14, vcc_lo
	s_xor_b32 s14, exec_lo, s14
; %bb.1072:                             ;   in Loop: Header=BB4_948 Depth=4
	v_bfe_u32 v10, v63, 16, 1
	s_delay_alu instid0(VALU_DEP_1)
	v_add3_u32 v10, v63, v10, 0x7fff
                                        ; implicit-def: $vgpr63
; %bb.1073:                             ;   in Loop: Header=BB4_948 Depth=4
	s_and_not1_saveexec_b32 s14, s14
; %bb.1074:                             ;   in Loop: Header=BB4_948 Depth=4
	v_and_b32_e32 v10, 0xffff, v63
	v_or_b32_e32 v89, 0x10000, v63
	s_delay_alu instid0(VALU_DEP_2) | instskip(NEXT) | instid1(VALU_DEP_2)
	v_cmp_eq_u32_e32 vcc_lo, 0, v10
	v_cndmask_b32_e32 v10, v89, v63, vcc_lo
; %bb.1075:                             ;   in Loop: Header=BB4_948 Depth=4
	s_or_b32 exec_lo, exec_lo, s14
	v_and_b32_e32 v63, 0xffff0000, v88
	v_lshlrev_b32_e32 v88, 16, v11
	s_delay_alu instid0(VALU_DEP_1) | instskip(NEXT) | instid1(VALU_DEP_1)
	v_add_f32_e32 v88, v63, v88
	v_and_b32_e32 v63, 0x7f800000, v88
	s_delay_alu instid0(VALU_DEP_1) | instskip(SKIP_1) | instid1(SALU_CYCLE_1)
	v_cmp_ne_u32_e32 vcc_lo, 0x7f800000, v63
                                        ; implicit-def: $vgpr63
	s_and_saveexec_b32 s14, vcc_lo
	s_xor_b32 s14, exec_lo, s14
; %bb.1076:                             ;   in Loop: Header=BB4_948 Depth=4
	v_bfe_u32 v63, v88, 16, 1
	s_delay_alu instid0(VALU_DEP_1)
	v_add3_u32 v63, v88, v63, 0x7fff
                                        ; implicit-def: $vgpr88
; %bb.1077:                             ;   in Loop: Header=BB4_948 Depth=4
	s_and_not1_saveexec_b32 s14, s14
; %bb.1078:                             ;   in Loop: Header=BB4_948 Depth=4
	v_and_b32_e32 v63, 0xffff, v88
	v_or_b32_e32 v89, 0x10000, v88
	s_delay_alu instid0(VALU_DEP_2) | instskip(NEXT) | instid1(VALU_DEP_2)
	v_cmp_eq_u32_e32 vcc_lo, 0, v63
	v_cndmask_b32_e32 v63, v89, v88, vcc_lo
; %bb.1079:                             ;   in Loop: Header=BB4_948 Depth=4
	s_or_b32 exec_lo, exec_lo, s14
	v_and_b32_e32 v11, 0xffff0000, v11
	v_and_b32_e32 v62, 0xffff0000, v62
	s_delay_alu instid0(VALU_DEP_1) | instskip(NEXT) | instid1(VALU_DEP_1)
	v_add_f32_e32 v62, v62, v11
	v_and_b32_e32 v11, 0x7f800000, v62
	s_delay_alu instid0(VALU_DEP_1) | instskip(SKIP_1) | instid1(SALU_CYCLE_1)
	v_cmp_ne_u32_e32 vcc_lo, 0x7f800000, v11
                                        ; implicit-def: $vgpr11
	s_and_saveexec_b32 s14, vcc_lo
	s_xor_b32 s14, exec_lo, s14
; %bb.1080:                             ;   in Loop: Header=BB4_948 Depth=4
	v_bfe_u32 v11, v62, 16, 1
	s_delay_alu instid0(VALU_DEP_1)
	v_add3_u32 v11, v62, v11, 0x7fff
                                        ; implicit-def: $vgpr62
; %bb.1081:                             ;   in Loop: Header=BB4_948 Depth=4
	s_and_not1_saveexec_b32 s14, s14
; %bb.1082:                             ;   in Loop: Header=BB4_948 Depth=4
	v_and_b32_e32 v11, 0xffff, v62
	v_or_b32_e32 v88, 0x10000, v62
	s_delay_alu instid0(VALU_DEP_2) | instskip(NEXT) | instid1(VALU_DEP_2)
	v_cmp_eq_u32_e32 vcc_lo, 0, v11
	v_cndmask_b32_e32 v11, v88, v62, vcc_lo
; %bb.1083:                             ;   in Loop: Header=BB4_948 Depth=4
	s_or_b32 exec_lo, exec_lo, s14
	v_dual_lshrrev_b32 v44, 16, v44 :: v_dual_lshrrev_b32 v61, 16, v61
	v_dual_lshrrev_b32 v45, 16, v45 :: v_dual_lshrrev_b32 v62, 16, v63
	v_sub_nc_u32_e32 v59, v59, v52
	s_delay_alu instid0(VALU_DEP_3) | instskip(NEXT) | instid1(VALU_DEP_4)
	v_and_or_b32 v9, 0xffff0000, v9, v44
	v_and_or_b32 v8, 0xffff0000, v8, v61
	s_delay_alu instid0(VALU_DEP_4)
	v_and_or_b32 v10, 0xffff0000, v10, v45
	v_and_or_b32 v11, 0xffff0000, v11, v62
	global_store_b128 v[40:41], v[8:11], off th:TH_STORE_NT
	s_wait_xcnt 0x0
	v_add_nc_u64_e32 v[40:41], 0x200, v[40:41]
	scratch_store_b128 off, v[8:11], s33 offset:160
	s_wait_xcnt 0x0
	s_and_saveexec_b32 s14, vcc_hi
	s_cbranch_execz .LBB4_947
; %bb.1084:                             ;   in Loop: Header=BB4_948 Depth=4
	v_add_nc_u64_e32 v[42:43], v[42:43], v[84:85]
	v_add_nc_u64_e32 v[22:23], v[22:23], v[84:85]
	;; [unrolled: 1-line block ×3, first 2 shown]
	v_dual_sub_nc_u32 v13, v13, v78 :: v_dual_sub_nc_u32 v59, v59, v52
	s_branch .LBB4_947
.LBB4_1085:                             ;   in Loop: Header=BB4_655 Depth=3
	s_or_b32 exec_lo, exec_lo, s94
	s_delay_alu instid0(SALU_CYCLE_1)
	s_and_b32 s15, s95, exec_lo
.LBB4_1086:                             ;   in Loop: Header=BB4_655 Depth=3
	s_or_b32 exec_lo, exec_lo, s93
	s_and_saveexec_b32 s14, s15
	s_cbranch_execz .LBB4_1152
; %bb.1087:                             ;   in Loop: Header=BB4_655 Depth=3
	s_trap 2
	scratch_load_b128 v[8:11], off, s33 offset:192
	ds_load_b32 v13, v0
	s_wait_loadcnt_dscnt 0x0
	v_dual_lshlrev_b32 v13, 16, v13 :: v_dual_lshlrev_b32 v22, 16, v8
	s_delay_alu instid0(VALU_DEP_1) | instskip(NEXT) | instid1(VALU_DEP_1)
	v_mul_f32_e32 v22, v13, v22
	v_and_b32_e32 v23, 0x7f800000, v22
	s_delay_alu instid0(VALU_DEP_1) | instskip(SKIP_2) | instid1(SALU_CYCLE_1)
	v_cmp_ne_u32_e32 vcc_lo, 0x7f800000, v23
                                        ; implicit-def: $vgpr23
	s_wait_xcnt 0x0
	s_and_saveexec_b32 s15, vcc_lo
	s_xor_b32 s15, exec_lo, s15
; %bb.1088:                             ;   in Loop: Header=BB4_655 Depth=3
	v_bfe_u32 v23, v22, 16, 1
	s_delay_alu instid0(VALU_DEP_1)
	v_add3_u32 v23, v22, v23, 0x7fff
                                        ; implicit-def: $vgpr22
; %bb.1089:                             ;   in Loop: Header=BB4_655 Depth=3
	s_and_not1_saveexec_b32 s15, s15
; %bb.1090:                             ;   in Loop: Header=BB4_655 Depth=3
	v_and_b32_e32 v23, 0xffff, v22
	v_or_b32_e32 v42, 0x10000, v22
	s_delay_alu instid0(VALU_DEP_2) | instskip(NEXT) | instid1(VALU_DEP_2)
	v_cmp_eq_u32_e32 vcc_lo, 0, v23
	v_cndmask_b32_e32 v23, v42, v22, vcc_lo
; %bb.1091:                             ;   in Loop: Header=BB4_655 Depth=3
	s_or_b32 exec_lo, exec_lo, s15
	v_and_b32_e32 v8, 0xffff0000, v8
	s_delay_alu instid0(VALU_DEP_1) | instskip(NEXT) | instid1(VALU_DEP_1)
	v_mul_f32_e32 v8, v13, v8
	v_and_b32_e32 v22, 0x7f800000, v8
	s_delay_alu instid0(VALU_DEP_1) | instskip(SKIP_1) | instid1(SALU_CYCLE_1)
	v_cmp_ne_u32_e32 vcc_lo, 0x7f800000, v22
                                        ; implicit-def: $vgpr22
	s_and_saveexec_b32 s15, vcc_lo
	s_xor_b32 s15, exec_lo, s15
; %bb.1092:                             ;   in Loop: Header=BB4_655 Depth=3
	v_bfe_u32 v22, v8, 16, 1
	s_delay_alu instid0(VALU_DEP_1)
	v_add3_u32 v22, v8, v22, 0x7fff
                                        ; implicit-def: $vgpr8
; %bb.1093:                             ;   in Loop: Header=BB4_655 Depth=3
	s_and_not1_saveexec_b32 s15, s15
; %bb.1094:                             ;   in Loop: Header=BB4_655 Depth=3
	v_and_b32_e32 v22, 0xffff, v8
	v_or_b32_e32 v42, 0x10000, v8
	s_delay_alu instid0(VALU_DEP_2) | instskip(NEXT) | instid1(VALU_DEP_2)
	v_cmp_eq_u32_e32 vcc_lo, 0, v22
	v_cndmask_b32_e32 v22, v42, v8, vcc_lo
; %bb.1095:                             ;   in Loop: Header=BB4_655 Depth=3
	s_or_b32 exec_lo, exec_lo, s15
	v_lshlrev_b32_e32 v8, 16, v9
	s_mov_b32 s15, exec_lo
                                        ; implicit-def: $vgpr61
	s_delay_alu instid0(VALU_DEP_1) | instskip(NEXT) | instid1(VALU_DEP_1)
	v_mul_f32_e32 v8, v13, v8
	v_and_b32_e32 v42, 0x7f800000, v8
	s_delay_alu instid0(VALU_DEP_1)
	v_cmpx_ne_u32_e32 0x7f800000, v42
	s_xor_b32 s15, exec_lo, s15
; %bb.1096:                             ;   in Loop: Header=BB4_655 Depth=3
	v_bfe_u32 v42, v8, 16, 1
	s_delay_alu instid0(VALU_DEP_1)
	v_add3_u32 v61, v8, v42, 0x7fff
                                        ; implicit-def: $vgpr8
; %bb.1097:                             ;   in Loop: Header=BB4_655 Depth=3
	s_and_not1_saveexec_b32 s15, s15
; %bb.1098:                             ;   in Loop: Header=BB4_655 Depth=3
	v_and_b32_e32 v42, 0xffff, v8
	v_or_b32_e32 v43, 0x10000, v8
	s_delay_alu instid0(VALU_DEP_2) | instskip(NEXT) | instid1(VALU_DEP_2)
	v_cmp_eq_u32_e32 vcc_lo, 0, v42
	v_cndmask_b32_e32 v61, v43, v8, vcc_lo
; %bb.1099:                             ;   in Loop: Header=BB4_655 Depth=3
	s_or_b32 exec_lo, exec_lo, s15
	v_and_b32_e32 v8, 0xffff0000, v9
	s_mov_b32 s15, exec_lo
                                        ; implicit-def: $vgpr45
	s_delay_alu instid0(VALU_DEP_1) | instskip(NEXT) | instid1(VALU_DEP_1)
	v_mul_f32_e32 v8, v13, v8
	v_and_b32_e32 v9, 0x7f800000, v8
	s_delay_alu instid0(VALU_DEP_1)
	v_cmpx_ne_u32_e32 0x7f800000, v9
	s_xor_b32 s15, exec_lo, s15
; %bb.1100:                             ;   in Loop: Header=BB4_655 Depth=3
	v_bfe_u32 v9, v8, 16, 1
	s_delay_alu instid0(VALU_DEP_1)
	v_add3_u32 v45, v8, v9, 0x7fff
                                        ; implicit-def: $vgpr8
; %bb.1101:                             ;   in Loop: Header=BB4_655 Depth=3
	s_and_not1_saveexec_b32 s15, s15
; %bb.1102:                             ;   in Loop: Header=BB4_655 Depth=3
	v_and_b32_e32 v9, 0xffff, v8
	v_or_b32_e32 v42, 0x10000, v8
	s_delay_alu instid0(VALU_DEP_2) | instskip(NEXT) | instid1(VALU_DEP_2)
	v_cmp_eq_u32_e32 vcc_lo, 0, v9
	v_cndmask_b32_e32 v45, v42, v8, vcc_lo
; %bb.1103:                             ;   in Loop: Header=BB4_655 Depth=3
	s_or_b32 exec_lo, exec_lo, s15
	v_lshlrev_b32_e32 v8, 16, v10
	s_mov_b32 s15, exec_lo
                                        ; implicit-def: $vgpr60
	s_delay_alu instid0(VALU_DEP_1) | instskip(NEXT) | instid1(VALU_DEP_1)
	v_mul_f32_e32 v8, v13, v8
	v_and_b32_e32 v9, 0x7f800000, v8
	s_delay_alu instid0(VALU_DEP_1)
	v_cmpx_ne_u32_e32 0x7f800000, v9
	s_xor_b32 s15, exec_lo, s15
; %bb.1104:                             ;   in Loop: Header=BB4_655 Depth=3
	v_bfe_u32 v9, v8, 16, 1
	s_delay_alu instid0(VALU_DEP_1)
	v_add3_u32 v60, v8, v9, 0x7fff
                                        ; implicit-def: $vgpr8
; %bb.1105:                             ;   in Loop: Header=BB4_655 Depth=3
	s_and_not1_saveexec_b32 s15, s15
; %bb.1106:                             ;   in Loop: Header=BB4_655 Depth=3
	v_and_b32_e32 v9, 0xffff, v8
	v_or_b32_e32 v42, 0x10000, v8
	s_delay_alu instid0(VALU_DEP_2) | instskip(NEXT) | instid1(VALU_DEP_2)
	v_cmp_eq_u32_e32 vcc_lo, 0, v9
	v_cndmask_b32_e32 v60, v42, v8, vcc_lo
; %bb.1107:                             ;   in Loop: Header=BB4_655 Depth=3
	s_or_b32 exec_lo, exec_lo, s15
	v_and_b32_e32 v8, 0xffff0000, v10
	s_mov_b32 s15, exec_lo
                                        ; implicit-def: $vgpr43
	s_delay_alu instid0(VALU_DEP_1) | instskip(NEXT) | instid1(VALU_DEP_1)
	v_mul_f32_e32 v8, v13, v8
	v_and_b32_e32 v9, 0x7f800000, v8
	s_delay_alu instid0(VALU_DEP_1)
	v_cmpx_ne_u32_e32 0x7f800000, v9
	s_xor_b32 s15, exec_lo, s15
; %bb.1108:                             ;   in Loop: Header=BB4_655 Depth=3
	v_bfe_u32 v9, v8, 16, 1
	s_delay_alu instid0(VALU_DEP_1)
	v_add3_u32 v43, v8, v9, 0x7fff
                                        ; implicit-def: $vgpr8
; %bb.1109:                             ;   in Loop: Header=BB4_655 Depth=3
	s_and_not1_saveexec_b32 s15, s15
; %bb.1110:                             ;   in Loop: Header=BB4_655 Depth=3
	v_and_b32_e32 v9, 0xffff, v8
	v_or_b32_e32 v10, 0x10000, v8
	s_delay_alu instid0(VALU_DEP_2) | instskip(NEXT) | instid1(VALU_DEP_2)
	v_cmp_eq_u32_e32 vcc_lo, 0, v9
	v_cndmask_b32_e32 v43, v10, v8, vcc_lo
; %bb.1111:                             ;   in Loop: Header=BB4_655 Depth=3
	s_or_b32 exec_lo, exec_lo, s15
	v_lshlrev_b32_e32 v8, 16, v11
	s_mov_b32 s15, exec_lo
                                        ; implicit-def: $vgpr44
	s_delay_alu instid0(VALU_DEP_1) | instskip(NEXT) | instid1(VALU_DEP_1)
	v_mul_f32_e32 v8, v13, v8
	v_and_b32_e32 v9, 0x7f800000, v8
	s_delay_alu instid0(VALU_DEP_1)
	v_cmpx_ne_u32_e32 0x7f800000, v9
	s_xor_b32 s15, exec_lo, s15
; %bb.1112:                             ;   in Loop: Header=BB4_655 Depth=3
	v_bfe_u32 v9, v8, 16, 1
	s_delay_alu instid0(VALU_DEP_1)
	v_add3_u32 v44, v8, v9, 0x7fff
                                        ; implicit-def: $vgpr8
; %bb.1113:                             ;   in Loop: Header=BB4_655 Depth=3
	s_and_not1_saveexec_b32 s15, s15
; %bb.1114:                             ;   in Loop: Header=BB4_655 Depth=3
	v_and_b32_e32 v9, 0xffff, v8
	v_or_b32_e32 v10, 0x10000, v8
	s_delay_alu instid0(VALU_DEP_2) | instskip(NEXT) | instid1(VALU_DEP_2)
	v_cmp_eq_u32_e32 vcc_lo, 0, v9
	v_cndmask_b32_e32 v44, v10, v8, vcc_lo
; %bb.1115:                             ;   in Loop: Header=BB4_655 Depth=3
	s_or_b32 exec_lo, exec_lo, s15
	v_and_b32_e32 v8, 0xffff0000, v11
	s_mov_b32 s15, exec_lo
	s_delay_alu instid0(VALU_DEP_1) | instskip(NEXT) | instid1(VALU_DEP_1)
	v_mul_f32_e32 v8, v13, v8
                                        ; implicit-def: $vgpr13
	v_and_b32_e32 v9, 0x7f800000, v8
	s_delay_alu instid0(VALU_DEP_1)
	v_cmpx_ne_u32_e32 0x7f800000, v9
	s_xor_b32 s15, exec_lo, s15
; %bb.1116:                             ;   in Loop: Header=BB4_655 Depth=3
	v_bfe_u32 v9, v8, 16, 1
	s_delay_alu instid0(VALU_DEP_1)
	v_add3_u32 v13, v8, v9, 0x7fff
                                        ; implicit-def: $vgpr8
; %bb.1117:                             ;   in Loop: Header=BB4_655 Depth=3
	s_and_not1_saveexec_b32 s15, s15
; %bb.1118:                             ;   in Loop: Header=BB4_655 Depth=3
	v_and_b32_e32 v9, 0xffff, v8
	v_or_b32_e32 v10, 0x10000, v8
	s_delay_alu instid0(VALU_DEP_2) | instskip(NEXT) | instid1(VALU_DEP_2)
	v_cmp_eq_u32_e32 vcc_lo, 0, v9
	v_cndmask_b32_e32 v13, v10, v8, vcc_lo
; %bb.1119:                             ;   in Loop: Header=BB4_655 Depth=3
	s_or_b32 exec_lo, exec_lo, s15
	scratch_load_b128 v[8:11], off, s33 offset:208
	v_and_b32_e32 v23, 0xffff0000, v23
	s_wait_loadcnt 0x0
	v_lshlrev_b32_e32 v42, 16, v8
	s_delay_alu instid0(VALU_DEP_1) | instskip(NEXT) | instid1(VALU_DEP_1)
	v_add_f32_e32 v23, v23, v42
	v_and_b32_e32 v42, 0x7f800000, v23
	s_delay_alu instid0(VALU_DEP_1) | instskip(SKIP_2) | instid1(SALU_CYCLE_1)
	v_cmp_ne_u32_e32 vcc_lo, 0x7f800000, v42
                                        ; implicit-def: $vgpr42
	s_wait_xcnt 0x0
	s_and_saveexec_b32 s15, vcc_lo
	s_xor_b32 s15, exec_lo, s15
; %bb.1120:                             ;   in Loop: Header=BB4_655 Depth=3
	v_bfe_u32 v42, v23, 16, 1
	s_delay_alu instid0(VALU_DEP_1)
	v_add3_u32 v42, v23, v42, 0x7fff
                                        ; implicit-def: $vgpr23
; %bb.1121:                             ;   in Loop: Header=BB4_655 Depth=3
	s_and_not1_saveexec_b32 s15, s15
; %bb.1122:                             ;   in Loop: Header=BB4_655 Depth=3
	v_and_b32_e32 v42, 0xffff, v23
	v_or_b32_e32 v62, 0x10000, v23
	s_delay_alu instid0(VALU_DEP_2) | instskip(NEXT) | instid1(VALU_DEP_2)
	v_cmp_eq_u32_e32 vcc_lo, 0, v42
	v_cndmask_b32_e32 v42, v62, v23, vcc_lo
; %bb.1123:                             ;   in Loop: Header=BB4_655 Depth=3
	s_or_b32 exec_lo, exec_lo, s15
	v_and_b32_e32 v23, 0xffff0000, v8
	v_and_b32_e32 v22, 0xffff0000, v22
	s_delay_alu instid0(VALU_DEP_2) | instskip(NEXT) | instid1(VALU_DEP_1)
	v_mov_b32_e32 v8, v23
	v_pk_add_f32 v[22:23], v[8:9], v[22:23]
	s_delay_alu instid0(VALU_DEP_1) | instskip(NEXT) | instid1(VALU_DEP_1)
	v_and_b32_e32 v8, 0x7f800000, v22
	v_cmp_ne_u32_e32 vcc_lo, 0x7f800000, v8
                                        ; implicit-def: $vgpr8
	s_and_saveexec_b32 s15, vcc_lo
	s_delay_alu instid0(SALU_CYCLE_1)
	s_xor_b32 s15, exec_lo, s15
; %bb.1124:                             ;   in Loop: Header=BB4_655 Depth=3
	v_bfe_u32 v8, v22, 16, 1
	s_delay_alu instid0(VALU_DEP_1)
	v_add3_u32 v8, v22, v8, 0x7fff
                                        ; implicit-def: $vgpr22_vgpr23
; %bb.1125:                             ;   in Loop: Header=BB4_655 Depth=3
	s_and_not1_saveexec_b32 s15, s15
; %bb.1126:                             ;   in Loop: Header=BB4_655 Depth=3
	v_and_b32_e32 v8, 0xffff, v22
	v_or_b32_e32 v23, 0x10000, v22
	s_delay_alu instid0(VALU_DEP_2) | instskip(NEXT) | instid1(VALU_DEP_2)
	v_cmp_eq_u32_e32 vcc_lo, 0, v8
	v_cndmask_b32_e32 v8, v23, v22, vcc_lo
; %bb.1127:                             ;   in Loop: Header=BB4_655 Depth=3
	s_or_b32 exec_lo, exec_lo, s15
	v_and_b32_e32 v22, 0xffff0000, v61
	v_lshlrev_b32_e32 v23, 16, v9
	s_delay_alu instid0(VALU_DEP_1) | instskip(NEXT) | instid1(VALU_DEP_1)
	v_add_f32_e32 v23, v22, v23
	v_and_b32_e32 v22, 0x7f800000, v23
	s_delay_alu instid0(VALU_DEP_1) | instskip(SKIP_1) | instid1(SALU_CYCLE_1)
	v_cmp_ne_u32_e32 vcc_lo, 0x7f800000, v22
                                        ; implicit-def: $vgpr22
	s_and_saveexec_b32 s15, vcc_lo
	s_xor_b32 s15, exec_lo, s15
; %bb.1128:                             ;   in Loop: Header=BB4_655 Depth=3
	v_bfe_u32 v22, v23, 16, 1
	s_delay_alu instid0(VALU_DEP_1)
	v_add3_u32 v22, v23, v22, 0x7fff
                                        ; implicit-def: $vgpr23
; %bb.1129:                             ;   in Loop: Header=BB4_655 Depth=3
	s_and_not1_saveexec_b32 s15, s15
; %bb.1130:                             ;   in Loop: Header=BB4_655 Depth=3
	v_and_b32_e32 v22, 0xffff, v23
	v_or_b32_e32 v61, 0x10000, v23
	s_delay_alu instid0(VALU_DEP_2) | instskip(NEXT) | instid1(VALU_DEP_2)
	v_cmp_eq_u32_e32 vcc_lo, 0, v22
	v_cndmask_b32_e32 v22, v61, v23, vcc_lo
; %bb.1131:                             ;   in Loop: Header=BB4_655 Depth=3
	s_or_b32 exec_lo, exec_lo, s15
	v_and_b32_e32 v9, 0xffff0000, v9
	v_and_b32_e32 v23, 0xffff0000, v45
	s_delay_alu instid0(VALU_DEP_1) | instskip(NEXT) | instid1(VALU_DEP_1)
	v_add_f32_e32 v23, v23, v9
	v_and_b32_e32 v9, 0x7f800000, v23
	s_delay_alu instid0(VALU_DEP_1) | instskip(SKIP_1) | instid1(SALU_CYCLE_1)
	v_cmp_ne_u32_e32 vcc_lo, 0x7f800000, v9
                                        ; implicit-def: $vgpr9
	s_and_saveexec_b32 s15, vcc_lo
	s_xor_b32 s15, exec_lo, s15
; %bb.1132:                             ;   in Loop: Header=BB4_655 Depth=3
	v_bfe_u32 v9, v23, 16, 1
	s_delay_alu instid0(VALU_DEP_1)
	v_add3_u32 v9, v23, v9, 0x7fff
                                        ; implicit-def: $vgpr23
; %bb.1133:                             ;   in Loop: Header=BB4_655 Depth=3
	s_and_not1_saveexec_b32 s15, s15
; %bb.1134:                             ;   in Loop: Header=BB4_655 Depth=3
	v_and_b32_e32 v9, 0xffff, v23
	v_or_b32_e32 v45, 0x10000, v23
	s_delay_alu instid0(VALU_DEP_2) | instskip(NEXT) | instid1(VALU_DEP_2)
	v_cmp_eq_u32_e32 vcc_lo, 0, v9
	v_cndmask_b32_e32 v9, v45, v23, vcc_lo
; %bb.1135:                             ;   in Loop: Header=BB4_655 Depth=3
	s_or_b32 exec_lo, exec_lo, s15
	v_and_b32_e32 v23, 0xffff0000, v60
	v_lshlrev_b32_e32 v45, 16, v10
	s_delay_alu instid0(VALU_DEP_1) | instskip(NEXT) | instid1(VALU_DEP_1)
	v_add_f32_e32 v45, v23, v45
	v_and_b32_e32 v23, 0x7f800000, v45
	s_delay_alu instid0(VALU_DEP_1) | instskip(SKIP_1) | instid1(SALU_CYCLE_1)
	v_cmp_ne_u32_e32 vcc_lo, 0x7f800000, v23
                                        ; implicit-def: $vgpr23
	s_and_saveexec_b32 s15, vcc_lo
	s_xor_b32 s15, exec_lo, s15
; %bb.1136:                             ;   in Loop: Header=BB4_655 Depth=3
	v_bfe_u32 v23, v45, 16, 1
	s_delay_alu instid0(VALU_DEP_1)
	v_add3_u32 v23, v45, v23, 0x7fff
                                        ; implicit-def: $vgpr45
; %bb.1137:                             ;   in Loop: Header=BB4_655 Depth=3
	s_and_not1_saveexec_b32 s15, s15
; %bb.1138:                             ;   in Loop: Header=BB4_655 Depth=3
	v_and_b32_e32 v23, 0xffff, v45
	v_or_b32_e32 v60, 0x10000, v45
	s_delay_alu instid0(VALU_DEP_2) | instskip(NEXT) | instid1(VALU_DEP_2)
	v_cmp_eq_u32_e32 vcc_lo, 0, v23
	v_cndmask_b32_e32 v23, v60, v45, vcc_lo
; %bb.1139:                             ;   in Loop: Header=BB4_655 Depth=3
	s_or_b32 exec_lo, exec_lo, s15
	v_and_b32_e32 v10, 0xffff0000, v10
	v_and_b32_e32 v43, 0xffff0000, v43
	s_delay_alu instid0(VALU_DEP_1) | instskip(NEXT) | instid1(VALU_DEP_1)
	v_add_f32_e32 v43, v43, v10
	v_and_b32_e32 v10, 0x7f800000, v43
	s_delay_alu instid0(VALU_DEP_1) | instskip(SKIP_1) | instid1(SALU_CYCLE_1)
	v_cmp_ne_u32_e32 vcc_lo, 0x7f800000, v10
                                        ; implicit-def: $vgpr10
	s_and_saveexec_b32 s15, vcc_lo
	s_xor_b32 s15, exec_lo, s15
; %bb.1140:                             ;   in Loop: Header=BB4_655 Depth=3
	v_bfe_u32 v10, v43, 16, 1
	s_delay_alu instid0(VALU_DEP_1)
	v_add3_u32 v10, v43, v10, 0x7fff
                                        ; implicit-def: $vgpr43
; %bb.1141:                             ;   in Loop: Header=BB4_655 Depth=3
	s_and_not1_saveexec_b32 s15, s15
; %bb.1142:                             ;   in Loop: Header=BB4_655 Depth=3
	v_and_b32_e32 v10, 0xffff, v43
	v_or_b32_e32 v45, 0x10000, v43
	s_delay_alu instid0(VALU_DEP_2) | instskip(NEXT) | instid1(VALU_DEP_2)
	v_cmp_eq_u32_e32 vcc_lo, 0, v10
	v_cndmask_b32_e32 v10, v45, v43, vcc_lo
; %bb.1143:                             ;   in Loop: Header=BB4_655 Depth=3
	s_or_b32 exec_lo, exec_lo, s15
	v_and_b32_e32 v43, 0xffff0000, v44
	v_lshlrev_b32_e32 v44, 16, v11
	s_delay_alu instid0(VALU_DEP_1) | instskip(NEXT) | instid1(VALU_DEP_1)
	v_add_f32_e32 v44, v43, v44
	v_and_b32_e32 v43, 0x7f800000, v44
	s_delay_alu instid0(VALU_DEP_1) | instskip(SKIP_1) | instid1(SALU_CYCLE_1)
	v_cmp_ne_u32_e32 vcc_lo, 0x7f800000, v43
                                        ; implicit-def: $vgpr43
	s_and_saveexec_b32 s15, vcc_lo
	s_xor_b32 s15, exec_lo, s15
; %bb.1144:                             ;   in Loop: Header=BB4_655 Depth=3
	v_bfe_u32 v43, v44, 16, 1
	s_delay_alu instid0(VALU_DEP_1)
	v_add3_u32 v43, v44, v43, 0x7fff
                                        ; implicit-def: $vgpr44
; %bb.1145:                             ;   in Loop: Header=BB4_655 Depth=3
	s_and_not1_saveexec_b32 s15, s15
; %bb.1146:                             ;   in Loop: Header=BB4_655 Depth=3
	v_and_b32_e32 v43, 0xffff, v44
	v_or_b32_e32 v45, 0x10000, v44
	s_delay_alu instid0(VALU_DEP_2) | instskip(NEXT) | instid1(VALU_DEP_2)
	v_cmp_eq_u32_e32 vcc_lo, 0, v43
	v_cndmask_b32_e32 v43, v45, v44, vcc_lo
; %bb.1147:                             ;   in Loop: Header=BB4_655 Depth=3
	s_or_b32 exec_lo, exec_lo, s15
	v_and_b32_e32 v11, 0xffff0000, v11
	v_and_b32_e32 v13, 0xffff0000, v13
	s_delay_alu instid0(VALU_DEP_1) | instskip(NEXT) | instid1(VALU_DEP_1)
	v_add_f32_e32 v13, v13, v11
	v_and_b32_e32 v11, 0x7f800000, v13
	s_delay_alu instid0(VALU_DEP_1) | instskip(SKIP_1) | instid1(SALU_CYCLE_1)
	v_cmp_ne_u32_e32 vcc_lo, 0x7f800000, v11
                                        ; implicit-def: $vgpr11
	s_and_saveexec_b32 s15, vcc_lo
	s_xor_b32 s15, exec_lo, s15
; %bb.1148:                             ;   in Loop: Header=BB4_655 Depth=3
	v_bfe_u32 v11, v13, 16, 1
	s_delay_alu instid0(VALU_DEP_1)
	v_add3_u32 v11, v13, v11, 0x7fff
                                        ; implicit-def: $vgpr13
; %bb.1149:                             ;   in Loop: Header=BB4_655 Depth=3
	s_and_not1_saveexec_b32 s15, s15
; %bb.1150:                             ;   in Loop: Header=BB4_655 Depth=3
	v_and_b32_e32 v11, 0xffff, v13
	v_or_b32_e32 v44, 0x10000, v13
	s_delay_alu instid0(VALU_DEP_2) | instskip(NEXT) | instid1(VALU_DEP_2)
	v_cmp_eq_u32_e32 vcc_lo, 0, v11
	v_cndmask_b32_e32 v11, v44, v13, vcc_lo
; %bb.1151:                             ;   in Loop: Header=BB4_655 Depth=3
	s_or_b32 exec_lo, exec_lo, s15
	v_dual_lshrrev_b32 v13, 16, v22 :: v_dual_lshrrev_b32 v23, 16, v23
	v_dual_lshrrev_b32 v22, 16, v42 :: v_dual_lshrrev_b32 v42, 16, v43
	s_delay_alu instid0(VALU_DEP_2) | instskip(NEXT) | instid1(VALU_DEP_3)
	v_and_or_b32 v9, 0xffff0000, v9, v13
	v_and_or_b32 v10, 0xffff0000, v10, v23
	s_delay_alu instid0(VALU_DEP_3) | instskip(NEXT) | instid1(VALU_DEP_4)
	v_and_or_b32 v8, 0xffff0000, v8, v22
	v_and_or_b32 v11, 0xffff0000, v11, v42
	global_store_b128 v[40:41], v[8:11], off th:TH_STORE_NT
.LBB4_1152:                             ;   in Loop: Header=BB4_655 Depth=3
	s_wait_xcnt 0x0
	s_or_b32 exec_lo, exec_lo, s14
	v_and_b32_e32 v9, 14, v15
	s_mov_b32 s15, s91
	s_mov_b32 s14, exec_lo
                                        ; implicit-def: $vgpr44
                                        ; implicit-def: $vgpr8
                                        ; implicit-def: $vgpr45
	s_delay_alu instid0(VALU_DEP_1) | instskip(NEXT) | instid1(VALU_DEP_1)
	v_cndmask_b32_e64 v13, v58, v9, s13
	v_cmpx_ne_u32_e32 0, v13
	s_cbranch_execz .LBB4_1154
; %bb.1153:                             ;   in Loop: Header=BB4_655 Depth=3
	v_cmp_lt_i32_e32 vcc_lo, 0, v59
	s_or_b32 s15, s91, exec_lo
	v_dual_cndmask_b32 v8, 0, v52 :: v_dual_sub_nc_u32 v9, v58, v9
	s_delay_alu instid0(VALU_DEP_1) | instskip(NEXT) | instid1(VALU_DEP_1)
	v_dual_cndmask_b32 v9, 0, v9, s13 :: v_dual_sub_nc_u32 v8, v8, v59
	v_add3_u32 v44, v57, v46, v9
	s_delay_alu instid0(VALU_DEP_2) | instskip(NEXT) | instid1(VALU_DEP_1)
	v_lshl_add_u32 v8, v8, 5, v47
	v_ashrrev_i32_e32 v10, 31, v8
	s_delay_alu instid0(VALU_DEP_1) | instskip(NEXT) | instid1(VALU_DEP_1)
	v_lshrrev_b32_e32 v10, 27, v10
	v_add_nc_u32_e32 v10, v8, v10
	s_delay_alu instid0(VALU_DEP_1) | instskip(NEXT) | instid1(VALU_DEP_1)
	v_and_b32_e32 v10, 0xffffffe0, v10
	v_sub_nc_u32_e32 v45, v8, v10
.LBB4_1154:                             ;   in Loop: Header=BB4_655 Depth=3
	s_or_b32 exec_lo, exec_lo, s14
	s_delay_alu instid0(SALU_CYCLE_1) | instskip(SKIP_1) | instid1(SALU_CYCLE_1)
	s_and_not1_b32 s13, s91, exec_lo
	s_and_b32 s14, s15, exec_lo
	s_or_b32 s91, s13, s14
.LBB4_1155:                             ;   in Loop: Header=BB4_655 Depth=3
	s_or_b32 exec_lo, exec_lo, s92
	s_and_saveexec_b32 s15, s91
	s_cbranch_execz .LBB4_1299
.LBB4_1156:                             ;   in Loop: Header=BB4_655 Depth=3
	s_delay_alu instid0(VALU_DEP_1) | instskip(SKIP_2) | instid1(VALU_DEP_3)
	v_dual_ashrrev_i32 v9, 31, v8 :: v_dual_ashrrev_i32 v10, 31, v13
	v_dual_mov_b32 v43, 0 :: v_dual_mov_b32 v42, 0
	v_dual_mov_b32 v41, 0 :: v_dual_mov_b32 v40, 0
	v_lshrrev_b32_e32 v9, 27, v9
	s_mov_b32 s14, 0
	s_mov_b32 s13, exec_lo
	v_dual_mov_b32 v61, 0 :: v_dual_mov_b32 v60, 0
	s_delay_alu instid0(VALU_DEP_2) | instskip(NEXT) | instid1(VALU_DEP_1)
	v_dual_add_nc_u32 v8, v8, v9 :: v_dual_lshrrev_b32 v9, 24, v10
	v_dual_ashrrev_i32 v8, 5, v8 :: v_dual_lshlrev_b32 v10, 1, v45
	s_delay_alu instid0(VALU_DEP_1) | instskip(NEXT) | instid1(VALU_DEP_1)
	v_dual_add_nc_u32 v9, v13, v9 :: v_dual_lshlrev_b32 v11, 8, v8
	v_ashrrev_i32_e32 v15, 8, v9
	s_wait_dscnt 0x0
	s_delay_alu instid0(VALU_DEP_2) | instskip(SKIP_1) | instid1(VALU_DEP_2)
	v_add3_u32 v22, v44, v10, v11
	v_dual_mov_b32 v11, 0 :: v_dual_mov_b32 v10, 0
	v_dual_sub_nc_u32 v46, v15, v8 :: v_dual_ashrrev_i32 v23, 31, v22
	s_delay_alu instid0(VALU_DEP_1) | instskip(NEXT) | instid1(VALU_DEP_2)
	v_add_nc_u64_e32 v[8:9], v[20:21], v[22:23]
	v_cmpx_lt_i32_e32 0, v46
	s_cbranch_execz .LBB4_1228
; %bb.1157:                             ;   in Loop: Header=BB4_655 Depth=3
	s_trap 2
	ds_load_b64 v[40:41], v0
	v_add_nc_u64_e32 v[10:11], v[22:23], v[18:19]
	s_mov_b32 s41, 0
	s_mov_b32 s40, 0
                                        ; implicit-def: $sgpr14
                                        ; implicit-def: $vgpr92
                                        ; implicit-def: $vgpr90
                                        ; implicit-def: $vgpr88
                                        ; implicit-def: $vgpr62
                                        ; implicit-def: $vgpr47
                                        ; implicit-def: $vgpr57
                                        ; implicit-def: $vgpr58
                                        ; implicit-def: $vgpr59
	s_wait_dscnt 0x0
	v_add_nc_u64_e32 v[22:23], v[40:41], v[22:23]
	s_branch .LBB4_1159
.LBB4_1158:                             ;   in Loop: Header=BB4_1159 Depth=4
	s_or_b32 exec_lo, exec_lo, s91
	v_dual_cndmask_b32 v63, 0, v52, s41 :: v_dual_cndmask_b32 v105, 0, v99, s41
	v_add_nc_u64_e32 v[60:61], v[10:11], v[82:83]
	v_add_nc_u64_e32 v[94:95], v[22:23], v[82:83]
	v_cndmask_b32_e64 v104, 0x100, v98, s41
	s_delay_alu instid0(VALU_DEP_4)
	v_sub_nc_u32_e32 v46, v46, v63
	s_clause 0x3
	flat_store_d16_hi_b16 v[8:9], v40 th:TH_STORE_NT
	flat_store_d16_hi_b16 v[8:9], v43 offset:64 th:TH_STORE_NT
	flat_store_d16_hi_b16 v[8:9], v42 offset:128 th:TH_STORE_NT
	;; [unrolled: 1-line block ×3, first 2 shown]
	v_cndmask_b32_e64 v11, v11, v61, s41
	v_cmp_gt_i32_e32 vcc_lo, 1, v46
	s_wait_xcnt 0x0
	v_add_nc_u64_e32 v[8:9], v[8:9], v[104:105]
	v_dual_cndmask_b32 v10, v10, v60, s41 :: v_dual_cndmask_b32 v23, v23, v95, s41
	v_cndmask_b32_e64 v22, v22, v94, s41
	s_or_b32 s40, vcc_lo, s40
	s_and_not1_b32 s14, s14, exec_lo
	s_and_b32 s91, s41, exec_lo
	s_delay_alu instid0(SALU_CYCLE_1)
	s_or_b32 s14, s14, s91
	s_and_not1_b32 exec_lo, exec_lo, s40
	s_cbranch_execz .LBB4_1227
.LBB4_1159:                             ;   Parent Loop BB4_47 Depth=1
                                        ;     Parent Loop BB4_652 Depth=2
                                        ;       Parent Loop BB4_655 Depth=3
                                        ; =>      This Inner Loop Header: Depth=4
	s_clause 0x3
	flat_load_u16 v95, v[10:11] th:TH_LOAD_NT
	flat_load_u16 v94, v[10:11] offset:64 th:TH_LOAD_NT
	flat_load_u16 v93, v[10:11] offset:128 th:TH_LOAD_NT
	;; [unrolled: 1-line block ×3, first 2 shown]
	s_clause 0x3
	flat_load_u16 v89, v[22:23] th:TH_LOAD_NT
	flat_load_u16 v63, v[22:23] offset:64 th:TH_LOAD_NT
	flat_load_u16 v61, v[22:23] offset:128 th:TH_LOAD_NT
	;; [unrolled: 1-line block ×3, first 2 shown]
	s_wait_xcnt 0x0
	s_and_saveexec_b32 s91, s41
	s_cbranch_execz .LBB4_1193
; %bb.1160:                             ;   in Loop: Header=BB4_1159 Depth=4
	s_trap 2
	ds_load_b32 v40, v0
	s_wait_dscnt 0x0
	v_lshlrev_b32_e32 v41, 16, v40
	s_delay_alu instid0(VALU_DEP_1) | instskip(NEXT) | instid1(VALU_DEP_1)
	v_dual_lshlrev_b32 v40, 16, v92 :: v_dual_mov_b32 v42, v41
	v_pk_mul_f32 v[42:43], v[42:43], v[40:41]
	s_delay_alu instid0(VALU_DEP_1) | instskip(NEXT) | instid1(VALU_DEP_1)
	v_and_b32_e32 v40, 0x7f800000, v42
	v_cmp_ne_u32_e32 vcc_lo, 0x7f800000, v40
                                        ; implicit-def: $vgpr40
	s_and_saveexec_b32 s41, vcc_lo
	s_delay_alu instid0(SALU_CYCLE_1)
	s_xor_b32 s41, exec_lo, s41
; %bb.1161:                             ;   in Loop: Header=BB4_1159 Depth=4
	v_bfe_u32 v40, v42, 16, 1
	s_delay_alu instid0(VALU_DEP_1)
	v_add3_u32 v40, v42, v40, 0x7fff
                                        ; implicit-def: $vgpr42_vgpr43
; %bb.1162:                             ;   in Loop: Header=BB4_1159 Depth=4
	s_and_not1_saveexec_b32 s41, s41
; %bb.1163:                             ;   in Loop: Header=BB4_1159 Depth=4
	v_and_b32_e32 v40, 0xffff, v42
	v_or_b32_e32 v43, 0x10000, v42
	s_delay_alu instid0(VALU_DEP_2) | instskip(NEXT) | instid1(VALU_DEP_2)
	v_cmp_eq_u32_e32 vcc_lo, 0, v40
	v_cndmask_b32_e32 v40, v43, v42, vcc_lo
; %bb.1164:                             ;   in Loop: Header=BB4_1159 Depth=4
	s_or_b32 exec_lo, exec_lo, s41
	v_lshlrev_b32_e32 v42, 16, v90
	s_delay_alu instid0(VALU_DEP_1) | instskip(NEXT) | instid1(VALU_DEP_1)
	v_mul_f32_e32 v42, v41, v42
	v_and_b32_e32 v43, 0x7f800000, v42
	s_delay_alu instid0(VALU_DEP_1) | instskip(SKIP_1) | instid1(SALU_CYCLE_1)
	v_cmp_ne_u32_e32 vcc_lo, 0x7f800000, v43
                                        ; implicit-def: $vgpr43
	s_and_saveexec_b32 s41, vcc_lo
	s_xor_b32 s41, exec_lo, s41
; %bb.1165:                             ;   in Loop: Header=BB4_1159 Depth=4
	v_bfe_u32 v43, v42, 16, 1
	s_delay_alu instid0(VALU_DEP_1)
	v_add3_u32 v43, v42, v43, 0x7fff
                                        ; implicit-def: $vgpr42
; %bb.1166:                             ;   in Loop: Header=BB4_1159 Depth=4
	s_and_not1_saveexec_b32 s41, s41
; %bb.1167:                             ;   in Loop: Header=BB4_1159 Depth=4
	v_and_b32_e32 v43, 0xffff, v42
	v_or_b32_e32 v90, 0x10000, v42
	s_delay_alu instid0(VALU_DEP_2) | instskip(NEXT) | instid1(VALU_DEP_2)
	v_cmp_eq_u32_e32 vcc_lo, 0, v43
	v_cndmask_b32_e32 v43, v90, v42, vcc_lo
; %bb.1168:                             ;   in Loop: Header=BB4_1159 Depth=4
	s_or_b32 exec_lo, exec_lo, s41
	v_lshlrev_b32_e32 v42, 16, v88
	s_delay_alu instid0(VALU_DEP_1) | instskip(NEXT) | instid1(VALU_DEP_1)
	v_mul_f32_e32 v88, v41, v42
	v_and_b32_e32 v42, 0x7f800000, v88
	s_delay_alu instid0(VALU_DEP_1) | instskip(SKIP_1) | instid1(SALU_CYCLE_1)
	v_cmp_ne_u32_e32 vcc_lo, 0x7f800000, v42
                                        ; implicit-def: $vgpr42
	s_and_saveexec_b32 s41, vcc_lo
	s_xor_b32 s41, exec_lo, s41
; %bb.1169:                             ;   in Loop: Header=BB4_1159 Depth=4
	v_bfe_u32 v42, v88, 16, 1
	s_delay_alu instid0(VALU_DEP_1)
	v_add3_u32 v42, v88, v42, 0x7fff
                                        ; implicit-def: $vgpr88
; %bb.1170:                             ;   in Loop: Header=BB4_1159 Depth=4
	s_and_not1_saveexec_b32 s41, s41
; %bb.1171:                             ;   in Loop: Header=BB4_1159 Depth=4
	v_and_b32_e32 v42, 0xffff, v88
	v_or_b32_e32 v90, 0x10000, v88
	s_delay_alu instid0(VALU_DEP_2) | instskip(NEXT) | instid1(VALU_DEP_2)
	v_cmp_eq_u32_e32 vcc_lo, 0, v42
	v_cndmask_b32_e32 v42, v90, v88, vcc_lo
; %bb.1172:                             ;   in Loop: Header=BB4_1159 Depth=4
	s_or_b32 exec_lo, exec_lo, s41
	v_lshlrev_b32_e32 v62, 16, v62
	s_delay_alu instid0(VALU_DEP_1) | instskip(NEXT) | instid1(VALU_DEP_1)
	v_mul_f32_e32 v62, v41, v62
	v_and_b32_e32 v41, 0x7f800000, v62
	s_delay_alu instid0(VALU_DEP_1) | instskip(SKIP_1) | instid1(SALU_CYCLE_1)
	v_cmp_ne_u32_e32 vcc_lo, 0x7f800000, v41
                                        ; implicit-def: $vgpr41
	s_and_saveexec_b32 s41, vcc_lo
	s_xor_b32 s41, exec_lo, s41
; %bb.1173:                             ;   in Loop: Header=BB4_1159 Depth=4
	v_bfe_u32 v41, v62, 16, 1
	s_delay_alu instid0(VALU_DEP_1)
	v_add3_u32 v41, v62, v41, 0x7fff
                                        ; implicit-def: $vgpr62
; %bb.1174:                             ;   in Loop: Header=BB4_1159 Depth=4
	s_and_not1_saveexec_b32 s41, s41
; %bb.1175:                             ;   in Loop: Header=BB4_1159 Depth=4
	v_and_b32_e32 v41, 0xffff, v62
	v_or_b32_e32 v88, 0x10000, v62
	s_delay_alu instid0(VALU_DEP_2) | instskip(NEXT) | instid1(VALU_DEP_2)
	v_cmp_eq_u32_e32 vcc_lo, 0, v41
	v_cndmask_b32_e32 v41, v88, v62, vcc_lo
; %bb.1176:                             ;   in Loop: Header=BB4_1159 Depth=4
	s_or_b32 exec_lo, exec_lo, s41
	v_and_b32_e32 v40, 0xffff0000, v40
	v_lshlrev_b32_e32 v62, 16, v47
	s_delay_alu instid0(VALU_DEP_1) | instskip(NEXT) | instid1(VALU_DEP_1)
	v_add_f32_e32 v62, v62, v40
	v_and_b32_e32 v40, 0x7f800000, v62
	s_delay_alu instid0(VALU_DEP_1) | instskip(SKIP_1) | instid1(SALU_CYCLE_1)
	v_cmp_ne_u32_e32 vcc_lo, 0x7f800000, v40
                                        ; implicit-def: $vgpr40
	s_and_saveexec_b32 s41, vcc_lo
	s_xor_b32 s41, exec_lo, s41
; %bb.1177:                             ;   in Loop: Header=BB4_1159 Depth=4
	v_bfe_u32 v40, v62, 16, 1
	s_delay_alu instid0(VALU_DEP_1)
	v_add3_u32 v40, v62, v40, 0x7fff
                                        ; implicit-def: $vgpr62
; %bb.1178:                             ;   in Loop: Header=BB4_1159 Depth=4
	s_and_not1_saveexec_b32 s41, s41
; %bb.1179:                             ;   in Loop: Header=BB4_1159 Depth=4
	v_and_b32_e32 v40, 0xffff, v62
	v_or_b32_e32 v88, 0x10000, v62
	s_delay_alu instid0(VALU_DEP_2) | instskip(NEXT) | instid1(VALU_DEP_2)
	v_cmp_eq_u32_e32 vcc_lo, 0, v40
	v_cndmask_b32_e32 v40, v88, v62, vcc_lo
; %bb.1180:                             ;   in Loop: Header=BB4_1159 Depth=4
	s_or_b32 exec_lo, exec_lo, s41
	v_and_b32_e32 v43, 0xffff0000, v43
	v_lshlrev_b32_e32 v62, 16, v57
	s_delay_alu instid0(VALU_DEP_1) | instskip(NEXT) | instid1(VALU_DEP_1)
	v_add_f32_e32 v62, v62, v43
	v_and_b32_e32 v43, 0x7f800000, v62
	s_delay_alu instid0(VALU_DEP_1) | instskip(SKIP_1) | instid1(SALU_CYCLE_1)
	v_cmp_ne_u32_e32 vcc_lo, 0x7f800000, v43
                                        ; implicit-def: $vgpr43
	s_and_saveexec_b32 s41, vcc_lo
	s_xor_b32 s41, exec_lo, s41
; %bb.1181:                             ;   in Loop: Header=BB4_1159 Depth=4
	v_bfe_u32 v43, v62, 16, 1
	s_delay_alu instid0(VALU_DEP_1)
	v_add3_u32 v43, v62, v43, 0x7fff
                                        ; implicit-def: $vgpr62
; %bb.1182:                             ;   in Loop: Header=BB4_1159 Depth=4
	s_and_not1_saveexec_b32 s41, s41
; %bb.1183:                             ;   in Loop: Header=BB4_1159 Depth=4
	v_and_b32_e32 v43, 0xffff, v62
	v_or_b32_e32 v88, 0x10000, v62
	s_delay_alu instid0(VALU_DEP_2) | instskip(NEXT) | instid1(VALU_DEP_2)
	v_cmp_eq_u32_e32 vcc_lo, 0, v43
	v_cndmask_b32_e32 v43, v88, v62, vcc_lo
; %bb.1184:                             ;   in Loop: Header=BB4_1159 Depth=4
	s_or_b32 exec_lo, exec_lo, s41
	v_and_b32_e32 v42, 0xffff0000, v42
	v_lshlrev_b32_e32 v62, 16, v58
	s_delay_alu instid0(VALU_DEP_1) | instskip(NEXT) | instid1(VALU_DEP_1)
	v_add_f32_e32 v62, v62, v42
	v_and_b32_e32 v42, 0x7f800000, v62
	s_delay_alu instid0(VALU_DEP_1) | instskip(SKIP_1) | instid1(SALU_CYCLE_1)
	v_cmp_ne_u32_e32 vcc_lo, 0x7f800000, v42
                                        ; implicit-def: $vgpr42
	s_and_saveexec_b32 s41, vcc_lo
	s_xor_b32 s41, exec_lo, s41
; %bb.1185:                             ;   in Loop: Header=BB4_1159 Depth=4
	v_bfe_u32 v42, v62, 16, 1
	s_delay_alu instid0(VALU_DEP_1)
	v_add3_u32 v42, v62, v42, 0x7fff
                                        ; implicit-def: $vgpr62
; %bb.1186:                             ;   in Loop: Header=BB4_1159 Depth=4
	s_and_not1_saveexec_b32 s41, s41
; %bb.1187:                             ;   in Loop: Header=BB4_1159 Depth=4
	v_and_b32_e32 v42, 0xffff, v62
	v_or_b32_e32 v88, 0x10000, v62
	s_delay_alu instid0(VALU_DEP_2) | instskip(NEXT) | instid1(VALU_DEP_2)
	v_cmp_eq_u32_e32 vcc_lo, 0, v42
	v_cndmask_b32_e32 v42, v88, v62, vcc_lo
; %bb.1188:                             ;   in Loop: Header=BB4_1159 Depth=4
	s_or_b32 exec_lo, exec_lo, s41
	v_and_b32_e32 v41, 0xffff0000, v41
	v_lshlrev_b32_e32 v62, 16, v59
	s_delay_alu instid0(VALU_DEP_1) | instskip(NEXT) | instid1(VALU_DEP_1)
	v_add_f32_e32 v62, v62, v41
	v_and_b32_e32 v41, 0x7f800000, v62
	s_delay_alu instid0(VALU_DEP_1) | instskip(SKIP_1) | instid1(SALU_CYCLE_1)
	v_cmp_ne_u32_e32 vcc_lo, 0x7f800000, v41
                                        ; implicit-def: $vgpr41
	s_and_saveexec_b32 s41, vcc_lo
	s_xor_b32 s41, exec_lo, s41
; %bb.1189:                             ;   in Loop: Header=BB4_1159 Depth=4
	v_bfe_u32 v41, v62, 16, 1
	s_delay_alu instid0(VALU_DEP_1)
	v_add3_u32 v41, v62, v41, 0x7fff
                                        ; implicit-def: $vgpr62
; %bb.1190:                             ;   in Loop: Header=BB4_1159 Depth=4
	s_and_not1_saveexec_b32 s41, s41
; %bb.1191:                             ;   in Loop: Header=BB4_1159 Depth=4
	v_and_b32_e32 v41, 0xffff, v62
	v_or_b32_e32 v88, 0x10000, v62
	s_delay_alu instid0(VALU_DEP_2) | instskip(NEXT) | instid1(VALU_DEP_2)
	v_cmp_eq_u32_e32 vcc_lo, 0, v41
	v_cndmask_b32_e32 v41, v88, v62, vcc_lo
; %bb.1192:                             ;   in Loop: Header=BB4_1159 Depth=4
	s_or_b32 exec_lo, exec_lo, s41
	v_dual_lshrrev_b32 v92, 16, v40 :: v_dual_lshrrev_b32 v90, 16, v43
	s_delay_alu instid0(VALU_DEP_2)
	v_dual_lshrrev_b32 v88, 16, v42 :: v_dual_lshrrev_b32 v62, 16, v41
	s_clause 0x3
	flat_store_b16 v[8:9], v92 th:TH_STORE_NT
	flat_store_b16 v[8:9], v90 offset:64 th:TH_STORE_NT
	flat_store_b16 v[8:9], v88 offset:128 th:TH_STORE_NT
	;; [unrolled: 1-line block ×3, first 2 shown]
	s_wait_xcnt 0x0
	v_add_nc_u64_e32 v[8:9], v[8:9], v[98:99]
.LBB4_1193:                             ;   in Loop: Header=BB4_1159 Depth=4
	s_or_b32 exec_lo, exec_lo, s91
	v_sub_nc_u32_e32 v46, v46, v52
	v_add_nc_u64_e32 v[10:11], v[10:11], v[98:99]
	v_add_nc_u64_e32 v[22:23], v[22:23], v[98:99]
	s_delay_alu instid0(VALU_DEP_3)
	v_cmp_lt_i32_e64 s41, 0, v46
	s_and_saveexec_b32 s91, s41
	s_cbranch_execz .LBB4_1195
; %bb.1194:                             ;   in Loop: Header=BB4_1159 Depth=4
	s_clause 0x3
	flat_load_u16 v92, v[10:11] th:TH_LOAD_NT
	flat_load_u16 v90, v[10:11] offset:64 th:TH_LOAD_NT
	flat_load_u16 v88, v[10:11] offset:128 th:TH_LOAD_NT
	;; [unrolled: 1-line block ×3, first 2 shown]
	s_clause 0x3
	flat_load_u16 v47, v[22:23] th:TH_LOAD_NT
	flat_load_u16 v57, v[22:23] offset:64 th:TH_LOAD_NT
	flat_load_u16 v58, v[22:23] offset:128 th:TH_LOAD_NT
	;; [unrolled: 1-line block ×3, first 2 shown]
	s_wait_xcnt 0x4
	v_add_nc_u64_e32 v[10:11], 0x100, v[10:11]
	s_wait_xcnt 0x0
	v_add_nc_u64_e32 v[22:23], 0x100, v[22:23]
.LBB4_1195:                             ;   in Loop: Header=BB4_1159 Depth=4
	s_or_b32 exec_lo, exec_lo, s91
	s_trap 2
	ds_load_b32 v40, v0
	s_wait_loadcnt_dscnt 0x700
	v_dual_lshlrev_b32 v41, 16, v40 :: v_dual_lshlrev_b32 v40, 16, v95
	s_delay_alu instid0(VALU_DEP_1) | instskip(NEXT) | instid1(VALU_DEP_1)
	v_mov_b32_e32 v42, v41
	v_pk_mul_f32 v[42:43], v[42:43], v[40:41]
	s_delay_alu instid0(VALU_DEP_1) | instskip(NEXT) | instid1(VALU_DEP_1)
	v_and_b32_e32 v40, 0x7f800000, v42
	v_cmp_ne_u32_e32 vcc_lo, 0x7f800000, v40
                                        ; implicit-def: $vgpr40
	s_and_saveexec_b32 s91, vcc_lo
	s_delay_alu instid0(SALU_CYCLE_1)
	s_xor_b32 s91, exec_lo, s91
; %bb.1196:                             ;   in Loop: Header=BB4_1159 Depth=4
	v_bfe_u32 v40, v42, 16, 1
	s_delay_alu instid0(VALU_DEP_1)
	v_add3_u32 v40, v42, v40, 0x7fff
                                        ; implicit-def: $vgpr42_vgpr43
; %bb.1197:                             ;   in Loop: Header=BB4_1159 Depth=4
	s_and_not1_saveexec_b32 s91, s91
; %bb.1198:                             ;   in Loop: Header=BB4_1159 Depth=4
	v_and_b32_e32 v40, 0xffff, v42
	v_or_b32_e32 v43, 0x10000, v42
	s_delay_alu instid0(VALU_DEP_2) | instskip(NEXT) | instid1(VALU_DEP_2)
	v_cmp_eq_u32_e32 vcc_lo, 0, v40
	v_cndmask_b32_e32 v40, v43, v42, vcc_lo
; %bb.1199:                             ;   in Loop: Header=BB4_1159 Depth=4
	s_or_b32 exec_lo, exec_lo, s91
	s_wait_loadcnt 0x6
	v_lshlrev_b32_e32 v42, 16, v94
	s_delay_alu instid0(VALU_DEP_1) | instskip(NEXT) | instid1(VALU_DEP_1)
	v_mul_f32_e32 v42, v41, v42
	v_and_b32_e32 v43, 0x7f800000, v42
	s_delay_alu instid0(VALU_DEP_1) | instskip(SKIP_1) | instid1(SALU_CYCLE_1)
	v_cmp_ne_u32_e32 vcc_lo, 0x7f800000, v43
                                        ; implicit-def: $vgpr43
	s_and_saveexec_b32 s91, vcc_lo
	s_xor_b32 s91, exec_lo, s91
; %bb.1200:                             ;   in Loop: Header=BB4_1159 Depth=4
	v_bfe_u32 v43, v42, 16, 1
	s_delay_alu instid0(VALU_DEP_1)
	v_add3_u32 v43, v42, v43, 0x7fff
                                        ; implicit-def: $vgpr42
; %bb.1201:                             ;   in Loop: Header=BB4_1159 Depth=4
	s_and_not1_saveexec_b32 s91, s91
; %bb.1202:                             ;   in Loop: Header=BB4_1159 Depth=4
	v_and_b32_e32 v43, 0xffff, v42
	v_or_b32_e32 v94, 0x10000, v42
	s_delay_alu instid0(VALU_DEP_2) | instskip(NEXT) | instid1(VALU_DEP_2)
	v_cmp_eq_u32_e32 vcc_lo, 0, v43
	v_cndmask_b32_e32 v43, v94, v42, vcc_lo
; %bb.1203:                             ;   in Loop: Header=BB4_1159 Depth=4
	s_or_b32 exec_lo, exec_lo, s91
	s_wait_loadcnt 0x5
	v_lshlrev_b32_e32 v42, 16, v93
	s_delay_alu instid0(VALU_DEP_1) | instskip(NEXT) | instid1(VALU_DEP_1)
	v_mul_f32_e32 v93, v41, v42
	v_and_b32_e32 v42, 0x7f800000, v93
	s_delay_alu instid0(VALU_DEP_1) | instskip(SKIP_1) | instid1(SALU_CYCLE_1)
	v_cmp_ne_u32_e32 vcc_lo, 0x7f800000, v42
                                        ; implicit-def: $vgpr42
	s_and_saveexec_b32 s91, vcc_lo
	s_xor_b32 s91, exec_lo, s91
; %bb.1204:                             ;   in Loop: Header=BB4_1159 Depth=4
	v_bfe_u32 v42, v93, 16, 1
	s_delay_alu instid0(VALU_DEP_1)
	v_add3_u32 v42, v93, v42, 0x7fff
                                        ; implicit-def: $vgpr93
; %bb.1205:                             ;   in Loop: Header=BB4_1159 Depth=4
	s_and_not1_saveexec_b32 s91, s91
; %bb.1206:                             ;   in Loop: Header=BB4_1159 Depth=4
	v_and_b32_e32 v42, 0xffff, v93
	v_or_b32_e32 v94, 0x10000, v93
	s_delay_alu instid0(VALU_DEP_2) | instskip(NEXT) | instid1(VALU_DEP_2)
	v_cmp_eq_u32_e32 vcc_lo, 0, v42
	v_cndmask_b32_e32 v42, v94, v93, vcc_lo
; %bb.1207:                             ;   in Loop: Header=BB4_1159 Depth=4
	s_or_b32 exec_lo, exec_lo, s91
	s_wait_loadcnt 0x4
	v_lshlrev_b32_e32 v91, 16, v91
	s_delay_alu instid0(VALU_DEP_1) | instskip(NEXT) | instid1(VALU_DEP_1)
	v_mul_f32_e32 v91, v41, v91
	v_and_b32_e32 v41, 0x7f800000, v91
	s_delay_alu instid0(VALU_DEP_1) | instskip(SKIP_1) | instid1(SALU_CYCLE_1)
	v_cmp_ne_u32_e32 vcc_lo, 0x7f800000, v41
                                        ; implicit-def: $vgpr41
	s_and_saveexec_b32 s91, vcc_lo
	s_xor_b32 s91, exec_lo, s91
; %bb.1208:                             ;   in Loop: Header=BB4_1159 Depth=4
	v_bfe_u32 v41, v91, 16, 1
	s_delay_alu instid0(VALU_DEP_1)
	v_add3_u32 v41, v91, v41, 0x7fff
                                        ; implicit-def: $vgpr91
; %bb.1209:                             ;   in Loop: Header=BB4_1159 Depth=4
	s_and_not1_saveexec_b32 s91, s91
; %bb.1210:                             ;   in Loop: Header=BB4_1159 Depth=4
	v_and_b32_e32 v41, 0xffff, v91
	v_or_b32_e32 v93, 0x10000, v91
	s_delay_alu instid0(VALU_DEP_2) | instskip(NEXT) | instid1(VALU_DEP_2)
	v_cmp_eq_u32_e32 vcc_lo, 0, v41
	v_cndmask_b32_e32 v41, v93, v91, vcc_lo
; %bb.1211:                             ;   in Loop: Header=BB4_1159 Depth=4
	s_or_b32 exec_lo, exec_lo, s91
	v_and_b32_e32 v40, 0xffff0000, v40
	s_wait_loadcnt 0x3
	v_lshlrev_b32_e32 v89, 16, v89
	s_delay_alu instid0(VALU_DEP_1) | instskip(NEXT) | instid1(VALU_DEP_1)
	v_add_f32_e32 v89, v89, v40
	v_and_b32_e32 v40, 0x7f800000, v89
	s_delay_alu instid0(VALU_DEP_1) | instskip(SKIP_1) | instid1(SALU_CYCLE_1)
	v_cmp_ne_u32_e32 vcc_lo, 0x7f800000, v40
                                        ; implicit-def: $vgpr40
	s_and_saveexec_b32 s91, vcc_lo
	s_xor_b32 s91, exec_lo, s91
; %bb.1212:                             ;   in Loop: Header=BB4_1159 Depth=4
	v_bfe_u32 v40, v89, 16, 1
	s_delay_alu instid0(VALU_DEP_1)
	v_add3_u32 v40, v89, v40, 0x7fff
                                        ; implicit-def: $vgpr89
; %bb.1213:                             ;   in Loop: Header=BB4_1159 Depth=4
	s_and_not1_saveexec_b32 s91, s91
; %bb.1214:                             ;   in Loop: Header=BB4_1159 Depth=4
	v_and_b32_e32 v40, 0xffff, v89
	v_or_b32_e32 v91, 0x10000, v89
	s_delay_alu instid0(VALU_DEP_2) | instskip(NEXT) | instid1(VALU_DEP_2)
	v_cmp_eq_u32_e32 vcc_lo, 0, v40
	v_cndmask_b32_e32 v40, v91, v89, vcc_lo
; %bb.1215:                             ;   in Loop: Header=BB4_1159 Depth=4
	s_or_b32 exec_lo, exec_lo, s91
	v_and_b32_e32 v43, 0xffff0000, v43
	s_wait_loadcnt 0x2
	v_lshlrev_b32_e32 v63, 16, v63
	s_delay_alu instid0(VALU_DEP_1) | instskip(NEXT) | instid1(VALU_DEP_1)
	v_add_f32_e32 v63, v63, v43
	v_and_b32_e32 v43, 0x7f800000, v63
	s_delay_alu instid0(VALU_DEP_1) | instskip(SKIP_1) | instid1(SALU_CYCLE_1)
	v_cmp_ne_u32_e32 vcc_lo, 0x7f800000, v43
                                        ; implicit-def: $vgpr43
	s_and_saveexec_b32 s91, vcc_lo
	s_xor_b32 s91, exec_lo, s91
; %bb.1216:                             ;   in Loop: Header=BB4_1159 Depth=4
	v_bfe_u32 v43, v63, 16, 1
	s_delay_alu instid0(VALU_DEP_1)
	v_add3_u32 v43, v63, v43, 0x7fff
                                        ; implicit-def: $vgpr63
; %bb.1217:                             ;   in Loop: Header=BB4_1159 Depth=4
	s_and_not1_saveexec_b32 s91, s91
; %bb.1218:                             ;   in Loop: Header=BB4_1159 Depth=4
	v_and_b32_e32 v43, 0xffff, v63
	v_or_b32_e32 v89, 0x10000, v63
	s_delay_alu instid0(VALU_DEP_2) | instskip(NEXT) | instid1(VALU_DEP_2)
	v_cmp_eq_u32_e32 vcc_lo, 0, v43
	v_cndmask_b32_e32 v43, v89, v63, vcc_lo
; %bb.1219:                             ;   in Loop: Header=BB4_1159 Depth=4
	s_or_b32 exec_lo, exec_lo, s91
	v_and_b32_e32 v42, 0xffff0000, v42
	s_wait_loadcnt 0x1
	v_lshlrev_b32_e32 v61, 16, v61
	s_delay_alu instid0(VALU_DEP_1) | instskip(NEXT) | instid1(VALU_DEP_1)
	v_add_f32_e32 v61, v61, v42
	v_and_b32_e32 v42, 0x7f800000, v61
	s_delay_alu instid0(VALU_DEP_1) | instskip(SKIP_1) | instid1(SALU_CYCLE_1)
	v_cmp_ne_u32_e32 vcc_lo, 0x7f800000, v42
                                        ; implicit-def: $vgpr42
	s_and_saveexec_b32 s91, vcc_lo
	s_xor_b32 s91, exec_lo, s91
; %bb.1220:                             ;   in Loop: Header=BB4_1159 Depth=4
	v_bfe_u32 v42, v61, 16, 1
	s_delay_alu instid0(VALU_DEP_1)
	v_add3_u32 v42, v61, v42, 0x7fff
                                        ; implicit-def: $vgpr61
; %bb.1221:                             ;   in Loop: Header=BB4_1159 Depth=4
	s_and_not1_saveexec_b32 s91, s91
; %bb.1222:                             ;   in Loop: Header=BB4_1159 Depth=4
	v_and_b32_e32 v42, 0xffff, v61
	v_or_b32_e32 v63, 0x10000, v61
	s_delay_alu instid0(VALU_DEP_2) | instskip(NEXT) | instid1(VALU_DEP_2)
	v_cmp_eq_u32_e32 vcc_lo, 0, v42
	v_cndmask_b32_e32 v42, v63, v61, vcc_lo
; %bb.1223:                             ;   in Loop: Header=BB4_1159 Depth=4
	s_or_b32 exec_lo, exec_lo, s91
	v_and_b32_e32 v41, 0xffff0000, v41
	s_wait_loadcnt 0x0
	v_lshlrev_b32_e32 v60, 16, v60
	s_delay_alu instid0(VALU_DEP_1) | instskip(NEXT) | instid1(VALU_DEP_1)
	v_add_f32_e32 v60, v60, v41
	v_and_b32_e32 v41, 0x7f800000, v60
	s_delay_alu instid0(VALU_DEP_1) | instskip(SKIP_1) | instid1(SALU_CYCLE_1)
	v_cmp_ne_u32_e32 vcc_lo, 0x7f800000, v41
                                        ; implicit-def: $vgpr41
	s_and_saveexec_b32 s91, vcc_lo
	s_xor_b32 s91, exec_lo, s91
; %bb.1224:                             ;   in Loop: Header=BB4_1159 Depth=4
	v_bfe_u32 v41, v60, 16, 1
	s_delay_alu instid0(VALU_DEP_1)
	v_add3_u32 v41, v60, v41, 0x7fff
                                        ; implicit-def: $vgpr60
; %bb.1225:                             ;   in Loop: Header=BB4_1159 Depth=4
	s_and_not1_saveexec_b32 s91, s91
	s_cbranch_execz .LBB4_1158
; %bb.1226:                             ;   in Loop: Header=BB4_1159 Depth=4
	v_and_b32_e32 v41, 0xffff, v60
	v_or_b32_e32 v61, 0x10000, v60
	s_delay_alu instid0(VALU_DEP_2) | instskip(NEXT) | instid1(VALU_DEP_2)
	v_cmp_eq_u32_e32 vcc_lo, 0, v41
	v_cndmask_b32_e32 v41, v61, v60, vcc_lo
	s_branch .LBB4_1158
.LBB4_1227:                             ;   in Loop: Header=BB4_655 Depth=3
	s_or_b32 exec_lo, exec_lo, s40
	v_dual_lshlrev_b32 v61, 16, v92 :: v_dual_lshlrev_b32 v60, 16, v90
	v_dual_lshlrev_b32 v43, 16, v88 :: v_dual_lshlrev_b32 v42, 16, v62
	v_dual_lshlrev_b32 v41, 16, v47 :: v_dual_lshlrev_b32 v40, 16, v57
	v_dual_lshlrev_b32 v11, 16, v58 :: v_dual_lshlrev_b32 v10, 16, v59
	s_and_b32 s14, s14, exec_lo
.LBB4_1228:                             ;   in Loop: Header=BB4_655 Depth=3
	s_or_b32 exec_lo, exec_lo, s13
	s_and_saveexec_b32 s13, s14
	s_cbranch_execz .LBB4_1262
; %bb.1229:                             ;   in Loop: Header=BB4_655 Depth=3
	s_trap 2
	ds_load_b32 v22, v0
	s_wait_dscnt 0x0
	v_lshlrev_b32_e32 v22, 16, v22
	s_delay_alu instid0(VALU_DEP_1) | instskip(NEXT) | instid1(VALU_DEP_1)
	v_mul_f32_e32 v47, v61, v22
	v_and_b32_e32 v23, 0x7f800000, v47
	s_delay_alu instid0(VALU_DEP_1) | instskip(SKIP_1) | instid1(SALU_CYCLE_1)
	v_cmp_ne_u32_e32 vcc_lo, 0x7f800000, v23
                                        ; implicit-def: $vgpr23
	s_and_saveexec_b32 s14, vcc_lo
	s_xor_b32 s14, exec_lo, s14
; %bb.1230:                             ;   in Loop: Header=BB4_655 Depth=3
	v_bfe_u32 v23, v47, 16, 1
	s_delay_alu instid0(VALU_DEP_1)
	v_add3_u32 v23, v47, v23, 0x7fff
                                        ; implicit-def: $vgpr47
; %bb.1231:                             ;   in Loop: Header=BB4_655 Depth=3
	s_and_not1_saveexec_b32 s14, s14
; %bb.1232:                             ;   in Loop: Header=BB4_655 Depth=3
	v_and_b32_e32 v23, 0xffff, v47
	v_or_b32_e32 v57, 0x10000, v47
	s_delay_alu instid0(VALU_DEP_2) | instskip(NEXT) | instid1(VALU_DEP_2)
	v_cmp_eq_u32_e32 vcc_lo, 0, v23
	v_cndmask_b32_e32 v23, v57, v47, vcc_lo
; %bb.1233:                             ;   in Loop: Header=BB4_655 Depth=3
	s_or_b32 exec_lo, exec_lo, s14
	v_mul_f32_e32 v57, v60, v22
	s_delay_alu instid0(VALU_DEP_1) | instskip(NEXT) | instid1(VALU_DEP_1)
	v_and_b32_e32 v47, 0x7f800000, v57
	v_cmp_ne_u32_e32 vcc_lo, 0x7f800000, v47
                                        ; implicit-def: $vgpr47
	s_and_saveexec_b32 s14, vcc_lo
	s_delay_alu instid0(SALU_CYCLE_1)
	s_xor_b32 s14, exec_lo, s14
; %bb.1234:                             ;   in Loop: Header=BB4_655 Depth=3
	v_bfe_u32 v47, v57, 16, 1
	s_delay_alu instid0(VALU_DEP_1)
	v_add3_u32 v47, v57, v47, 0x7fff
                                        ; implicit-def: $vgpr57
; %bb.1235:                             ;   in Loop: Header=BB4_655 Depth=3
	s_and_not1_saveexec_b32 s14, s14
; %bb.1236:                             ;   in Loop: Header=BB4_655 Depth=3
	v_and_b32_e32 v47, 0xffff, v57
	v_or_b32_e32 v58, 0x10000, v57
	s_delay_alu instid0(VALU_DEP_2) | instskip(NEXT) | instid1(VALU_DEP_2)
	v_cmp_eq_u32_e32 vcc_lo, 0, v47
	v_cndmask_b32_e32 v47, v58, v57, vcc_lo
; %bb.1237:                             ;   in Loop: Header=BB4_655 Depth=3
	s_or_b32 exec_lo, exec_lo, s14
	v_mul_f32_e32 v57, v43, v22
	s_delay_alu instid0(VALU_DEP_1) | instskip(NEXT) | instid1(VALU_DEP_1)
	v_and_b32_e32 v43, 0x7f800000, v57
	v_cmp_ne_u32_e32 vcc_lo, 0x7f800000, v43
                                        ; implicit-def: $vgpr43
	s_and_saveexec_b32 s14, vcc_lo
	s_delay_alu instid0(SALU_CYCLE_1)
	s_xor_b32 s14, exec_lo, s14
; %bb.1238:                             ;   in Loop: Header=BB4_655 Depth=3
	v_bfe_u32 v43, v57, 16, 1
	s_delay_alu instid0(VALU_DEP_1)
	v_add3_u32 v43, v57, v43, 0x7fff
                                        ; implicit-def: $vgpr57
; %bb.1239:                             ;   in Loop: Header=BB4_655 Depth=3
	s_and_not1_saveexec_b32 s14, s14
; %bb.1240:                             ;   in Loop: Header=BB4_655 Depth=3
	v_and_b32_e32 v43, 0xffff, v57
	v_or_b32_e32 v58, 0x10000, v57
	s_delay_alu instid0(VALU_DEP_2) | instskip(NEXT) | instid1(VALU_DEP_2)
	v_cmp_eq_u32_e32 vcc_lo, 0, v43
	v_cndmask_b32_e32 v43, v58, v57, vcc_lo
; %bb.1241:                             ;   in Loop: Header=BB4_655 Depth=3
	s_or_b32 exec_lo, exec_lo, s14
	v_mul_f32_e32 v42, v42, v22
	s_delay_alu instid0(VALU_DEP_1) | instskip(NEXT) | instid1(VALU_DEP_1)
	v_and_b32_e32 v22, 0x7f800000, v42
	v_cmp_ne_u32_e32 vcc_lo, 0x7f800000, v22
                                        ; implicit-def: $vgpr22
	s_and_saveexec_b32 s14, vcc_lo
	s_delay_alu instid0(SALU_CYCLE_1)
	s_xor_b32 s14, exec_lo, s14
; %bb.1242:                             ;   in Loop: Header=BB4_655 Depth=3
	v_bfe_u32 v22, v42, 16, 1
	s_delay_alu instid0(VALU_DEP_1)
	v_add3_u32 v22, v42, v22, 0x7fff
                                        ; implicit-def: $vgpr42
; %bb.1243:                             ;   in Loop: Header=BB4_655 Depth=3
	s_and_not1_saveexec_b32 s14, s14
; %bb.1244:                             ;   in Loop: Header=BB4_655 Depth=3
	v_and_b32_e32 v22, 0xffff, v42
	v_or_b32_e32 v57, 0x10000, v42
	s_delay_alu instid0(VALU_DEP_2) | instskip(NEXT) | instid1(VALU_DEP_2)
	v_cmp_eq_u32_e32 vcc_lo, 0, v22
	v_cndmask_b32_e32 v22, v57, v42, vcc_lo
; %bb.1245:                             ;   in Loop: Header=BB4_655 Depth=3
	s_or_b32 exec_lo, exec_lo, s14
	v_and_b32_e32 v23, 0xffff0000, v23
	s_delay_alu instid0(VALU_DEP_1) | instskip(NEXT) | instid1(VALU_DEP_1)
	v_add_f32_e32 v41, v41, v23
	v_and_b32_e32 v23, 0x7f800000, v41
	s_delay_alu instid0(VALU_DEP_1) | instskip(SKIP_1) | instid1(SALU_CYCLE_1)
	v_cmp_ne_u32_e32 vcc_lo, 0x7f800000, v23
                                        ; implicit-def: $vgpr23
	s_and_saveexec_b32 s14, vcc_lo
	s_xor_b32 s14, exec_lo, s14
; %bb.1246:                             ;   in Loop: Header=BB4_655 Depth=3
	v_bfe_u32 v23, v41, 16, 1
	s_delay_alu instid0(VALU_DEP_1)
	v_add3_u32 v23, v41, v23, 0x7fff
                                        ; implicit-def: $vgpr41
; %bb.1247:                             ;   in Loop: Header=BB4_655 Depth=3
	s_and_not1_saveexec_b32 s14, s14
; %bb.1248:                             ;   in Loop: Header=BB4_655 Depth=3
	v_and_b32_e32 v23, 0xffff, v41
	v_or_b32_e32 v42, 0x10000, v41
	s_delay_alu instid0(VALU_DEP_2) | instskip(NEXT) | instid1(VALU_DEP_2)
	v_cmp_eq_u32_e32 vcc_lo, 0, v23
	v_cndmask_b32_e32 v23, v42, v41, vcc_lo
; %bb.1249:                             ;   in Loop: Header=BB4_655 Depth=3
	s_or_b32 exec_lo, exec_lo, s14
	v_and_b32_e32 v41, 0xffff0000, v47
	s_delay_alu instid0(VALU_DEP_1) | instskip(NEXT) | instid1(VALU_DEP_1)
	v_add_f32_e32 v41, v40, v41
	v_and_b32_e32 v40, 0x7f800000, v41
	s_delay_alu instid0(VALU_DEP_1) | instskip(SKIP_1) | instid1(SALU_CYCLE_1)
	v_cmp_ne_u32_e32 vcc_lo, 0x7f800000, v40
                                        ; implicit-def: $vgpr40
	s_and_saveexec_b32 s14, vcc_lo
	s_xor_b32 s14, exec_lo, s14
; %bb.1250:                             ;   in Loop: Header=BB4_655 Depth=3
	v_bfe_u32 v40, v41, 16, 1
	s_delay_alu instid0(VALU_DEP_1)
	v_add3_u32 v40, v41, v40, 0x7fff
                                        ; implicit-def: $vgpr41
; %bb.1251:                             ;   in Loop: Header=BB4_655 Depth=3
	s_and_not1_saveexec_b32 s14, s14
; %bb.1252:                             ;   in Loop: Header=BB4_655 Depth=3
	v_and_b32_e32 v40, 0xffff, v41
	v_or_b32_e32 v42, 0x10000, v41
	s_delay_alu instid0(VALU_DEP_2) | instskip(NEXT) | instid1(VALU_DEP_2)
	v_cmp_eq_u32_e32 vcc_lo, 0, v40
	v_cndmask_b32_e32 v40, v42, v41, vcc_lo
; %bb.1253:                             ;   in Loop: Header=BB4_655 Depth=3
	s_or_b32 exec_lo, exec_lo, s14
	v_and_b32_e32 v41, 0xffff0000, v43
	s_delay_alu instid0(VALU_DEP_1) | instskip(NEXT) | instid1(VALU_DEP_1)
	v_add_f32_e32 v41, v11, v41
	v_and_b32_e32 v11, 0x7f800000, v41
	s_delay_alu instid0(VALU_DEP_1) | instskip(SKIP_1) | instid1(SALU_CYCLE_1)
	v_cmp_ne_u32_e32 vcc_lo, 0x7f800000, v11
                                        ; implicit-def: $vgpr11
	s_and_saveexec_b32 s14, vcc_lo
	s_xor_b32 s14, exec_lo, s14
; %bb.1254:                             ;   in Loop: Header=BB4_655 Depth=3
	v_bfe_u32 v11, v41, 16, 1
	s_delay_alu instid0(VALU_DEP_1)
	v_add3_u32 v11, v41, v11, 0x7fff
                                        ; implicit-def: $vgpr41
; %bb.1255:                             ;   in Loop: Header=BB4_655 Depth=3
	s_and_not1_saveexec_b32 s14, s14
; %bb.1256:                             ;   in Loop: Header=BB4_655 Depth=3
	v_and_b32_e32 v11, 0xffff, v41
	v_or_b32_e32 v42, 0x10000, v41
	s_delay_alu instid0(VALU_DEP_2) | instskip(NEXT) | instid1(VALU_DEP_2)
	v_cmp_eq_u32_e32 vcc_lo, 0, v11
	v_cndmask_b32_e32 v11, v42, v41, vcc_lo
; %bb.1257:                             ;   in Loop: Header=BB4_655 Depth=3
	s_or_b32 exec_lo, exec_lo, s14
	v_and_b32_e32 v22, 0xffff0000, v22
	s_delay_alu instid0(VALU_DEP_1) | instskip(NEXT) | instid1(VALU_DEP_1)
	v_add_f32_e32 v10, v10, v22
	v_and_b32_e32 v22, 0x7f800000, v10
	s_delay_alu instid0(VALU_DEP_1) | instskip(SKIP_1) | instid1(SALU_CYCLE_1)
	v_cmp_ne_u32_e32 vcc_lo, 0x7f800000, v22
                                        ; implicit-def: $vgpr22
	s_and_saveexec_b32 s14, vcc_lo
	s_xor_b32 s14, exec_lo, s14
; %bb.1258:                             ;   in Loop: Header=BB4_655 Depth=3
	v_bfe_u32 v22, v10, 16, 1
	s_delay_alu instid0(VALU_DEP_1)
	v_add3_u32 v22, v10, v22, 0x7fff
                                        ; implicit-def: $vgpr10
; %bb.1259:                             ;   in Loop: Header=BB4_655 Depth=3
	s_and_not1_saveexec_b32 s14, s14
; %bb.1260:                             ;   in Loop: Header=BB4_655 Depth=3
	v_and_b32_e32 v22, 0xffff, v10
	v_or_b32_e32 v41, 0x10000, v10
	s_delay_alu instid0(VALU_DEP_2) | instskip(NEXT) | instid1(VALU_DEP_2)
	v_cmp_eq_u32_e32 vcc_lo, 0, v22
	v_cndmask_b32_e32 v22, v41, v10, vcc_lo
; %bb.1261:                             ;   in Loop: Header=BB4_655 Depth=3
	s_or_b32 exec_lo, exec_lo, s14
	s_clause 0x3
	flat_store_d16_hi_b16 v[8:9], v23 th:TH_STORE_NT
	flat_store_d16_hi_b16 v[8:9], v40 offset:64 th:TH_STORE_NT
	flat_store_d16_hi_b16 v[8:9], v11 offset:128 th:TH_STORE_NT
	;; [unrolled: 1-line block ×3, first 2 shown]
.LBB4_1262:                             ;   in Loop: Header=BB4_655 Depth=3
	s_wait_xcnt 0x0
	s_or_b32 exec_lo, exec_lo, s13
	v_lshlrev_b32_e32 v8, 8, v15
	s_delay_alu instid0(VALU_DEP_1)
	v_cmp_ne_u32_e32 vcc_lo, v13, v8
	s_and_b32 exec_lo, exec_lo, vcc_lo
	s_cbranch_execz .LBB4_1299
; %bb.1263:                             ;   in Loop: Header=BB4_655 Depth=3
	v_lshlrev_b32_e32 v9, 5, v46
	s_delay_alu instid0(VALU_DEP_1) | instskip(NEXT) | instid1(VALU_DEP_1)
	v_sub_nc_u32_e32 v9, v45, v9
	v_ashrrev_i32_e32 v10, 31, v9
	s_delay_alu instid0(VALU_DEP_1) | instskip(NEXT) | instid1(VALU_DEP_1)
	v_lshrrev_b32_e32 v10, 27, v10
	v_add_nc_u32_e32 v10, v9, v10
	s_delay_alu instid0(VALU_DEP_1) | instskip(NEXT) | instid1(VALU_DEP_1)
	v_and_b32_e32 v11, 0x7fffffe0, v10
	v_sub_nc_u32_e32 v9, v9, v11
	s_delay_alu instid0(VALU_DEP_1) | instskip(NEXT) | instid1(VALU_DEP_1)
	v_dual_lshlrev_b32 v9, 1, v9 :: v_dual_lshlrev_b32 v10, 1, v10
	v_and_b32_e32 v10, 0xffffffc0, v10
	s_delay_alu instid0(VALU_DEP_1) | instskip(NEXT) | instid1(VALU_DEP_1)
	v_add3_u32 v8, v10, v9, v8
	v_sub_nc_u32_e32 v13, v13, v8
	s_delay_alu instid0(VALU_DEP_1)
	v_cmp_lt_i32_e32 vcc_lo, 1, v13
	s_and_b32 exec_lo, exec_lo, vcc_lo
	s_cbranch_execz .LBB4_1299
; %bb.1264:                             ;   in Loop: Header=BB4_655 Depth=3
	s_trap 2
	ds_load_b64 v[10:11], v0
	v_add_nc_u32_e32 v22, v8, v44
	s_mov_b32 s93, 0
	s_mov_b32 s91, 0
                                        ; implicit-def: $sgpr92
	s_delay_alu instid0(VALU_DEP_1) | instskip(NEXT) | instid1(VALU_DEP_1)
	v_ashrrev_i32_e32 v23, 31, v22
	v_add_nc_u64_e32 v[8:9], v[20:21], v[22:23]
	v_add_nc_u64_e32 v[18:19], v[22:23], v[18:19]
	s_wait_dscnt 0x0
	v_add_nc_u64_e32 v[10:11], v[10:11], v[22:23]
	s_branch .LBB4_1266
.LBB4_1265:                             ;   in Loop: Header=BB4_1266 Depth=4
	s_or_b32 exec_lo, exec_lo, s13
	v_dual_cndmask_b32 v40, 0, v79, s93 :: v_dual_cndmask_b32 v22, 64, v102, s93
	s_delay_alu instid0(VALU_DEP_2) | instskip(SKIP_1) | instid1(VALU_DEP_3)
	v_lshrrev_b32_e32 v15, 16, v15
	v_add_nc_u64_e32 v[20:21], v[10:11], v[86:87]
	v_dual_cndmask_b32 v23, 0, v103, s93 :: v_dual_sub_nc_u32 v13, v13, v40
	v_add_nc_u64_e32 v[40:41], v[18:19], v[86:87]
	flat_store_b16 v[8:9], v15 th:TH_STORE_NT
	scratch_store_b16 off, v15, s33 offset:160
	v_cndmask_b32_e64 v11, v11, v21, s93
	v_cmp_gt_i32_e32 vcc_lo, 2, v13
	s_wait_xcnt 0x1
	v_add_nc_u64_e32 v[8:9], v[8:9], v[22:23]
	v_dual_cndmask_b32 v10, v10, v20, s93 :: v_dual_cndmask_b32 v19, v19, v41, s93
	v_cndmask_b32_e64 v18, v18, v40, s93
	s_or_b32 s91, vcc_lo, s91
	s_and_not1_b32 s13, s92, exec_lo
	s_and_b32 s14, s93, exec_lo
	s_delay_alu instid0(SALU_CYCLE_1)
	s_or_b32 s92, s13, s14
	s_wait_xcnt 0x0
	s_and_not1_b32 exec_lo, exec_lo, s91
	s_cbranch_execz .LBB4_1289
.LBB4_1266:                             ;   Parent Loop BB4_47 Depth=1
                                        ;     Parent Loop BB4_652 Depth=2
                                        ;       Parent Loop BB4_655 Depth=3
                                        ; =>      This Loop Header: Depth=4
                                        ;           Child Loop BB4_1267 Depth 5
                                        ;           Child Loop BB4_1280 Depth 5
	s_add_co_i32 s13, s33, 0xa0
	s_mov_b64 s[40:41], 0
	s_mov_b32 s94, s13
	s_mov_b32 s95, -1
.LBB4_1267:                             ;   Parent Loop BB4_47 Depth=1
                                        ;     Parent Loop BB4_652 Depth=2
                                        ;       Parent Loop BB4_655 Depth=3
                                        ;         Parent Loop BB4_1266 Depth=4
                                        ; =>        This Inner Loop Header: Depth=5
	s_cmp_eq_u32 s40, 1
	s_cselect_b32 vcc_lo, -1, 0
	s_cmp_eq_u32 s40, 0
	v_dual_cndmask_b32 v21, v19, v11 :: v_dual_cndmask_b32 v20, v18, v10
	s_cselect_b32 s13, -1, 0
	s_and_b32 s14, exec_lo, s95
	s_mov_b64 s[40:41], 1
	s_mov_b32 s95, 0
	flat_load_u16 v15, v[20:21] th:TH_LOAD_NT
	s_wait_xcnt 0x0
	v_add_nc_u64_e32 v[20:21], 64, v[20:21]
	s_delay_alu instid0(VALU_DEP_1)
	v_dual_cndmask_b32 v11, v11, v21 :: v_dual_cndmask_b32 v10, v10, v20
	v_dual_cndmask_b32 v19, v19, v21, s13 :: v_dual_cndmask_b32 v18, v18, v20, s13
	s_add_co_i32 s13, s33, 0xc0
	s_mov_b32 vcc_lo, s14
	s_wait_loadcnt_dscnt 0x0
	scratch_store_b16 off, v15, s94
	s_wait_xcnt 0x0
	s_mov_b32 s94, s13
	s_cbranch_vccnz .LBB4_1267
; %bb.1268:                             ;   in Loop: Header=BB4_1266 Depth=4
	s_and_saveexec_b32 s13, s93
	s_cbranch_execz .LBB4_1278
; %bb.1269:                             ;   in Loop: Header=BB4_1266 Depth=4
	s_trap 2
	scratch_load_u16 v15, off, s33 offset:148
	ds_load_b32 v20, v0
	s_wait_loadcnt_dscnt 0x0
	v_dual_lshlrev_b32 v20, 16, v20 :: v_dual_lshlrev_b32 v15, 16, v15
	s_delay_alu instid0(VALU_DEP_1) | instskip(NEXT) | instid1(VALU_DEP_1)
	v_mul_f32_e32 v15, v20, v15
	v_and_b32_e32 v20, 0x7f800000, v15
	s_delay_alu instid0(VALU_DEP_1) | instskip(SKIP_2) | instid1(SALU_CYCLE_1)
	v_cmp_ne_u32_e32 vcc_lo, 0x7f800000, v20
                                        ; implicit-def: $vgpr20
	s_wait_xcnt 0x0
	s_and_saveexec_b32 s14, vcc_lo
	s_xor_b32 s14, exec_lo, s14
; %bb.1270:                             ;   in Loop: Header=BB4_1266 Depth=4
	v_bfe_u32 v20, v15, 16, 1
	s_delay_alu instid0(VALU_DEP_1)
	v_add3_u32 v20, v15, v20, 0x7fff
                                        ; implicit-def: $vgpr15
; %bb.1271:                             ;   in Loop: Header=BB4_1266 Depth=4
	s_and_not1_saveexec_b32 s14, s14
; %bb.1272:                             ;   in Loop: Header=BB4_1266 Depth=4
	v_and_b32_e32 v20, 0xffff, v15
	v_or_b32_e32 v21, 0x10000, v15
	s_delay_alu instid0(VALU_DEP_2) | instskip(NEXT) | instid1(VALU_DEP_2)
	v_cmp_eq_u32_e32 vcc_lo, 0, v20
	v_cndmask_b32_e32 v20, v21, v15, vcc_lo
; %bb.1273:                             ;   in Loop: Header=BB4_1266 Depth=4
	s_or_b32 exec_lo, exec_lo, s14
	scratch_load_u16 v15, off, s33 offset:150
	v_and_b32_e32 v20, 0xffff0000, v20
	s_wait_loadcnt 0x0
	v_lshlrev_b32_e32 v15, 16, v15
	s_delay_alu instid0(VALU_DEP_1) | instskip(NEXT) | instid1(VALU_DEP_1)
	v_add_f32_e32 v15, v20, v15
	v_and_b32_e32 v20, 0x7f800000, v15
	s_delay_alu instid0(VALU_DEP_1) | instskip(SKIP_2) | instid1(SALU_CYCLE_1)
	v_cmp_ne_u32_e32 vcc_lo, 0x7f800000, v20
                                        ; implicit-def: $vgpr20
	s_wait_xcnt 0x0
	s_and_saveexec_b32 s14, vcc_lo
	s_xor_b32 s14, exec_lo, s14
; %bb.1274:                             ;   in Loop: Header=BB4_1266 Depth=4
	v_bfe_u32 v20, v15, 16, 1
	s_delay_alu instid0(VALU_DEP_1)
	v_add3_u32 v20, v15, v20, 0x7fff
                                        ; implicit-def: $vgpr15
; %bb.1275:                             ;   in Loop: Header=BB4_1266 Depth=4
	s_and_not1_saveexec_b32 s14, s14
; %bb.1276:                             ;   in Loop: Header=BB4_1266 Depth=4
	v_and_b32_e32 v20, 0xffff, v15
	v_or_b32_e32 v21, 0x10000, v15
	s_delay_alu instid0(VALU_DEP_2) | instskip(NEXT) | instid1(VALU_DEP_2)
	v_cmp_eq_u32_e32 vcc_lo, 0, v20
	v_cndmask_b32_e32 v20, v21, v15, vcc_lo
; %bb.1277:                             ;   in Loop: Header=BB4_1266 Depth=4
	s_or_b32 exec_lo, exec_lo, s14
	s_delay_alu instid0(VALU_DEP_1)
	v_lshrrev_b32_e32 v15, 16, v20
	flat_store_b16 v[8:9], v15 th:TH_STORE_NT
	s_wait_xcnt 0x0
	v_add_nc_u64_e32 v[8:9], v[8:9], v[102:103]
	scratch_store_b16 off, v15, s33 offset:148
.LBB4_1278:                             ;   in Loop: Header=BB4_1266 Depth=4
	s_wait_xcnt 0x0
	s_or_b32 exec_lo, exec_lo, s13
	v_sub_nc_u32_e32 v13, v13, v79
	v_add_nc_u64_e32 v[18:19], v[18:19], v[86:87]
	v_add_nc_u64_e32 v[10:11], v[10:11], v[86:87]
	s_delay_alu instid0(VALU_DEP_3)
	v_cmp_lt_i32_e64 s93, 1, v13
	s_and_saveexec_b32 s94, s93
	s_cbranch_execz .LBB4_1281
; %bb.1279:                             ;   in Loop: Header=BB4_1266 Depth=4
	s_add_co_i32 s13, s33, 0x94
	s_mov_b64 s[40:41], 0
	s_mov_b32 s95, s13
	s_mov_b32 vcc_hi, -1
.LBB4_1280:                             ;   Parent Loop BB4_47 Depth=1
                                        ;     Parent Loop BB4_652 Depth=2
                                        ;       Parent Loop BB4_655 Depth=3
                                        ;         Parent Loop BB4_1266 Depth=4
                                        ; =>        This Inner Loop Header: Depth=5
	s_cmp_eq_u32 s40, 1
	s_cselect_b32 vcc_lo, -1, 0
	s_cmp_eq_u32 s40, 0
	v_dual_cndmask_b32 v21, v19, v11 :: v_dual_cndmask_b32 v20, v18, v10
	s_cselect_b32 s13, -1, 0
	s_and_b32 s14, exec_lo, vcc_hi
	s_mov_b64 s[40:41], 1
	s_mov_b32 vcc_hi, 0
	flat_load_u16 v15, v[20:21] th:TH_LOAD_NT
	s_wait_xcnt 0x0
	v_add_nc_u64_e32 v[20:21], 64, v[20:21]
	s_delay_alu instid0(VALU_DEP_1)
	v_dual_cndmask_b32 v19, v19, v21, s13 :: v_dual_cndmask_b32 v18, v18, v20, s13
	v_dual_cndmask_b32 v11, v11, v21 :: v_dual_cndmask_b32 v10, v10, v20
	s_add_co_i32 s13, s33, 0x96
	s_mov_b32 vcc_lo, s14
	s_wait_loadcnt_dscnt 0x0
	scratch_store_b16 off, v15, s95
	s_wait_xcnt 0x0
	s_mov_b32 s95, s13
	s_cbranch_vccnz .LBB4_1280
.LBB4_1281:                             ;   in Loop: Header=BB4_1266 Depth=4
	s_or_b32 exec_lo, exec_lo, s94
	s_trap 2
	scratch_load_u16 v15, off, s33 offset:160
	ds_load_b32 v20, v0
	s_wait_loadcnt_dscnt 0x0
	v_dual_lshlrev_b32 v20, 16, v20 :: v_dual_lshlrev_b32 v15, 16, v15
	s_delay_alu instid0(VALU_DEP_1) | instskip(NEXT) | instid1(VALU_DEP_1)
	v_mul_f32_e32 v15, v20, v15
	v_and_b32_e32 v20, 0x7f800000, v15
	s_delay_alu instid0(VALU_DEP_1) | instskip(SKIP_2) | instid1(SALU_CYCLE_1)
	v_cmp_ne_u32_e32 vcc_lo, 0x7f800000, v20
                                        ; implicit-def: $vgpr20
	s_wait_xcnt 0x0
	s_and_saveexec_b32 s13, vcc_lo
	s_xor_b32 s13, exec_lo, s13
; %bb.1282:                             ;   in Loop: Header=BB4_1266 Depth=4
	v_bfe_u32 v20, v15, 16, 1
	s_delay_alu instid0(VALU_DEP_1)
	v_add3_u32 v20, v15, v20, 0x7fff
                                        ; implicit-def: $vgpr15
; %bb.1283:                             ;   in Loop: Header=BB4_1266 Depth=4
	s_and_not1_saveexec_b32 s13, s13
; %bb.1284:                             ;   in Loop: Header=BB4_1266 Depth=4
	v_and_b32_e32 v20, 0xffff, v15
	v_or_b32_e32 v21, 0x10000, v15
	s_delay_alu instid0(VALU_DEP_2) | instskip(NEXT) | instid1(VALU_DEP_2)
	v_cmp_eq_u32_e32 vcc_lo, 0, v20
	v_cndmask_b32_e32 v20, v21, v15, vcc_lo
; %bb.1285:                             ;   in Loop: Header=BB4_1266 Depth=4
	s_or_b32 exec_lo, exec_lo, s13
	scratch_load_u16 v15, off, s33 offset:192
	v_and_b32_e32 v20, 0xffff0000, v20
	s_wait_loadcnt 0x0
	v_lshlrev_b32_e32 v15, 16, v15
	s_delay_alu instid0(VALU_DEP_1) | instskip(NEXT) | instid1(VALU_DEP_1)
	v_add_f32_e32 v20, v20, v15
	v_and_b32_e32 v15, 0x7f800000, v20
	s_delay_alu instid0(VALU_DEP_1) | instskip(SKIP_2) | instid1(SALU_CYCLE_1)
	v_cmp_ne_u32_e32 vcc_lo, 0x7f800000, v15
                                        ; implicit-def: $vgpr15
	s_wait_xcnt 0x0
	s_and_saveexec_b32 s13, vcc_lo
	s_xor_b32 s13, exec_lo, s13
; %bb.1286:                             ;   in Loop: Header=BB4_1266 Depth=4
	v_bfe_u32 v15, v20, 16, 1
	s_delay_alu instid0(VALU_DEP_1)
	v_add3_u32 v15, v20, v15, 0x7fff
                                        ; implicit-def: $vgpr20
; %bb.1287:                             ;   in Loop: Header=BB4_1266 Depth=4
	s_and_not1_saveexec_b32 s13, s13
	s_cbranch_execz .LBB4_1265
; %bb.1288:                             ;   in Loop: Header=BB4_1266 Depth=4
	v_and_b32_e32 v15, 0xffff, v20
	v_or_b32_e32 v21, 0x10000, v20
	s_delay_alu instid0(VALU_DEP_2) | instskip(NEXT) | instid1(VALU_DEP_2)
	v_cmp_eq_u32_e32 vcc_lo, 0, v15
	v_cndmask_b32_e32 v15, v21, v20, vcc_lo
	s_branch .LBB4_1265
.LBB4_1289:                             ;   in Loop: Header=BB4_655 Depth=3
	s_or_b32 exec_lo, exec_lo, s91
	s_delay_alu instid0(SALU_CYCLE_1)
	s_and_b32 exec_lo, exec_lo, s92
	s_cbranch_execz .LBB4_1299
; %bb.1290:                             ;   in Loop: Header=BB4_655 Depth=3
	s_trap 2
	scratch_load_u16 v10, off, s33 offset:148
	ds_load_b32 v11, v0
	s_wait_loadcnt_dscnt 0x0
	v_dual_lshlrev_b32 v11, 16, v11 :: v_dual_lshlrev_b32 v10, 16, v10
	s_delay_alu instid0(VALU_DEP_1) | instskip(NEXT) | instid1(VALU_DEP_1)
	v_mul_f32_e32 v10, v11, v10
	v_and_b32_e32 v11, 0x7f800000, v10
	s_delay_alu instid0(VALU_DEP_1) | instskip(SKIP_2) | instid1(SALU_CYCLE_1)
	v_cmp_ne_u32_e32 vcc_lo, 0x7f800000, v11
                                        ; implicit-def: $vgpr11
	s_wait_xcnt 0x0
	s_and_saveexec_b32 s13, vcc_lo
	s_xor_b32 s13, exec_lo, s13
; %bb.1291:                             ;   in Loop: Header=BB4_655 Depth=3
	v_bfe_u32 v11, v10, 16, 1
	s_delay_alu instid0(VALU_DEP_1)
	v_add3_u32 v11, v10, v11, 0x7fff
                                        ; implicit-def: $vgpr10
; %bb.1292:                             ;   in Loop: Header=BB4_655 Depth=3
	s_and_not1_saveexec_b32 s13, s13
; %bb.1293:                             ;   in Loop: Header=BB4_655 Depth=3
	v_and_b32_e32 v11, 0xffff, v10
	v_or_b32_e32 v13, 0x10000, v10
	s_delay_alu instid0(VALU_DEP_2) | instskip(NEXT) | instid1(VALU_DEP_2)
	v_cmp_eq_u32_e32 vcc_lo, 0, v11
	v_cndmask_b32_e32 v11, v13, v10, vcc_lo
; %bb.1294:                             ;   in Loop: Header=BB4_655 Depth=3
	s_or_b32 exec_lo, exec_lo, s13
	scratch_load_u16 v10, off, s33 offset:150
	v_and_b32_e32 v11, 0xffff0000, v11
	s_wait_loadcnt 0x0
	v_lshlrev_b32_e32 v10, 16, v10
	s_delay_alu instid0(VALU_DEP_1) | instskip(NEXT) | instid1(VALU_DEP_1)
	v_add_f32_e32 v10, v11, v10
	v_and_b32_e32 v11, 0x7f800000, v10
	s_delay_alu instid0(VALU_DEP_1) | instskip(SKIP_2) | instid1(SALU_CYCLE_1)
	v_cmp_ne_u32_e32 vcc_lo, 0x7f800000, v11
                                        ; implicit-def: $vgpr11
	s_wait_xcnt 0x0
	s_and_saveexec_b32 s13, vcc_lo
	s_xor_b32 s13, exec_lo, s13
; %bb.1295:                             ;   in Loop: Header=BB4_655 Depth=3
	v_bfe_u32 v11, v10, 16, 1
	s_delay_alu instid0(VALU_DEP_1)
	v_add3_u32 v11, v10, v11, 0x7fff
                                        ; implicit-def: $vgpr10
; %bb.1296:                             ;   in Loop: Header=BB4_655 Depth=3
	s_and_not1_saveexec_b32 s13, s13
; %bb.1297:                             ;   in Loop: Header=BB4_655 Depth=3
	v_and_b32_e32 v11, 0xffff, v10
	v_or_b32_e32 v13, 0x10000, v10
	s_delay_alu instid0(VALU_DEP_2) | instskip(NEXT) | instid1(VALU_DEP_2)
	v_cmp_eq_u32_e32 vcc_lo, 0, v11
	v_cndmask_b32_e32 v11, v13, v10, vcc_lo
; %bb.1298:                             ;   in Loop: Header=BB4_655 Depth=3
	s_or_b32 exec_lo, exec_lo, s13
	flat_store_d16_hi_b16 v[8:9], v11 th:TH_STORE_NT
.LBB4_1299:                             ;   in Loop: Header=BB4_655 Depth=3
	s_wait_xcnt 0x0
	s_or_b32 exec_lo, exec_lo, s15
	v_cmp_lt_i32_e64 s13, 0, v2
	s_and_saveexec_b32 s14, s2
	s_cbranch_execz .LBB4_730
.LBB4_1300:                             ;   in Loop: Header=BB4_655 Depth=3
	s_and_saveexec_b32 s15, s3
	s_delay_alu instid0(SALU_CYCLE_1)
	s_xor_b32 s15, exec_lo, s15
	s_cbranch_execz .LBB4_1315
; %bb.1301:                             ;   in Loop: Header=BB4_655 Depth=3
	s_and_saveexec_b32 s40, s6
	s_cbranch_execz .LBB4_1314
; %bb.1302:                             ;   in Loop: Header=BB4_655 Depth=3
	s_mov_b32 s91, exec_lo
	s_mov_b32 s41, exec_lo
	v_mbcnt_lo_u32_b32 v2, s91, 0
	global_wb scope:SCOPE_DEV
	s_wait_storecnt 0x0
	s_wait_loadcnt_dscnt 0x0
	global_inv scope:SCOPE_DEV
	v_cmpx_eq_u32_e32 0, v2
	s_cbranch_execz .LBB4_1304
; %bb.1303:                             ;   in Loop: Header=BB4_655 Depth=3
	s_bcnt1_i32_b32 s91, s91
	s_delay_alu instid0(SALU_CYCLE_1)
	v_mov_b32_e32 v2, s91
	s_wait_loadcnt 0x0
	ds_add_u64 v0, v[2:3]
	s_trap 2
.LBB4_1304:                             ;   in Loop: Header=BB4_655 Depth=3
	s_or_b32 exec_lo, exec_lo, s41
	s_trap 2
	ds_load_b64 v[8:9], v0
	s_wait_dscnt 0x0
	v_add_nc_u64_e32 v[48:49], v[48:49], v[52:53]
	s_mov_b32 s41, exec_lo
	s_delay_alu instid0(VALU_DEP_1)
	v_cmpx_lt_u64_e64 v[8:9], v[48:49]
	s_cbranch_execz .LBB4_1313
; %bb.1305:                             ;   in Loop: Header=BB4_655 Depth=3
	s_mov_b32 s91, 0
	s_mov_b32 s94, 0
                                        ; implicit-def: $sgpr92
                                        ; implicit-def: $sgpr93
	s_branch .LBB4_1307
.LBB4_1306:                             ;   in Loop: Header=BB4_1307 Depth=4
	s_or_b32 exec_lo, exec_lo, vcc_hi
	s_delay_alu instid0(SALU_CYCLE_1) | instskip(NEXT) | instid1(SALU_CYCLE_1)
	s_and_b32 s95, exec_lo, vcc_lo
	s_or_b32 s91, s95, s91
	s_and_not1_b32 s92, s92, exec_lo
	s_and_b32 s95, s93, exec_lo
	s_delay_alu instid0(SALU_CYCLE_1)
	s_or_b32 s92, s92, s95
	s_and_not1_b32 exec_lo, exec_lo, s91
	s_cbranch_execz .LBB4_1311
.LBB4_1307:                             ;   Parent Loop BB4_47 Depth=1
                                        ;     Parent Loop BB4_652 Depth=2
                                        ;       Parent Loop BB4_655 Depth=3
                                        ; =>      This Inner Loop Header: Depth=4
	s_add_co_i32 s94, s94, 1
	s_delay_alu instid0(SALU_CYCLE_1) | instskip(SKIP_1) | instid1(SALU_CYCLE_1)
	s_cmp_lg_u32 s94, 0x2710
	s_cselect_b32 s95, -1, 0
	s_and_b32 vcc_lo, exec_lo, s95
	s_cbranch_vccz .LBB4_1309
; %bb.1308:                             ;   in Loop: Header=BB4_1307 Depth=4
	s_mov_b32 vcc_lo, -1
	s_or_b32 s93, s93, exec_lo
	s_and_saveexec_b32 vcc_hi, s95
	s_cbranch_execz .LBB4_1306
	s_branch .LBB4_1310
.LBB4_1309:                             ;   in Loop: Header=BB4_1307 Depth=4
	s_trap 2
	ds_load_b64 v[8:9], v0
	s_and_not1_b32 s95, s95, exec_lo
	s_mov_b32 s94, 0
	s_wait_loadcnt_dscnt 0x0
	flat_load_b32 v2, v[8:9] scope:SCOPE_SYS
	s_wait_loadcnt_dscnt 0x0
	global_inv scope:SCOPE_SYS
	v_cmp_eq_u32_e32 vcc_lo, 0, v2
	s_and_b32 vcc_lo, vcc_lo, exec_lo
	s_delay_alu instid0(SALU_CYCLE_1)
	s_or_b32 s95, s95, vcc_lo
	s_mov_b32 vcc_lo, -1
	s_or_b32 s93, s93, exec_lo
	s_and_saveexec_b32 vcc_hi, s95
	s_cbranch_execz .LBB4_1306
.LBB4_1310:                             ;   in Loop: Header=BB4_1307 Depth=4
	s_sleep 1
	s_trap 2
	ds_load_b64 v[8:9], v0
	s_wait_dscnt 0x0
	s_and_not1_b32 s93, s93, exec_lo
	v_cmp_ge_u64_e32 vcc_lo, v[8:9], v[48:49]
	s_or_not1_b32 vcc_lo, vcc_lo, exec_lo
	s_branch .LBB4_1306
.LBB4_1311:                             ;   in Loop: Header=BB4_655 Depth=3
	s_or_b32 exec_lo, exec_lo, s91
	s_and_saveexec_b32 s91, s92
	s_delay_alu instid0(SALU_CYCLE_1)
	s_xor_b32 s91, exec_lo, s91
	s_cbranch_execz .LBB4_1313
; %bb.1312:                             ;   in Loop: Header=BB4_655 Depth=3
	ds_store_b32 v0, v75
	s_trap 2
.LBB4_1313:                             ;   in Loop: Header=BB4_655 Depth=3
	s_or_b32 exec_lo, exec_lo, s41
	;;#ASMSTART
	s_wakeup
	;;#ASMEND
.LBB4_1314:                             ;   in Loop: Header=BB4_655 Depth=3
	s_or_b32 exec_lo, exec_lo, s40
.LBB4_1315:                             ;   in Loop: Header=BB4_655 Depth=3
	s_and_not1_saveexec_b32 s15, s15
	s_cbranch_execz .LBB4_1317
; %bb.1316:                             ;   in Loop: Header=BB4_655 Depth=3
	global_wb scope:SCOPE_DEV
	s_wait_storecnt 0x0
	s_wait_loadcnt_dscnt 0x0
	global_inv scope:SCOPE_DEV
	s_barrier_signal -1
	s_barrier_wait -1
.LBB4_1317:                             ;   in Loop: Header=BB4_655 Depth=3
	s_or_b32 exec_lo, exec_lo, s15
	s_delay_alu instid0(SALU_CYCLE_1) | instskip(SKIP_1) | instid1(SALU_CYCLE_1)
	s_or_b32 exec_lo, exec_lo, s14
                                        ; implicit-def: $vgpr2
	s_and_saveexec_b32 s14, s12
	s_xor_b32 s14, exec_lo, s14
	s_cbranch_execnz .LBB4_731
.LBB4_1318:                             ;   in Loop: Header=BB4_655 Depth=3
	s_and_not1_saveexec_b32 s13, s14
	s_cbranch_execz .LBB4_1337
.LBB4_1319:                             ;   in Loop: Header=BB4_655 Depth=3
	s_and_saveexec_b32 s14, s3
	s_delay_alu instid0(SALU_CYCLE_1)
	s_xor_b32 s14, exec_lo, s14
	s_cbranch_execz .LBB4_1334
; %bb.1320:                             ;   in Loop: Header=BB4_655 Depth=3
	s_and_saveexec_b32 s15, s6
	s_cbranch_execz .LBB4_1333
; %bb.1321:                             ;   in Loop: Header=BB4_655 Depth=3
	s_mov_b32 s41, exec_lo
	s_mov_b32 s40, exec_lo
	v_mbcnt_lo_u32_b32 v2, s41, 0
	;;#ASMSTART
	s_waitcnt lgkmcnt(0) vmcnt(0)
	;;#ASMEND
	s_delay_alu instid0(VALU_DEP_1)
	v_cmpx_eq_u32_e32 0, v2
	s_cbranch_execz .LBB4_1323
; %bb.1322:                             ;   in Loop: Header=BB4_655 Depth=3
	s_bcnt1_i32_b32 s41, s41
	s_delay_alu instid0(SALU_CYCLE_1)
	v_mov_b32_e32 v2, s41
	s_wait_storecnt 0x0
	s_wait_loadcnt_dscnt 0x0
	ds_add_u64 v0, v[2:3]
	s_trap 2
.LBB4_1323:                             ;   in Loop: Header=BB4_655 Depth=3
	s_or_b32 exec_lo, exec_lo, s40
	s_trap 2
	ds_load_b64 v[8:9], v0
	s_wait_dscnt 0x0
	v_add_nc_u64_e32 v[48:49], v[48:49], v[52:53]
	s_mov_b32 s40, exec_lo
	s_delay_alu instid0(VALU_DEP_1)
	v_cmpx_lt_u64_e64 v[8:9], v[48:49]
	s_cbranch_execz .LBB4_1332
; %bb.1324:                             ;   in Loop: Header=BB4_655 Depth=3
	s_mov_b32 s41, 0
	s_mov_b32 s93, 0
                                        ; implicit-def: $sgpr91
                                        ; implicit-def: $sgpr92
	s_branch .LBB4_1326
.LBB4_1325:                             ;   in Loop: Header=BB4_1326 Depth=4
	s_or_b32 exec_lo, exec_lo, s95
	s_delay_alu instid0(SALU_CYCLE_1) | instskip(NEXT) | instid1(SALU_CYCLE_1)
	s_and_b32 s94, exec_lo, vcc_lo
	s_or_b32 s41, s94, s41
	s_and_not1_b32 s91, s91, exec_lo
	s_and_b32 s94, s92, exec_lo
	s_delay_alu instid0(SALU_CYCLE_1)
	s_or_b32 s91, s91, s94
	s_and_not1_b32 exec_lo, exec_lo, s41
	s_cbranch_execz .LBB4_1330
.LBB4_1326:                             ;   Parent Loop BB4_47 Depth=1
                                        ;     Parent Loop BB4_652 Depth=2
                                        ;       Parent Loop BB4_655 Depth=3
                                        ; =>      This Inner Loop Header: Depth=4
	s_add_co_i32 s93, s93, 1
	s_delay_alu instid0(SALU_CYCLE_1) | instskip(SKIP_1) | instid1(SALU_CYCLE_1)
	s_cmp_lg_u32 s93, 0x2710
	s_cselect_b32 s94, -1, 0
	s_and_b32 vcc_lo, exec_lo, s94
	s_cbranch_vccz .LBB4_1328
; %bb.1327:                             ;   in Loop: Header=BB4_1326 Depth=4
	s_mov_b32 vcc_lo, -1
	s_or_b32 s92, s92, exec_lo
	s_and_saveexec_b32 s95, s94
	s_cbranch_execz .LBB4_1325
	s_branch .LBB4_1329
.LBB4_1328:                             ;   in Loop: Header=BB4_1326 Depth=4
	s_trap 2
	ds_load_b64 v[8:9], v0
	s_and_not1_b32 s94, s94, exec_lo
	s_mov_b32 s93, 0
	s_wait_storecnt 0x0
	s_wait_loadcnt_dscnt 0x0
	flat_load_b32 v2, v[8:9] scope:SCOPE_SYS
	s_wait_loadcnt_dscnt 0x0
	global_inv scope:SCOPE_SYS
	v_cmp_eq_u32_e32 vcc_lo, 0, v2
	s_and_b32 s95, vcc_lo, exec_lo
	s_delay_alu instid0(SALU_CYCLE_1)
	s_or_b32 s94, s94, s95
	s_mov_b32 vcc_lo, -1
	s_or_b32 s92, s92, exec_lo
	s_and_saveexec_b32 s95, s94
	s_cbranch_execz .LBB4_1325
.LBB4_1329:                             ;   in Loop: Header=BB4_1326 Depth=4
	s_sleep 1
	s_trap 2
	ds_load_b64 v[8:9], v0
	s_wait_dscnt 0x0
	s_and_not1_b32 s92, s92, exec_lo
	v_cmp_ge_u64_e32 vcc_lo, v[8:9], v[48:49]
	s_or_not1_b32 vcc_lo, vcc_lo, exec_lo
	s_branch .LBB4_1325
.LBB4_1330:                             ;   in Loop: Header=BB4_655 Depth=3
	s_or_b32 exec_lo, exec_lo, s41
	s_and_saveexec_b32 s41, s91
	s_delay_alu instid0(SALU_CYCLE_1)
	s_xor_b32 s41, exec_lo, s41
	s_cbranch_execz .LBB4_1332
; %bb.1331:                             ;   in Loop: Header=BB4_655 Depth=3
	ds_store_b32 v0, v75
	s_trap 2
.LBB4_1332:                             ;   in Loop: Header=BB4_655 Depth=3
	s_or_b32 exec_lo, exec_lo, s40
	;;#ASMSTART
	s_wakeup
	;;#ASMEND
.LBB4_1333:                             ;   in Loop: Header=BB4_655 Depth=3
	s_or_b32 exec_lo, exec_lo, s15
.LBB4_1334:                             ;   in Loop: Header=BB4_655 Depth=3
	s_and_not1_saveexec_b32 s14, s14
	s_cbranch_execz .LBB4_1336
; %bb.1335:                             ;   in Loop: Header=BB4_655 Depth=3
	;;#ASMSTART
	s_waitcnt lgkmcnt(0) vmcnt(0)
	;;#ASMEND
	s_barrier_signal -1
	s_barrier_wait -1
.LBB4_1336:                             ;   in Loop: Header=BB4_655 Depth=3
	s_or_b32 exec_lo, exec_lo, s14
	v_and_b32_e32 v2, 16, v30
.LBB4_1337:                             ;   in Loop: Header=BB4_655 Depth=3
	s_or_b32 exec_lo, exec_lo, s13
	s_delay_alu instid0(VALU_DEP_1) | instskip(SKIP_1) | instid1(SALU_CYCLE_1)
	v_cmp_ne_u32_e32 vcc_lo, 0, v2
	s_xor_b32 s13, s4, -1
	s_and_b32 s14, vcc_lo, s13
	s_delay_alu instid0(SALU_CYCLE_1)
	s_and_saveexec_b32 s13, s14
	s_cbranch_execz .LBB4_1339
; %bb.1338:                             ;   in Loop: Header=BB4_655 Depth=3
	global_wb scope:SCOPE_SYS
	s_wait_storecnt 0x0
	s_wait_loadcnt_dscnt 0x0
	flat_store_b32 v[38:39], v75 scope:SCOPE_SYS
.LBB4_1339:                             ;   in Loop: Header=BB4_655 Depth=3
	s_wait_xcnt 0x0
	s_or_b32 exec_lo, exec_lo, s13
	v_and_b32_e32 v2, 48, v30
	s_mov_b32 s13, exec_lo
	s_delay_alu instid0(VALU_DEP_1)
	v_cmpx_ne_u32_e32 0, v2
	s_cbranch_execz .LBB4_654
; %bb.1340:                             ;   in Loop: Header=BB4_655 Depth=3
	v_add_nc_u64_e32 v[114:115], 2, v[114:115]
	global_wb scope:SCOPE_SYS
	s_wait_storecnt 0x0
	s_wait_loadcnt_dscnt 0x0
	flat_store_b64 v[32:33], v[114:115] scope:SCOPE_SYS
	s_branch .LBB4_654
.LBB4_1341:                             ;   in Loop: Header=BB4_652 Depth=2
	s_or_b32 exec_lo, exec_lo, s88
.LBB4_1342:                             ;   in Loop: Header=BB4_652 Depth=2
	s_delay_alu instid0(SALU_CYCLE_1) | instskip(NEXT) | instid1(SALU_CYCLE_1)
	s_or_b32 exec_lo, exec_lo, s27
	s_mov_b32 s14, exec_lo
	v_cmpx_gt_i32_e32 2, v2
	s_cbranch_execz .LBB4_651
; %bb.1343:                             ;   in Loop: Header=BB4_652 Depth=2
	v_cmp_eq_u32_e64 s27, 0, v2
	s_mov_b32 s15, 0
	s_branch .LBB4_1345
.LBB4_1344:                             ;   in Loop: Header=BB4_1345 Depth=3
	s_wait_xcnt 0x0
	s_or_b32 exec_lo, exec_lo, s13
	v_add_nc_u32_e32 v14, v12, v14
	s_mov_b32 s27, 0
	s_and_not1_b32 exec_lo, exec_lo, s15
	s_cbranch_execz .LBB4_650
.LBB4_1345:                             ;   Parent Loop BB4_47 Depth=1
                                        ;     Parent Loop BB4_652 Depth=2
                                        ; =>    This Loop Header: Depth=3
                                        ;         Child Loop BB4_1351 Depth 4
                                        ;         Child Loop BB4_1379 Depth 4
	;; [unrolled: 1-line block ×3, first 2 shown]
	s_delay_alu instid0(VALU_DEP_1) | instskip(SKIP_2) | instid1(VALU_DEP_2)
	v_sub_nc_u32_e32 v2, v56, v14
	v_and_b32_e32 v8, 12, v30
	s_mov_b32 s40, exec_lo
	v_min_i32_e32 v12, v12, v2
	s_delay_alu instid0(VALU_DEP_2)
	v_cmpx_ne_u32_e32 0, v8
	s_cbranch_execz .LBB4_1371
; %bb.1346:                             ;   in Loop: Header=BB4_1345 Depth=3
	v_and_b32_e32 v2, 8, v30
	v_add_nc_u64_e32 v[8:9], 2, v[114:115]
	s_mov_b32 s41, exec_lo
	s_wait_loadcnt_dscnt 0x1
	s_delay_alu instid0(VALU_DEP_2) | instskip(NEXT) | instid1(VALU_DEP_1)
	v_add_nc_u64_e32 v[10:11], v[50:51], v[2:3]
	v_cmpx_lt_u64_e64 v[10:11], v[8:9]
	s_cbranch_execz .LBB4_1358
; %bb.1347:                             ;   in Loop: Header=BB4_1345 Depth=3
	v_and_b32_e32 v10, 64, v30
	s_mov_b32 s88, 0
	s_mov_b32 s92, 0
                                        ; implicit-def: $sgpr89
                                        ; implicit-def: $sgpr90
                                        ; implicit-def: $sgpr91
	s_delay_alu instid0(VALU_DEP_1)
	v_cmp_eq_u32_e32 vcc_lo, 0, v10
	s_branch .LBB4_1351
.LBB4_1348:                             ;   in Loop: Header=BB4_1351 Depth=4
	s_wait_loadcnt_dscnt 0x0
	v_add_nc_u64_e32 v[16:17], v[50:51], v[2:3]
	s_or_b32 s95, s95, exec_lo
	s_delay_alu instid0(VALU_DEP_1)
	v_cmp_ge_u64_e64 s13, v[16:17], v[8:9]
	s_or_not1_b32 s94, s13, exec_lo
.LBB4_1349:                             ;   in Loop: Header=BB4_1351 Depth=4
	s_or_b32 exec_lo, exec_lo, s30
	s_delay_alu instid0(SALU_CYCLE_1)
	s_and_not1_b32 s13, s91, exec_lo
	s_and_b32 s91, s95, exec_lo
	s_and_not1_b32 s90, s90, exec_lo
	s_and_b32 s94, s94, exec_lo
	s_or_b32 s91, s13, s91
	s_or_b32 s90, s90, s94
.LBB4_1350:                             ;   in Loop: Header=BB4_1351 Depth=4
	s_or_b32 exec_lo, exec_lo, s93
	s_delay_alu instid0(SALU_CYCLE_1) | instskip(NEXT) | instid1(SALU_CYCLE_1)
	s_and_b32 s13, exec_lo, s90
	s_or_b32 s88, s13, s88
	s_and_not1_b32 s13, s89, exec_lo
	s_and_b32 s89, s91, exec_lo
	s_delay_alu instid0(SALU_CYCLE_1)
	s_or_b32 s89, s13, s89
	s_and_not1_b32 exec_lo, exec_lo, s88
	s_cbranch_execz .LBB4_1355
.LBB4_1351:                             ;   Parent Loop BB4_47 Depth=1
                                        ;     Parent Loop BB4_652 Depth=2
                                        ;       Parent Loop BB4_1345 Depth=3
                                        ; =>      This Inner Loop Header: Depth=4
	s_sleep 1
	s_wait_loadcnt_dscnt 0x0
	flat_load_b64 v[50:51], v[32:33] scope:SCOPE_SYS
	s_or_b32 s91, s91, exec_lo
	s_or_b32 s90, s90, exec_lo
                                        ; implicit-def: $vgpr10
	s_wait_xcnt 0x0
	s_and_saveexec_b32 s93, vcc_lo
	s_cbranch_execz .LBB4_1350
; %bb.1352:                             ;   in Loop: Header=BB4_1351 Depth=4
	s_cmp_lt_i32 s92, 0x270f
	s_mov_b32 s94, -1
	s_cselect_b32 vcc_hi, -1, 0
	s_cmp_gt_i32 s92, 0x270e
	s_cbranch_scc0 .LBB4_1354
; %bb.1353:                             ;   in Loop: Header=BB4_1351 Depth=4
	s_trap 2
	ds_load_b64 v[10:11], v0
	s_and_not1_b32 s92, vcc_hi, exec_lo
	s_mov_b32 s95, 0
	s_wait_storecnt 0x0
	s_wait_loadcnt_dscnt 0x0
	flat_load_b32 v10, v[10:11] scope:SCOPE_SYS
	s_wait_loadcnt_dscnt 0x0
	global_inv scope:SCOPE_SYS
	v_cmp_eq_u32_e64 s13, 0, v10
	s_and_b32 s13, s13, exec_lo
	s_delay_alu instid0(SALU_CYCLE_1)
	s_or_b32 vcc_hi, s92, s13
	s_mov_b32 s92, 0
	s_and_saveexec_b32 s30, vcc_hi
	s_cbranch_execz .LBB4_1349
	s_branch .LBB4_1348
.LBB4_1354:                             ;   in Loop: Header=BB4_1351 Depth=4
	s_add_co_i32 s92, s92, 1
	s_mov_b32 s95, -1
                                        ; implicit-def: $vgpr10
	s_and_saveexec_b32 s30, vcc_hi
	s_cbranch_execz .LBB4_1349
	s_branch .LBB4_1348
.LBB4_1355:                             ;   in Loop: Header=BB4_1345 Depth=3
	s_or_b32 exec_lo, exec_lo, s88
	s_xor_b32 s13, s89, -1
	s_delay_alu instid0(SALU_CYCLE_1) | instskip(NEXT) | instid1(SALU_CYCLE_1)
	s_and_saveexec_b32 s88, s13
	s_xor_b32 s13, exec_lo, s88
	s_cbranch_execz .LBB4_1357
; %bb.1356:                             ;   in Loop: Header=BB4_1345 Depth=3
	v_or_b32_e32 v30, 64, v30
	s_wait_storecnt 0x0
	s_wait_loadcnt_dscnt 0x0
	ds_store_b32 v0, v10
	s_trap 2
.LBB4_1357:                             ;   in Loop: Header=BB4_1345 Depth=3
	s_or_b32 exec_lo, exec_lo, s13
.LBB4_1358:                             ;   in Loop: Header=BB4_1345 Depth=3
	s_delay_alu instid0(SALU_CYCLE_1) | instskip(SKIP_2) | instid1(VALU_DEP_1)
	s_or_b32 exec_lo, exec_lo, s41
	v_and_b32_e32 v10, 0x108, v30
	;;#ASMSTART
	s_wakeup
	;;#ASMEND
	v_cmp_ne_u32_e32 vcc_lo, 0x108, v10
                                        ; implicit-def: $vgpr10_vgpr11
	s_and_saveexec_b32 s13, vcc_lo
	s_delay_alu instid0(SALU_CYCLE_1)
	s_xor_b32 s13, exec_lo, s13
; %bb.1359:                             ;   in Loop: Header=BB4_1345 Depth=3
	v_dual_mov_b32 v11, v3 :: v_dual_bitop2_b32 v10, 7, v114 bitop3:0x40
                                        ; implicit-def: $vgpr114_vgpr115
; %bb.1360:                             ;   in Loop: Header=BB4_1345 Depth=3
	s_and_not1_saveexec_b32 s13, s13
	s_cbranch_execz .LBB4_1362
; %bb.1361:                             ;   in Loop: Header=BB4_1345 Depth=3
	v_dual_ashrrev_i32 v13, 31, v12 :: v_dual_bitop2_b32 v10, 7, v114 bitop3:0x40
	v_mov_b32_e32 v11, v3
	s_delay_alu instid0(VALU_DEP_2) | instskip(NEXT) | instid1(VALU_DEP_3)
	v_mad_nc_u64_u32 v[16:17], v10, 24, v[6:7]
	v_lshlrev_b64_e32 v[18:19], 1, v[12:13]
	flat_store_b64 v[16:17], v[18:19] offset:8
.LBB4_1362:                             ;   in Loop: Header=BB4_1345 Depth=3
	s_wait_xcnt 0x0
	s_or_b32 exec_lo, exec_lo, s13
	v_and_b32_e32 v13, 0x100, v30
	s_mov_b32 s13, -1
	s_mov_b32 s41, exec_lo
                                        ; implicit-def: $vgpr16_vgpr17
	s_delay_alu instid0(VALU_DEP_1)
	v_cmpx_ne_u32_e32 0, v13
	s_cbranch_execz .LBB4_1366
; %bb.1363:                             ;   in Loop: Header=BB4_1345 Depth=3
	v_mad_nc_u64_u32 v[18:19], v10, 24, v[6:7]
	s_mov_b32 s88, exec_lo
                                        ; implicit-def: $vgpr16_vgpr17
	s_delay_alu instid0(VALU_DEP_1)
	v_mad_u32 v19, v11, 24, v19
	flat_load_b32 v13, v[18:19]
	s_wait_loadcnt_dscnt 0x0
	v_cmp_ne_u32_e32 vcc_lo, 1, v13
	s_wait_xcnt 0x0
	v_cmpx_eq_u32_e32 1, v13
	s_cbranch_execz .LBB4_1365
; %bb.1364:                             ;   in Loop: Header=BB4_1345 Depth=3
	flat_load_b32 v16, v[18:19] offset:4 scope:SCOPE_SYS
	s_wait_loadcnt_dscnt 0x0
	v_ashrrev_i32_e32 v17, 31, v16
	s_delay_alu instid0(VALU_DEP_1)
	v_lshrrev_b64 v[16:17], 1, v[16:17]
.LBB4_1365:                             ;   in Loop: Header=BB4_1345 Depth=3
	s_wait_xcnt 0x0
	s_or_b32 exec_lo, exec_lo, s88
	s_delay_alu instid0(SALU_CYCLE_1)
	s_or_not1_b32 s13, vcc_lo, exec_lo
.LBB4_1366:                             ;   in Loop: Header=BB4_1345 Depth=3
	s_or_b32 exec_lo, exec_lo, s41
	s_and_saveexec_b32 s41, s13
; %bb.1367:                             ;   in Loop: Header=BB4_1345 Depth=3
	v_mul_u64_e32 v[16:17], v[10:11], v[34:35]
; %bb.1368:                             ;   in Loop: Header=BB4_1345 Depth=3
	s_or_b32 exec_lo, exec_lo, s41
	v_cmp_eq_u32_e32 vcc_lo, 0, v2
	v_and_b32_e32 v13, 0x2000, v30
	s_delay_alu instid0(VALU_DEP_3) | instskip(SKIP_2) | instid1(VALU_DEP_1)
	v_lshl_add_u64 v[10:11], v[16:17], 1, v[36:37]
	s_mov_b32 s13, exec_lo
	v_cndmask_b32_e32 v2, 0xc8, v76, vcc_lo
	v_add_nc_u32_e32 v2, v0, v2
	ds_store_b64 v2, v[10:11] offset:584
	v_cmpx_ne_u32_e32 0, v13
	s_cbranch_execz .LBB4_1370
; %bb.1369:                             ;   in Loop: Header=BB4_1345 Depth=3
	ds_load_b64 v[10:11], v0 offset:872
	s_wait_dscnt 0x0
	v_add_nc_u64_e32 v[10:11], 1, v[10:11]
	ds_store_b64 v0, v[10:11] offset:872
.LBB4_1370:                             ;   in Loop: Header=BB4_1345 Depth=3
	s_or_b32 exec_lo, exec_lo, s13
	v_mov_b64_e32 v[114:115], v[8:9]
.LBB4_1371:                             ;   in Loop: Header=BB4_1345 Depth=3
	s_or_b32 exec_lo, exec_lo, s40
	s_xor_b32 s13, s27, -1
	s_delay_alu instid0(SALU_CYCLE_1) | instskip(NEXT) | instid1(SALU_CYCLE_1)
	s_and_b32 s13, exec_lo, s13
	s_or_b32 s15, s13, s15
	s_and_saveexec_b32 s13, s2
	s_cbranch_execz .LBB4_1390
; %bb.1372:                             ;   in Loop: Header=BB4_1345 Depth=3
	s_and_saveexec_b32 s27, s3
	s_delay_alu instid0(SALU_CYCLE_1)
	s_xor_b32 s27, exec_lo, s27
	s_cbranch_execz .LBB4_1387
; %bb.1373:                             ;   in Loop: Header=BB4_1345 Depth=3
	s_and_saveexec_b32 s40, s6
	s_cbranch_execz .LBB4_1386
; %bb.1374:                             ;   in Loop: Header=BB4_1345 Depth=3
	s_mov_b32 s88, exec_lo
	s_mov_b32 s41, exec_lo
	v_mbcnt_lo_u32_b32 v2, s88, 0
	global_wb scope:SCOPE_DEV
	s_wait_storecnt 0x0
	s_wait_loadcnt_dscnt 0x0
	global_inv scope:SCOPE_DEV
	v_cmpx_eq_u32_e32 0, v2
	s_cbranch_execz .LBB4_1376
; %bb.1375:                             ;   in Loop: Header=BB4_1345 Depth=3
	s_bcnt1_i32_b32 s88, s88
	s_delay_alu instid0(SALU_CYCLE_1)
	v_mov_b32_e32 v2, s88
	s_wait_loadcnt 0x0
	ds_add_u64 v0, v[2:3]
	s_trap 2
.LBB4_1376:                             ;   in Loop: Header=BB4_1345 Depth=3
	s_or_b32 exec_lo, exec_lo, s41
	s_trap 2
	ds_load_b64 v[8:9], v0
	s_wait_dscnt 0x0
	v_add_nc_u64_e32 v[48:49], v[48:49], v[52:53]
	s_mov_b32 s41, exec_lo
	s_delay_alu instid0(VALU_DEP_1)
	v_cmpx_lt_u64_e64 v[8:9], v[48:49]
	s_cbranch_execz .LBB4_1385
; %bb.1377:                             ;   in Loop: Header=BB4_1345 Depth=3
	s_mov_b32 s88, 0
	s_mov_b32 s91, 0
                                        ; implicit-def: $sgpr89
                                        ; implicit-def: $sgpr90
	s_branch .LBB4_1379
.LBB4_1378:                             ;   in Loop: Header=BB4_1379 Depth=4
	s_or_b32 exec_lo, exec_lo, s93
	s_delay_alu instid0(SALU_CYCLE_1) | instskip(NEXT) | instid1(SALU_CYCLE_1)
	s_and_b32 s92, exec_lo, s94
	s_or_b32 s88, s92, s88
	s_and_not1_b32 s89, s89, exec_lo
	s_and_b32 s92, s90, exec_lo
	s_delay_alu instid0(SALU_CYCLE_1)
	s_or_b32 s89, s89, s92
	s_and_not1_b32 exec_lo, exec_lo, s88
	s_cbranch_execz .LBB4_1383
.LBB4_1379:                             ;   Parent Loop BB4_47 Depth=1
                                        ;     Parent Loop BB4_652 Depth=2
                                        ;       Parent Loop BB4_1345 Depth=3
                                        ; =>      This Inner Loop Header: Depth=4
	s_add_co_i32 s91, s91, 1
	s_delay_alu instid0(SALU_CYCLE_1) | instskip(SKIP_1) | instid1(SALU_CYCLE_1)
	s_cmp_lg_u32 s91, 0x2710
	s_cselect_b32 s92, -1, 0
	s_and_b32 vcc_lo, exec_lo, s92
	s_cbranch_vccz .LBB4_1381
; %bb.1380:                             ;   in Loop: Header=BB4_1379 Depth=4
	s_mov_b32 s94, -1
	s_or_b32 s90, s90, exec_lo
	s_and_saveexec_b32 s93, s92
	s_cbranch_execz .LBB4_1378
	s_branch .LBB4_1382
.LBB4_1381:                             ;   in Loop: Header=BB4_1379 Depth=4
	s_trap 2
	ds_load_b64 v[8:9], v0
	s_and_not1_b32 s92, s92, exec_lo
	s_mov_b32 s91, 0
	s_wait_loadcnt_dscnt 0x0
	flat_load_b32 v2, v[8:9] scope:SCOPE_SYS
	s_wait_loadcnt_dscnt 0x0
	global_inv scope:SCOPE_SYS
	v_cmp_eq_u32_e32 vcc_lo, 0, v2
	s_and_b32 s93, vcc_lo, exec_lo
	s_delay_alu instid0(SALU_CYCLE_1)
	s_or_b32 s92, s92, s93
	s_mov_b32 s94, -1
	s_or_b32 s90, s90, exec_lo
	s_and_saveexec_b32 s93, s92
	s_cbranch_execz .LBB4_1378
.LBB4_1382:                             ;   in Loop: Header=BB4_1379 Depth=4
	s_sleep 1
	s_trap 2
	ds_load_b64 v[8:9], v0
	s_wait_dscnt 0x0
	s_and_not1_b32 s90, s90, exec_lo
	v_cmp_ge_u64_e32 vcc_lo, v[8:9], v[48:49]
	s_or_not1_b32 s94, vcc_lo, exec_lo
	s_branch .LBB4_1378
.LBB4_1383:                             ;   in Loop: Header=BB4_1345 Depth=3
	s_or_b32 exec_lo, exec_lo, s88
	s_and_saveexec_b32 s88, s89
	s_delay_alu instid0(SALU_CYCLE_1)
	s_xor_b32 s88, exec_lo, s88
	s_cbranch_execz .LBB4_1385
; %bb.1384:                             ;   in Loop: Header=BB4_1345 Depth=3
	ds_store_b32 v0, v75
	s_trap 2
.LBB4_1385:                             ;   in Loop: Header=BB4_1345 Depth=3
	s_or_b32 exec_lo, exec_lo, s41
	;;#ASMSTART
	s_wakeup
	;;#ASMEND
.LBB4_1386:                             ;   in Loop: Header=BB4_1345 Depth=3
	s_or_b32 exec_lo, exec_lo, s40
.LBB4_1387:                             ;   in Loop: Header=BB4_1345 Depth=3
	s_and_not1_saveexec_b32 s27, s27
	s_cbranch_execz .LBB4_1389
; %bb.1388:                             ;   in Loop: Header=BB4_1345 Depth=3
	global_wb scope:SCOPE_DEV
	s_wait_storecnt 0x0
	s_wait_loadcnt_dscnt 0x0
	global_inv scope:SCOPE_DEV
	s_barrier_signal -1
	s_barrier_wait -1
.LBB4_1389:                             ;   in Loop: Header=BB4_1345 Depth=3
	s_or_b32 exec_lo, exec_lo, s27
.LBB4_1390:                             ;   in Loop: Header=BB4_1345 Depth=3
	s_delay_alu instid0(SALU_CYCLE_1) | instskip(SKIP_1) | instid1(SALU_CYCLE_1)
	s_or_b32 exec_lo, exec_lo, s13
                                        ; implicit-def: $vgpr2
	s_and_saveexec_b32 s13, s75
	s_xor_b32 s13, exec_lo, s13
	s_cbranch_execz .LBB4_1402
; %bb.1391:                             ;   in Loop: Header=BB4_1345 Depth=3
	s_and_saveexec_b32 s27, s3
	s_delay_alu instid0(SALU_CYCLE_1)
	s_xor_b32 s27, exec_lo, s27
	s_cbranch_execz .LBB4_1407
; %bb.1392:                             ;   in Loop: Header=BB4_1345 Depth=3
	s_and_saveexec_b32 s40, s6
	s_cbranch_execz .LBB4_1406
; %bb.1393:                             ;   in Loop: Header=BB4_1345 Depth=3
	s_mov_b32 s88, exec_lo
	s_mov_b32 s41, exec_lo
	v_mbcnt_lo_u32_b32 v2, s88, 0
	;;#ASMSTART
	s_waitcnt lgkmcnt(0) vmcnt(0)
	;;#ASMEND
	s_delay_alu instid0(VALU_DEP_1)
	v_cmpx_eq_u32_e32 0, v2
	s_cbranch_execz .LBB4_1395
; %bb.1394:                             ;   in Loop: Header=BB4_1345 Depth=3
	s_bcnt1_i32_b32 s88, s88
	s_delay_alu instid0(SALU_CYCLE_1)
	v_mov_b32_e32 v2, s88
	s_wait_storecnt 0x0
	s_wait_loadcnt_dscnt 0x0
	ds_add_u64 v0, v[2:3]
	s_trap 2
.LBB4_1395:                             ;   in Loop: Header=BB4_1345 Depth=3
	s_or_b32 exec_lo, exec_lo, s41
	s_trap 2
	ds_load_b64 v[8:9], v0
	s_wait_dscnt 0x0
	v_add_nc_u64_e32 v[48:49], v[48:49], v[52:53]
	s_mov_b32 s41, exec_lo
	s_delay_alu instid0(VALU_DEP_1)
	v_cmpx_lt_u64_e64 v[8:9], v[48:49]
	s_cbranch_execz .LBB4_1405
; %bb.1396:                             ;   in Loop: Header=BB4_1345 Depth=3
	s_mov_b32 s88, 0
	s_mov_b32 s91, 0
                                        ; implicit-def: $sgpr89
                                        ; implicit-def: $sgpr90
	s_branch .LBB4_1398
.LBB4_1397:                             ;   in Loop: Header=BB4_1398 Depth=4
	s_or_b32 exec_lo, exec_lo, s93
	s_delay_alu instid0(SALU_CYCLE_1) | instskip(NEXT) | instid1(SALU_CYCLE_1)
	s_and_b32 s92, exec_lo, s94
	s_or_b32 s88, s92, s88
	s_and_not1_b32 s89, s89, exec_lo
	s_and_b32 s92, s90, exec_lo
	s_delay_alu instid0(SALU_CYCLE_1)
	s_or_b32 s89, s89, s92
	s_and_not1_b32 exec_lo, exec_lo, s88
	s_cbranch_execz .LBB4_1403
.LBB4_1398:                             ;   Parent Loop BB4_47 Depth=1
                                        ;     Parent Loop BB4_652 Depth=2
                                        ;       Parent Loop BB4_1345 Depth=3
                                        ; =>      This Inner Loop Header: Depth=4
	s_add_co_i32 s91, s91, 1
	s_delay_alu instid0(SALU_CYCLE_1) | instskip(SKIP_1) | instid1(SALU_CYCLE_1)
	s_cmp_lg_u32 s91, 0x2710
	s_cselect_b32 s92, -1, 0
	s_and_b32 vcc_lo, exec_lo, s92
	s_cbranch_vccz .LBB4_1400
; %bb.1399:                             ;   in Loop: Header=BB4_1398 Depth=4
	s_mov_b32 s94, -1
	s_or_b32 s90, s90, exec_lo
	s_and_saveexec_b32 s93, s92
	s_cbranch_execz .LBB4_1397
	s_branch .LBB4_1401
.LBB4_1400:                             ;   in Loop: Header=BB4_1398 Depth=4
	s_trap 2
	ds_load_b64 v[8:9], v0
	s_and_not1_b32 s92, s92, exec_lo
	s_mov_b32 s91, 0
	s_wait_storecnt 0x0
	s_wait_loadcnt_dscnt 0x0
	flat_load_b32 v2, v[8:9] scope:SCOPE_SYS
	s_wait_loadcnt_dscnt 0x0
	global_inv scope:SCOPE_SYS
	v_cmp_eq_u32_e32 vcc_lo, 0, v2
	s_and_b32 s93, vcc_lo, exec_lo
	s_delay_alu instid0(SALU_CYCLE_1)
	s_or_b32 s92, s92, s93
	s_mov_b32 s94, -1
	s_or_b32 s90, s90, exec_lo
	s_and_saveexec_b32 s93, s92
	s_cbranch_execz .LBB4_1397
.LBB4_1401:                             ;   in Loop: Header=BB4_1398 Depth=4
	s_sleep 1
	s_trap 2
	ds_load_b64 v[8:9], v0
	s_wait_dscnt 0x0
	s_and_not1_b32 s90, s90, exec_lo
	v_cmp_ge_u64_e32 vcc_lo, v[8:9], v[48:49]
	s_or_not1_b32 s94, vcc_lo, exec_lo
	s_branch .LBB4_1397
.LBB4_1402:                             ;   in Loop: Header=BB4_1345 Depth=3
	s_and_not1_saveexec_b32 s27, s13
	s_cbranch_execnz .LBB4_1410
	s_branch .LBB4_1413
.LBB4_1403:                             ;   in Loop: Header=BB4_1345 Depth=3
	s_or_b32 exec_lo, exec_lo, s88
	s_and_saveexec_b32 s88, s89
	s_delay_alu instid0(SALU_CYCLE_1)
	s_xor_b32 s88, exec_lo, s88
	s_cbranch_execz .LBB4_1405
; %bb.1404:                             ;   in Loop: Header=BB4_1345 Depth=3
	ds_store_b32 v0, v75
	s_trap 2
.LBB4_1405:                             ;   in Loop: Header=BB4_1345 Depth=3
	s_or_b32 exec_lo, exec_lo, s41
	;;#ASMSTART
	s_wakeup
	;;#ASMEND
.LBB4_1406:                             ;   in Loop: Header=BB4_1345 Depth=3
	s_or_b32 exec_lo, exec_lo, s40
.LBB4_1407:                             ;   in Loop: Header=BB4_1345 Depth=3
	s_and_not1_saveexec_b32 s27, s27
	s_cbranch_execz .LBB4_1409
; %bb.1408:                             ;   in Loop: Header=BB4_1345 Depth=3
	;;#ASMSTART
	s_waitcnt lgkmcnt(0) vmcnt(0)
	;;#ASMEND
	s_barrier_signal -1
	s_barrier_wait -1
.LBB4_1409:                             ;   in Loop: Header=BB4_1345 Depth=3
	s_or_b32 exec_lo, exec_lo, s27
	v_and_b32_e32 v2, 16, v30
	s_and_not1_saveexec_b32 s27, s13
	s_cbranch_execz .LBB4_1413
.LBB4_1410:                             ;   in Loop: Header=BB4_1345 Depth=3
	s_trap 2
	ds_load_b32 v2, v0
	v_cmp_lt_i32_e32 vcc_lo, 0, v12
	s_wait_dscnt 0x0
	v_readfirstlane_b32 s13, v2
	v_and_b32_e32 v2, 16, v30
	s_cmp_eq_u32 s13, 0
	s_delay_alu instid0(VALU_DEP_1) | instskip(SKIP_3) | instid1(SALU_CYCLE_1)
	v_cmp_ne_u32_e64 s13, 0, v2
	s_cselect_b32 s40, -1, 0
	v_and_b32_e32 v2, 16, v30
	s_and_b32 s40, vcc_lo, s40
	s_and_b32 s40, s13, s40
	s_delay_alu instid0(SALU_CYCLE_1)
	s_and_saveexec_b32 s13, s40
	s_cbranch_execz .LBB4_1412
; %bb.1411:                             ;   in Loop: Header=BB4_1345 Depth=3
	v_mov_b32_e32 v2, 1
	global_wb scope:SCOPE_SYS
	s_wait_loadcnt 0x0
	s_wait_storecnt 0x0
	global_inv scope:SCOPE_SYS
.LBB4_1412:                             ;   in Loop: Header=BB4_1345 Depth=3
	s_or_b32 exec_lo, exec_lo, s13
.LBB4_1413:                             ;   in Loop: Header=BB4_1345 Depth=3
	s_delay_alu instid0(SALU_CYCLE_1) | instskip(NEXT) | instid1(VALU_DEP_1)
	s_or_b32 exec_lo, exec_lo, s27
	v_cmp_ne_u32_e32 vcc_lo, 0, v2
	s_xor_b32 s13, s4, -1
	s_delay_alu instid0(SALU_CYCLE_1) | instskip(NEXT) | instid1(SALU_CYCLE_1)
	s_and_b32 s27, vcc_lo, s13
	s_and_saveexec_b32 s13, s27
	s_cbranch_execz .LBB4_1415
; %bb.1414:                             ;   in Loop: Header=BB4_1345 Depth=3
	global_wb scope:SCOPE_SYS
	s_wait_storecnt 0x0
	s_wait_loadcnt_dscnt 0x0
	flat_store_b32 v[38:39], v75 scope:SCOPE_SYS
.LBB4_1415:                             ;   in Loop: Header=BB4_1345 Depth=3
	s_wait_xcnt 0x0
	s_or_b32 exec_lo, exec_lo, s13
	v_and_b32_e32 v2, 48, v30
	s_mov_b32 s13, exec_lo
	s_delay_alu instid0(VALU_DEP_1)
	v_cmpx_ne_u32_e32 0, v2
	s_cbranch_execz .LBB4_1344
; %bb.1416:                             ;   in Loop: Header=BB4_1345 Depth=3
	v_add_nc_u64_e32 v[114:115], 2, v[114:115]
	global_wb scope:SCOPE_SYS
	s_wait_storecnt 0x0
	s_wait_loadcnt_dscnt 0x0
	flat_store_b64 v[32:33], v[114:115] scope:SCOPE_SYS
	s_branch .LBB4_1344
.LBB4_1417:                             ;   in Loop: Header=BB4_47 Depth=1
	v_mul_u64_e32 v[8:9], s[16:17], v[112:113]
	v_mov_b32_e32 v14, 0
	s_delay_alu instid0(VALU_DEP_2) | instskip(NEXT) | instid1(VALU_DEP_1)
	v_sub_nc_u64_e32 v[10:11], v[116:117], v[8:9]
	v_min_i64 v[10:11], v[112:113], v[10:11]
	s_delay_alu instid0(VALU_DEP_1) | instskip(SKIP_1) | instid1(VALU_DEP_2)
	v_max_i32_e32 v60, 0, v10
	v_cmp_lt_i32_e32 vcc_lo, 0, v10
	v_add_nc_u32_e32 v2, 31, v60
	s_and_b32 s13, s77, vcc_lo
	s_delay_alu instid0(VALU_DEP_1) | instskip(NEXT) | instid1(VALU_DEP_1)
	v_lshrrev_b32_e32 v2, 1, v2
	v_and_b32_e32 v11, 0x3ffffff0, v2
	s_delay_alu instid0(VALU_DEP_1)
	v_dual_mov_b32 v2, 0 :: v_dual_max_i32 v12, s45, v11
	s_and_saveexec_b32 s18, s13
	s_cbranch_execz .LBB4_2699
; %bb.1418:                             ;   in Loop: Header=BB4_47 Depth=1
	v_add_nc_u64_e32 v[8:9], v[8:9], v[118:119]
	v_mov_b32_e32 v14, 0
	s_mov_b32 s89, 1
	s_mov_b32 s88, -1
	s_mov_b32 s27, 0
	s_delay_alu instid0(VALU_DEP_2)
	v_lshlrev_b64_e32 v[16:17], 1, v[8:9]
	s_branch .LBB4_1420
.LBB4_1419:                             ;   in Loop: Header=BB4_1420 Depth=2
	s_wait_xcnt 0x0
	s_or_b32 exec_lo, exec_lo, s13
	v_dual_add_nc_u32 v14, v12, v14 :: v_dual_mov_b32 v2, s89
	s_xor_b32 s13, s88, -1
	s_mov_b32 s88, 0
	s_mov_b32 s89, 2
	s_delay_alu instid0(VALU_DEP_1) | instskip(SKIP_1) | instid1(SALU_CYCLE_1)
	v_cmp_ge_i32_e32 vcc_lo, v14, v60
	s_or_b32 s13, s13, vcc_lo
	s_and_b32 s13, exec_lo, s13
	s_delay_alu instid0(SALU_CYCLE_1) | instskip(NEXT) | instid1(SALU_CYCLE_1)
	s_or_b32 s27, s13, s27
	s_and_not1_b32 exec_lo, exec_lo, s27
	s_cbranch_execz .LBB4_2698
.LBB4_1420:                             ;   Parent Loop BB4_47 Depth=1
                                        ; =>  This Loop Header: Depth=2
                                        ;       Child Loop BB4_1428 Depth 3
                                        ;       Child Loop BB4_1456 Depth 3
	;; [unrolled: 1-line block ×4, first 2 shown]
                                        ;         Child Loop BB4_1499 Depth 4
                                        ;         Child Loop BB4_1566 Depth 4
	;; [unrolled: 1-line block ×4, first 2 shown]
                                        ;       Child Loop BB4_1709 Depth 3
                                        ;       Child Loop BB4_1714 Depth 3
                                        ;         Child Loop BB4_1715 Depth 4
                                        ;         Child Loop BB4_1782 Depth 4
	;; [unrolled: 1-line block ×4, first 2 shown]
                                        ;       Child Loop BB4_1922 Depth 3
                                        ;       Child Loop BB4_1930 Depth 3
	;; [unrolled: 1-line block ×3, first 2 shown]
                                        ;         Child Loop BB4_2040 Depth 4
                                        ;         Child Loop BB4_2051 Depth 4
	;; [unrolled: 1-line block ×4, first 2 shown]
                                        ;       Child Loop BB4_2078 Depth 3
                                        ;       Child Loop BB4_2090 Depth 3
                                        ;         Child Loop BB4_2091 Depth 4
                                        ;         Child Loop BB4_2160 Depth 4
                                        ;       Child Loop BB4_2301 Depth 3
                                        ;         Child Loop BB4_2302 Depth 4
                                        ;         Child Loop BB4_2371 Depth 4
                                        ;       Child Loop BB4_2512 Depth 3
                                        ;       Child Loop BB4_2619 Depth 3
                                        ;         Child Loop BB4_2620 Depth 4
                                        ;         Child Loop BB4_2633 Depth 4
                                        ;       Child Loop BB4_2660 Depth 3
                                        ;       Child Loop BB4_2683 Depth 3
	s_and_saveexec_b32 s13, s0
	s_cbranch_execz .LBB4_1422
; %bb.1421:                             ;   in Loop: Header=BB4_1420 Depth=2
	s_trap 2
	ds_load_b64 v[18:19], v0
	ds_load_2addr_b64 v[8:11], v0 offset1:1
	s_wait_dscnt 0x1
	v_cmp_ne_u64_e32 vcc_lo, 0, v[18:19]
	v_ashrrev_i32_e32 v15, 31, v14
	v_add_nc_u64_e32 v[22:23], v[18:19], v[16:17]
	s_wait_dscnt 0x0
	v_add_nc_u64_e32 v[8:9], v[8:9], v[16:17]
	v_add_nc_u64_e32 v[10:11], v[10:11], v[16:17]
	v_lshlrev_b64_e32 v[20:21], 1, v[14:15]
	s_delay_alu instid0(VALU_DEP_1) | instskip(NEXT) | instid1(VALU_DEP_4)
	v_add_nc_u64_e32 v[22:23], v[22:23], v[20:21]
	v_add_nc_u64_e32 v[8:9], v[8:9], v[20:21]
	s_delay_alu instid0(VALU_DEP_4) | instskip(NEXT) | instid1(VALU_DEP_3)
	v_add_nc_u64_e32 v[10:11], v[10:11], v[20:21]
	v_dual_cndmask_b32 v19, 0, v23 :: v_dual_cndmask_b32 v18, 0, v22
	ds_store_b64 v0, v[8:9]
	ds_store_b64 v0, v[10:11]
	;; [unrolled: 1-line block ×3, first 2 shown]
.LBB4_1422:                             ;   in Loop: Header=BB4_1420 Depth=2
	s_or_b32 exec_lo, exec_lo, s13
	v_sub_nc_u32_e32 v2, v60, v14
	v_and_b32_e32 v8, 12, v30
	s_mov_b32 s14, exec_lo
	s_delay_alu instid0(VALU_DEP_2) | instskip(NEXT) | instid1(VALU_DEP_2)
	v_min_i32_e32 v12, v12, v2
	v_cmpx_ne_u32_e32 0, v8
	s_cbranch_execz .LBB4_1448
; %bb.1423:                             ;   in Loop: Header=BB4_1420 Depth=2
	v_and_b32_e32 v2, 8, v30
	v_add_nc_u64_e32 v[8:9], 2, v[114:115]
	s_mov_b32 s15, exec_lo
	s_wait_loadcnt_dscnt 0x1
	s_delay_alu instid0(VALU_DEP_2) | instskip(NEXT) | instid1(VALU_DEP_1)
	v_add_nc_u64_e32 v[10:11], v[50:51], v[2:3]
	v_cmpx_lt_u64_e64 v[10:11], v[8:9]
	s_cbranch_execz .LBB4_1435
; %bb.1424:                             ;   in Loop: Header=BB4_1420 Depth=2
	v_and_b32_e32 v10, 64, v30
	s_mov_b32 s40, 0
	s_mov_b32 s92, 0
                                        ; implicit-def: $sgpr41
                                        ; implicit-def: $sgpr90
                                        ; implicit-def: $sgpr91
	s_delay_alu instid0(VALU_DEP_1)
	v_cmp_eq_u32_e32 vcc_lo, 0, v10
	s_branch .LBB4_1428
.LBB4_1425:                             ;   in Loop: Header=BB4_1428 Depth=3
	s_wait_loadcnt_dscnt 0x0
	v_add_nc_u64_e32 v[18:19], v[50:51], v[2:3]
	s_or_b32 s95, s95, exec_lo
	s_delay_alu instid0(VALU_DEP_1)
	v_cmp_ge_u64_e64 s13, v[18:19], v[8:9]
	s_or_not1_b32 s94, s13, exec_lo
.LBB4_1426:                             ;   in Loop: Header=BB4_1428 Depth=3
	s_or_b32 exec_lo, exec_lo, s30
	s_delay_alu instid0(SALU_CYCLE_1)
	s_and_not1_b32 s13, s91, exec_lo
	s_and_b32 s91, s95, exec_lo
	s_and_not1_b32 s90, s90, exec_lo
	s_and_b32 s94, s94, exec_lo
	s_or_b32 s91, s13, s91
	s_or_b32 s90, s90, s94
.LBB4_1427:                             ;   in Loop: Header=BB4_1428 Depth=3
	s_or_b32 exec_lo, exec_lo, s93
	s_delay_alu instid0(SALU_CYCLE_1) | instskip(NEXT) | instid1(SALU_CYCLE_1)
	s_and_b32 s13, exec_lo, s90
	s_or_b32 s40, s13, s40
	s_and_not1_b32 s13, s41, exec_lo
	s_and_b32 s41, s91, exec_lo
	s_delay_alu instid0(SALU_CYCLE_1)
	s_or_b32 s41, s13, s41
	s_and_not1_b32 exec_lo, exec_lo, s40
	s_cbranch_execz .LBB4_1432
.LBB4_1428:                             ;   Parent Loop BB4_47 Depth=1
                                        ;     Parent Loop BB4_1420 Depth=2
                                        ; =>    This Inner Loop Header: Depth=3
	s_sleep 1
	s_wait_loadcnt_dscnt 0x0
	flat_load_b64 v[50:51], v[32:33] scope:SCOPE_SYS
	s_or_b32 s91, s91, exec_lo
	s_or_b32 s90, s90, exec_lo
                                        ; implicit-def: $vgpr10
	s_wait_xcnt 0x0
	s_and_saveexec_b32 s93, vcc_lo
	s_cbranch_execz .LBB4_1427
; %bb.1429:                             ;   in Loop: Header=BB4_1428 Depth=3
	s_cmp_lt_i32 s92, 0x270f
	s_mov_b32 s94, -1
	s_cselect_b32 vcc_hi, -1, 0
	s_cmp_gt_i32 s92, 0x270e
	s_cbranch_scc0 .LBB4_1431
; %bb.1430:                             ;   in Loop: Header=BB4_1428 Depth=3
	s_trap 2
	ds_load_b64 v[10:11], v0
	s_and_not1_b32 s92, vcc_hi, exec_lo
	s_mov_b32 s95, 0
	s_wait_storecnt 0x0
	s_wait_loadcnt_dscnt 0x0
	flat_load_b32 v10, v[10:11] scope:SCOPE_SYS
	s_wait_loadcnt_dscnt 0x0
	global_inv scope:SCOPE_SYS
	v_cmp_eq_u32_e64 s13, 0, v10
	s_and_b32 s13, s13, exec_lo
	s_delay_alu instid0(SALU_CYCLE_1)
	s_or_b32 vcc_hi, s92, s13
	s_mov_b32 s92, 0
	s_and_saveexec_b32 s30, vcc_hi
	s_cbranch_execz .LBB4_1426
	s_branch .LBB4_1425
.LBB4_1431:                             ;   in Loop: Header=BB4_1428 Depth=3
	s_add_co_i32 s92, s92, 1
	s_mov_b32 s95, -1
                                        ; implicit-def: $vgpr10
	s_and_saveexec_b32 s30, vcc_hi
	s_cbranch_execz .LBB4_1426
	s_branch .LBB4_1425
.LBB4_1432:                             ;   in Loop: Header=BB4_1420 Depth=2
	s_or_b32 exec_lo, exec_lo, s40
	s_xor_b32 s13, s41, -1
	s_delay_alu instid0(SALU_CYCLE_1) | instskip(NEXT) | instid1(SALU_CYCLE_1)
	s_and_saveexec_b32 s40, s13
	s_xor_b32 s13, exec_lo, s40
	s_cbranch_execz .LBB4_1434
; %bb.1433:                             ;   in Loop: Header=BB4_1420 Depth=2
	v_or_b32_e32 v30, 64, v30
	s_wait_storecnt 0x0
	s_wait_loadcnt_dscnt 0x0
	ds_store_b32 v0, v10
	s_trap 2
.LBB4_1434:                             ;   in Loop: Header=BB4_1420 Depth=2
	s_or_b32 exec_lo, exec_lo, s13
.LBB4_1435:                             ;   in Loop: Header=BB4_1420 Depth=2
	s_delay_alu instid0(SALU_CYCLE_1) | instskip(SKIP_2) | instid1(VALU_DEP_1)
	s_or_b32 exec_lo, exec_lo, s15
	v_and_b32_e32 v10, 0x108, v30
	;;#ASMSTART
	s_wakeup
	;;#ASMEND
	v_cmp_ne_u32_e32 vcc_lo, 0x108, v10
                                        ; implicit-def: $vgpr10_vgpr11
	s_and_saveexec_b32 s13, vcc_lo
	s_delay_alu instid0(SALU_CYCLE_1)
	s_xor_b32 s13, exec_lo, s13
; %bb.1436:                             ;   in Loop: Header=BB4_1420 Depth=2
	v_dual_mov_b32 v11, v3 :: v_dual_bitop2_b32 v10, 7, v114 bitop3:0x40
                                        ; implicit-def: $vgpr114_vgpr115
; %bb.1437:                             ;   in Loop: Header=BB4_1420 Depth=2
	s_and_not1_saveexec_b32 s13, s13
	s_cbranch_execz .LBB4_1439
; %bb.1438:                             ;   in Loop: Header=BB4_1420 Depth=2
	v_dual_ashrrev_i32 v13, 31, v12 :: v_dual_bitop2_b32 v10, 7, v114 bitop3:0x40
	v_mov_b32_e32 v11, v3
	s_delay_alu instid0(VALU_DEP_2) | instskip(NEXT) | instid1(VALU_DEP_3)
	v_mad_nc_u64_u32 v[18:19], v10, 24, v[6:7]
	v_lshlrev_b64_e32 v[20:21], 1, v[12:13]
	flat_store_b64 v[18:19], v[20:21] offset:8
.LBB4_1439:                             ;   in Loop: Header=BB4_1420 Depth=2
	s_wait_xcnt 0x0
	s_or_b32 exec_lo, exec_lo, s13
	v_and_b32_e32 v13, 0x100, v30
	s_mov_b32 s13, -1
	s_mov_b32 s15, exec_lo
                                        ; implicit-def: $vgpr18_vgpr19
	s_delay_alu instid0(VALU_DEP_1)
	v_cmpx_ne_u32_e32 0, v13
	s_cbranch_execz .LBB4_1443
; %bb.1440:                             ;   in Loop: Header=BB4_1420 Depth=2
	v_mad_nc_u64_u32 v[20:21], v10, 24, v[6:7]
	s_mov_b32 s40, exec_lo
                                        ; implicit-def: $vgpr18_vgpr19
	s_delay_alu instid0(VALU_DEP_1)
	v_mad_u32 v21, v11, 24, v21
	flat_load_b32 v13, v[20:21]
	s_wait_loadcnt_dscnt 0x0
	v_cmp_ne_u32_e32 vcc_lo, 1, v13
	s_wait_xcnt 0x0
	v_cmpx_eq_u32_e32 1, v13
	s_cbranch_execz .LBB4_1442
; %bb.1441:                             ;   in Loop: Header=BB4_1420 Depth=2
	flat_load_b32 v18, v[20:21] offset:4 scope:SCOPE_SYS
	s_wait_loadcnt_dscnt 0x0
	v_ashrrev_i32_e32 v19, 31, v18
	s_delay_alu instid0(VALU_DEP_1)
	v_lshrrev_b64 v[18:19], 1, v[18:19]
.LBB4_1442:                             ;   in Loop: Header=BB4_1420 Depth=2
	s_wait_xcnt 0x0
	s_or_b32 exec_lo, exec_lo, s40
	s_delay_alu instid0(SALU_CYCLE_1)
	s_or_not1_b32 s13, vcc_lo, exec_lo
.LBB4_1443:                             ;   in Loop: Header=BB4_1420 Depth=2
	s_or_b32 exec_lo, exec_lo, s15
	s_and_saveexec_b32 s15, s13
; %bb.1444:                             ;   in Loop: Header=BB4_1420 Depth=2
	v_mul_u64_e32 v[18:19], v[10:11], v[34:35]
; %bb.1445:                             ;   in Loop: Header=BB4_1420 Depth=2
	s_or_b32 exec_lo, exec_lo, s15
	v_cmp_eq_u32_e32 vcc_lo, 0, v2
	v_and_b32_e32 v13, 0x2000, v30
	s_delay_alu instid0(VALU_DEP_3) | instskip(SKIP_2) | instid1(VALU_DEP_1)
	v_lshl_add_u64 v[10:11], v[18:19], 1, v[36:37]
	s_mov_b32 s13, exec_lo
	v_cndmask_b32_e32 v2, 0xd0, v76, vcc_lo
	v_add_nc_u32_e32 v2, v0, v2
	ds_store_b64 v2, v[10:11] offset:584
	v_cmpx_ne_u32_e32 0, v13
	s_cbranch_execz .LBB4_1447
; %bb.1446:                             ;   in Loop: Header=BB4_1420 Depth=2
	ds_load_b64 v[10:11], v0 offset:872
	s_wait_dscnt 0x0
	v_add_nc_u64_e32 v[10:11], 1, v[10:11]
	ds_store_b64 v0, v[10:11] offset:872
.LBB4_1447:                             ;   in Loop: Header=BB4_1420 Depth=2
	s_or_b32 exec_lo, exec_lo, s13
	v_mov_b64_e32 v[114:115], v[8:9]
.LBB4_1448:                             ;   in Loop: Header=BB4_1420 Depth=2
	s_or_b32 exec_lo, exec_lo, s14
	s_and_saveexec_b32 s13, s2
	s_cbranch_execz .LBB4_1467
; %bb.1449:                             ;   in Loop: Header=BB4_1420 Depth=2
	s_and_saveexec_b32 s14, s3
	s_delay_alu instid0(SALU_CYCLE_1)
	s_xor_b32 s14, exec_lo, s14
	s_cbranch_execz .LBB4_1464
; %bb.1450:                             ;   in Loop: Header=BB4_1420 Depth=2
	s_and_saveexec_b32 s15, s6
	s_cbranch_execz .LBB4_1463
; %bb.1451:                             ;   in Loop: Header=BB4_1420 Depth=2
	s_mov_b32 s41, exec_lo
	s_mov_b32 s40, exec_lo
	v_mbcnt_lo_u32_b32 v2, s41, 0
	global_wb scope:SCOPE_DEV
	s_wait_storecnt 0x0
	s_wait_loadcnt_dscnt 0x0
	global_inv scope:SCOPE_DEV
	v_cmpx_eq_u32_e32 0, v2
	s_cbranch_execz .LBB4_1453
; %bb.1452:                             ;   in Loop: Header=BB4_1420 Depth=2
	s_bcnt1_i32_b32 s41, s41
	s_delay_alu instid0(SALU_CYCLE_1)
	v_mov_b32_e32 v2, s41
	s_wait_loadcnt 0x0
	ds_add_u64 v0, v[2:3]
	s_trap 2
.LBB4_1453:                             ;   in Loop: Header=BB4_1420 Depth=2
	s_or_b32 exec_lo, exec_lo, s40
	s_trap 2
	ds_load_b64 v[8:9], v0
	s_wait_dscnt 0x0
	v_add_nc_u64_e32 v[48:49], v[48:49], v[52:53]
	s_mov_b32 s40, exec_lo
	s_delay_alu instid0(VALU_DEP_1)
	v_cmpx_lt_u64_e64 v[8:9], v[48:49]
	s_cbranch_execz .LBB4_1462
; %bb.1454:                             ;   in Loop: Header=BB4_1420 Depth=2
	s_mov_b32 s41, 0
	s_mov_b32 s92, 0
                                        ; implicit-def: $sgpr90
                                        ; implicit-def: $sgpr91
	s_branch .LBB4_1456
.LBB4_1455:                             ;   in Loop: Header=BB4_1456 Depth=3
	s_or_b32 exec_lo, exec_lo, s94
	s_delay_alu instid0(SALU_CYCLE_1) | instskip(NEXT) | instid1(SALU_CYCLE_1)
	s_and_b32 s93, exec_lo, s95
	s_or_b32 s41, s93, s41
	s_and_not1_b32 s90, s90, exec_lo
	s_and_b32 s93, s91, exec_lo
	s_delay_alu instid0(SALU_CYCLE_1)
	s_or_b32 s90, s90, s93
	s_and_not1_b32 exec_lo, exec_lo, s41
	s_cbranch_execz .LBB4_1460
.LBB4_1456:                             ;   Parent Loop BB4_47 Depth=1
                                        ;     Parent Loop BB4_1420 Depth=2
                                        ; =>    This Inner Loop Header: Depth=3
	s_add_co_i32 s92, s92, 1
	s_delay_alu instid0(SALU_CYCLE_1) | instskip(SKIP_1) | instid1(SALU_CYCLE_1)
	s_cmp_lg_u32 s92, 0x2710
	s_cselect_b32 s93, -1, 0
	s_and_b32 vcc_lo, exec_lo, s93
	s_cbranch_vccz .LBB4_1458
; %bb.1457:                             ;   in Loop: Header=BB4_1456 Depth=3
	s_mov_b32 s95, -1
	s_or_b32 s91, s91, exec_lo
	s_and_saveexec_b32 s94, s93
	s_cbranch_execz .LBB4_1455
	s_branch .LBB4_1459
.LBB4_1458:                             ;   in Loop: Header=BB4_1456 Depth=3
	s_trap 2
	ds_load_b64 v[8:9], v0
	s_and_not1_b32 s93, s93, exec_lo
	s_mov_b32 s92, 0
	s_wait_loadcnt_dscnt 0x0
	flat_load_b32 v2, v[8:9] scope:SCOPE_SYS
	s_wait_loadcnt_dscnt 0x0
	global_inv scope:SCOPE_SYS
	v_cmp_eq_u32_e32 vcc_lo, 0, v2
	s_and_b32 s94, vcc_lo, exec_lo
	s_delay_alu instid0(SALU_CYCLE_1)
	s_or_b32 s93, s93, s94
	s_mov_b32 s95, -1
	s_or_b32 s91, s91, exec_lo
	s_and_saveexec_b32 s94, s93
	s_cbranch_execz .LBB4_1455
.LBB4_1459:                             ;   in Loop: Header=BB4_1456 Depth=3
	s_sleep 1
	s_trap 2
	ds_load_b64 v[8:9], v0
	s_wait_dscnt 0x0
	s_and_not1_b32 s91, s91, exec_lo
	v_cmp_ge_u64_e32 vcc_lo, v[8:9], v[48:49]
	s_or_not1_b32 s95, vcc_lo, exec_lo
	s_branch .LBB4_1455
.LBB4_1460:                             ;   in Loop: Header=BB4_1420 Depth=2
	s_or_b32 exec_lo, exec_lo, s41
	s_and_saveexec_b32 s41, s90
	s_delay_alu instid0(SALU_CYCLE_1)
	s_xor_b32 s41, exec_lo, s41
	s_cbranch_execz .LBB4_1462
; %bb.1461:                             ;   in Loop: Header=BB4_1420 Depth=2
	ds_store_b32 v0, v75
	s_trap 2
.LBB4_1462:                             ;   in Loop: Header=BB4_1420 Depth=2
	s_or_b32 exec_lo, exec_lo, s40
	;;#ASMSTART
	s_wakeup
	;;#ASMEND
.LBB4_1463:                             ;   in Loop: Header=BB4_1420 Depth=2
	s_or_b32 exec_lo, exec_lo, s15
.LBB4_1464:                             ;   in Loop: Header=BB4_1420 Depth=2
	s_and_not1_saveexec_b32 s14, s14
	s_cbranch_execz .LBB4_1466
; %bb.1465:                             ;   in Loop: Header=BB4_1420 Depth=2
	global_wb scope:SCOPE_DEV
	s_wait_storecnt 0x0
	s_wait_loadcnt_dscnt 0x0
	global_inv scope:SCOPE_DEV
	s_barrier_signal -1
	s_barrier_wait -1
.LBB4_1466:                             ;   in Loop: Header=BB4_1420 Depth=2
	s_or_b32 exec_lo, exec_lo, s14
.LBB4_1467:                             ;   in Loop: Header=BB4_1420 Depth=2
	s_delay_alu instid0(SALU_CYCLE_1) | instskip(SKIP_4) | instid1(VALU_DEP_1)
	s_or_b32 exec_lo, exec_lo, s13
	s_trap 2
	ds_load_b32 v8, v0
	v_and_b32_e32 v2, 0x4000, v30
	s_xor_b32 s13, s1, -1
	v_cmp_ne_u32_e32 vcc_lo, 0, v2
	s_and_b32 s14, s13, vcc_lo
	s_delay_alu instid0(SALU_CYCLE_1)
	s_and_saveexec_b32 s13, s14
	s_cbranch_execz .LBB4_1486
; %bb.1468:                             ;   in Loop: Header=BB4_1420 Depth=2
	s_and_saveexec_b32 s14, s3
	s_delay_alu instid0(SALU_CYCLE_1)
	s_xor_b32 s14, exec_lo, s14
	s_cbranch_execz .LBB4_1483
; %bb.1469:                             ;   in Loop: Header=BB4_1420 Depth=2
	s_and_saveexec_b32 s15, s6
	s_cbranch_execz .LBB4_1482
; %bb.1470:                             ;   in Loop: Header=BB4_1420 Depth=2
	s_mov_b32 s41, exec_lo
	s_mov_b32 s40, exec_lo
	v_mbcnt_lo_u32_b32 v2, s41, 0
	global_wb scope:SCOPE_DEV
	s_wait_storecnt 0x0
	s_wait_loadcnt_dscnt 0x0
	global_inv scope:SCOPE_DEV
	v_cmpx_eq_u32_e32 0, v2
	s_cbranch_execz .LBB4_1472
; %bb.1471:                             ;   in Loop: Header=BB4_1420 Depth=2
	s_bcnt1_i32_b32 s41, s41
	s_delay_alu instid0(SALU_CYCLE_1)
	v_mov_b32_e32 v2, s41
	s_wait_loadcnt 0x0
	ds_add_u64 v0, v[2:3]
	s_trap 2
.LBB4_1472:                             ;   in Loop: Header=BB4_1420 Depth=2
	s_or_b32 exec_lo, exec_lo, s40
	s_trap 2
	ds_load_b64 v[10:11], v0
	s_wait_dscnt 0x0
	v_add_nc_u64_e32 v[48:49], v[48:49], v[52:53]
	s_mov_b32 s40, exec_lo
	s_delay_alu instid0(VALU_DEP_1)
	v_cmpx_lt_u64_e64 v[10:11], v[48:49]
	s_cbranch_execz .LBB4_1481
; %bb.1473:                             ;   in Loop: Header=BB4_1420 Depth=2
	s_mov_b32 s41, 0
	s_mov_b32 s92, 0
                                        ; implicit-def: $sgpr90
                                        ; implicit-def: $sgpr91
	s_branch .LBB4_1475
.LBB4_1474:                             ;   in Loop: Header=BB4_1475 Depth=3
	s_or_b32 exec_lo, exec_lo, s94
	s_delay_alu instid0(SALU_CYCLE_1) | instskip(NEXT) | instid1(SALU_CYCLE_1)
	s_and_b32 s93, exec_lo, s95
	s_or_b32 s41, s93, s41
	s_and_not1_b32 s90, s90, exec_lo
	s_and_b32 s93, s91, exec_lo
	s_delay_alu instid0(SALU_CYCLE_1)
	s_or_b32 s90, s90, s93
	s_and_not1_b32 exec_lo, exec_lo, s41
	s_cbranch_execz .LBB4_1479
.LBB4_1475:                             ;   Parent Loop BB4_47 Depth=1
                                        ;     Parent Loop BB4_1420 Depth=2
                                        ; =>    This Inner Loop Header: Depth=3
	s_add_co_i32 s92, s92, 1
	s_delay_alu instid0(SALU_CYCLE_1) | instskip(SKIP_1) | instid1(SALU_CYCLE_1)
	s_cmp_lg_u32 s92, 0x2710
	s_cselect_b32 s93, -1, 0
	s_and_b32 vcc_lo, exec_lo, s93
	s_cbranch_vccz .LBB4_1477
; %bb.1476:                             ;   in Loop: Header=BB4_1475 Depth=3
	s_mov_b32 s95, -1
	s_or_b32 s91, s91, exec_lo
	s_and_saveexec_b32 s94, s93
	s_cbranch_execz .LBB4_1474
	s_branch .LBB4_1478
.LBB4_1477:                             ;   in Loop: Header=BB4_1475 Depth=3
	s_trap 2
	ds_load_b64 v[10:11], v0
	s_and_not1_b32 s93, s93, exec_lo
	s_mov_b32 s92, 0
	s_wait_loadcnt_dscnt 0x0
	flat_load_b32 v2, v[10:11] scope:SCOPE_SYS
	s_wait_loadcnt_dscnt 0x0
	global_inv scope:SCOPE_SYS
	v_cmp_eq_u32_e32 vcc_lo, 0, v2
	s_and_b32 s94, vcc_lo, exec_lo
	s_delay_alu instid0(SALU_CYCLE_1)
	s_or_b32 s93, s93, s94
	s_mov_b32 s95, -1
	s_or_b32 s91, s91, exec_lo
	s_and_saveexec_b32 s94, s93
	s_cbranch_execz .LBB4_1474
.LBB4_1478:                             ;   in Loop: Header=BB4_1475 Depth=3
	s_sleep 1
	s_trap 2
	ds_load_b64 v[10:11], v0
	s_wait_dscnt 0x0
	s_and_not1_b32 s91, s91, exec_lo
	v_cmp_ge_u64_e32 vcc_lo, v[10:11], v[48:49]
	s_or_not1_b32 s95, vcc_lo, exec_lo
	s_branch .LBB4_1474
.LBB4_1479:                             ;   in Loop: Header=BB4_1420 Depth=2
	s_or_b32 exec_lo, exec_lo, s41
	s_and_saveexec_b32 s41, s90
	s_delay_alu instid0(SALU_CYCLE_1)
	s_xor_b32 s41, exec_lo, s41
	s_cbranch_execz .LBB4_1481
; %bb.1480:                             ;   in Loop: Header=BB4_1420 Depth=2
	ds_store_b32 v0, v75
	s_trap 2
.LBB4_1481:                             ;   in Loop: Header=BB4_1420 Depth=2
	s_or_b32 exec_lo, exec_lo, s40
	;;#ASMSTART
	s_wakeup
	;;#ASMEND
.LBB4_1482:                             ;   in Loop: Header=BB4_1420 Depth=2
	s_or_b32 exec_lo, exec_lo, s15
.LBB4_1483:                             ;   in Loop: Header=BB4_1420 Depth=2
	s_and_not1_saveexec_b32 s14, s14
	s_cbranch_execz .LBB4_1485
; %bb.1484:                             ;   in Loop: Header=BB4_1420 Depth=2
	global_wb scope:SCOPE_DEV
	s_wait_storecnt 0x0
	s_wait_loadcnt_dscnt 0x0
	global_inv scope:SCOPE_DEV
	s_barrier_signal -1
	s_barrier_wait -1
.LBB4_1485:                             ;   in Loop: Header=BB4_1420 Depth=2
	s_or_b32 exec_lo, exec_lo, s14
.LBB4_1486:                             ;   in Loop: Header=BB4_1420 Depth=2
	s_delay_alu instid0(SALU_CYCLE_1)
	s_or_b32 exec_lo, exec_lo, s13
	s_trap 2
	ds_load_b64 v[18:19], v0
	s_wait_dscnt 0x0
	v_cmp_eq_u64_e32 vcc_lo, 0, v[18:19]
	s_cbranch_vccnz .LBB4_1639
; %bb.1487:                             ;   in Loop: Header=BB4_1420 Depth=2
	s_trap 2
	ds_load_b64 v[20:21], v0
	s_wait_dscnt 0x0
	v_cmp_eq_u64_e32 vcc_lo, 0, v[20:21]
	s_cbranch_vccnz .LBB4_1639
; %bb.1488:                             ;   in Loop: Header=BB4_1420 Depth=2
	s_trap 2
	ds_load_b64 v[22:23], v0
	v_cmp_eq_u32_e32 vcc_lo, 0, v8
	s_mov_b32 s13, -1
	v_cndmask_b32_e32 v2, 0, v12, vcc_lo
	s_delay_alu instid0(VALU_DEP_1)
	v_lshlrev_b32_e32 v13, 1, v2
	s_wait_dscnt 0x0
	v_cmp_ne_u64_e32 vcc_lo, 0, v[22:23]
	s_cbranch_vccz .LBB4_2080
; %bb.1489:                             ;   in Loop: Header=BB4_1420 Depth=2
	s_and_saveexec_b32 s14, s11
	s_cbranch_execz .LBB4_1491
; %bb.1490:                             ;   in Loop: Header=BB4_1420 Depth=2
	ds_load_b32 v8, v0 offset:720
	s_wait_dscnt 0x0
	v_and_b32_e32 v8, 15, v8
	s_delay_alu instid0(VALU_DEP_1)
	v_cmp_eq_u32_e32 vcc_lo, 0, v8
	s_or_not1_b32 s13, vcc_lo, exec_lo
.LBB4_1491:                             ;   in Loop: Header=BB4_1420 Depth=2
	s_or_b32 exec_lo, exec_lo, s14
	s_and_saveexec_b32 s14, s11
	s_cbranch_execz .LBB4_1493
; %bb.1492:                             ;   in Loop: Header=BB4_1420 Depth=2
	ds_load_b32 v8, v0 offset:784
	s_wait_dscnt 0x0
	v_and_b32_e32 v8, 15, v8
	s_delay_alu instid0(VALU_DEP_1) | instskip(SKIP_3) | instid1(SALU_CYCLE_1)
	v_cmp_eq_u32_e32 vcc_lo, 0, v8
	s_and_b32 s15, s13, vcc_lo
	s_and_not1_b32 s13, s13, exec_lo
	s_and_b32 s15, s15, exec_lo
	s_or_b32 s13, s13, s15
.LBB4_1493:                             ;   in Loop: Header=BB4_1420 Depth=2
	s_or_b32 exec_lo, exec_lo, s14
	s_xor_b32 s13, s13, -1
	s_delay_alu instid0(SALU_CYCLE_1) | instskip(SKIP_1) | instid1(VALU_DEP_1)
	v_cndmask_b32_e64 v8, 0, 1, s13
	s_mov_b32 s13, -1
	v_cmp_ne_u32_e32 vcc_lo, 0, v8
	s_cbranch_vccz .LBB4_1640
; %bb.1494:                             ;   in Loop: Header=BB4_1420 Depth=2
	s_mov_b32 s90, -1
	v_mov_b32_e32 v57, 0
	s_cbranch_execnz .LBB4_1641
.LBB4_1495:                             ;   in Loop: Header=BB4_1420 Depth=2
	v_dual_ashrrev_i32 v8, 31, v13 :: v_dual_sub_nc_u32 v15, v13, v64
	s_trap 2
	ds_load_b64 v[40:41], v0
	v_add_nc_u64_e32 v[42:43], v[20:21], v[64:65]
	v_lshrrev_b32_e32 v8, 23, v8
	v_add_nc_u64_e32 v[44:45], v[22:23], v[64:65]
	s_mov_b32 s14, 0
	s_mov_b32 s91, exec_lo
	s_delay_alu instid0(VALU_DEP_2) | instskip(NEXT) | instid1(VALU_DEP_1)
	v_add_nc_u32_e32 v8, v13, v8
	v_and_b32_e32 v61, 0xfffffe00, v8
	s_delay_alu instid0(VALU_DEP_1) | instskip(NEXT) | instid1(VALU_DEP_1)
	v_dual_ashrrev_i32 v8, 9, v8 :: v_dual_sub_nc_u32 v62, v13, v61
	v_sub_nc_u32_e32 v8, v8, v74
	s_delay_alu instid0(VALU_DEP_2) | instskip(NEXT) | instid1(VALU_DEP_1)
	v_cmp_lt_i32_e64 s13, 15, v62
	v_add_co_ci_u32_e64 v63, null, 0, v8, s13
	v_cmpx_lt_i32_e32 15, v15
	s_cbranch_execz .LBB4_1643
; %bb.1496:                             ;   in Loop: Header=BB4_1420 Depth=2
	s_trap 2
	ds_load_b32 v8, v0
	v_add_nc_u64_e32 v[46:47], v[18:19], v[64:65]
	s_wait_dscnt 0x1
	v_add_nc_u64_e32 v[56:57], v[40:41], v[64:65]
	s_mov_b32 s94, 0
	s_mov_b32 s92, 0
                                        ; implicit-def: $sgpr93
	s_wait_dscnt 0x0
	v_lshlrev_b32_e32 v88, 16, v8
	s_branch .LBB4_1498
.LBB4_1497:                             ;   in Loop: Header=BB4_1498 Depth=3
	s_or_b32 exec_lo, exec_lo, s14
	s_delay_alu instid0(VALU_DEP_2) | instskip(SKIP_3) | instid1(SALU_CYCLE_1)
	v_cmp_gt_i32_e32 vcc_lo, 16, v15
	s_or_b32 s92, vcc_lo, s92
	s_and_not1_b32 s14, s93, exec_lo
	s_and_b32 s15, s94, exec_lo
	s_or_b32 s93, s14, s15
	s_and_not1_b32 exec_lo, exec_lo, s92
	s_cbranch_execz .LBB4_1642
.LBB4_1498:                             ;   Parent Loop BB4_47 Depth=1
                                        ;     Parent Loop BB4_1420 Depth=2
                                        ; =>    This Loop Header: Depth=3
                                        ;         Child Loop BB4_1499 Depth 4
                                        ;         Child Loop BB4_1566 Depth 4
	;; [unrolled: 1-line block ×4, first 2 shown]
	s_add_co_i32 s14, s33, 0xa0
	s_mov_b64 s[40:41], 0
	s_mov_b32 s95, s14
	s_mov_b32 vcc_hi, -1
.LBB4_1499:                             ;   Parent Loop BB4_47 Depth=1
                                        ;     Parent Loop BB4_1420 Depth=2
                                        ;       Parent Loop BB4_1498 Depth=3
                                        ; =>      This Inner Loop Header: Depth=4
	s_cmp_eq_u32 s40, 1
	s_cselect_b32 vcc_lo, -1, 0
	s_cmp_eq_u32 s40, 0
	v_dual_cndmask_b32 v59, v47, v57 :: v_dual_cndmask_b32 v58, v46, v56
	s_cselect_b32 s14, -1, 0
	s_and_b32 s15, exec_lo, vcc_hi
	s_mov_b64 s[40:41], 1
	s_mov_b32 vcc_hi, 0
	global_load_b128 v[8:11], v[58:59], off th:TH_LOAD_NT
	s_wait_xcnt 0x0
	v_add_nc_u64_e32 v[58:59], 0x200, v[58:59]
	s_delay_alu instid0(VALU_DEP_1)
	v_dual_cndmask_b32 v47, v47, v59, s14 :: v_dual_cndmask_b32 v46, v46, v58, s14
	v_dual_cndmask_b32 v57, v57, v59 :: v_dual_cndmask_b32 v56, v56, v58
	s_mov_b32 vcc_lo, s15
	s_wait_loadcnt 0x0
	scratch_store_b128 off, v[8:11], s95
	s_wait_xcnt 0x0
	s_mov_b32 s95, s60
	s_cbranch_vccnz .LBB4_1499
; %bb.1500:                             ;   in Loop: Header=BB4_1498 Depth=3
	s_and_saveexec_b32 s95, s94
	s_cbranch_execz .LBB4_1568
; %bb.1501:                             ;   in Loop: Header=BB4_1498 Depth=3
	scratch_load_b128 v[8:11], off, s33 offset:192
	s_wait_loadcnt 0x0
	v_lshlrev_b32_e32 v58, 16, v8
	s_delay_alu instid0(VALU_DEP_1) | instskip(NEXT) | instid1(VALU_DEP_1)
	v_mul_f32_e32 v58, v88, v58
	v_and_b32_e32 v59, 0x7f800000, v58
	s_delay_alu instid0(VALU_DEP_1) | instskip(SKIP_2) | instid1(SALU_CYCLE_1)
	v_cmp_ne_u32_e32 vcc_lo, 0x7f800000, v59
                                        ; implicit-def: $vgpr59
	s_wait_xcnt 0x0
	s_and_saveexec_b32 s14, vcc_lo
	s_xor_b32 s14, exec_lo, s14
; %bb.1502:                             ;   in Loop: Header=BB4_1498 Depth=3
	v_bfe_u32 v59, v58, 16, 1
	s_delay_alu instid0(VALU_DEP_1)
	v_add3_u32 v59, v58, v59, 0x7fff
                                        ; implicit-def: $vgpr58
; %bb.1503:                             ;   in Loop: Header=BB4_1498 Depth=3
	s_and_not1_saveexec_b32 s14, s14
; %bb.1504:                             ;   in Loop: Header=BB4_1498 Depth=3
	v_and_b32_e32 v59, 0xffff, v58
	v_or_b32_e32 v89, 0x10000, v58
	s_delay_alu instid0(VALU_DEP_2) | instskip(NEXT) | instid1(VALU_DEP_2)
	v_cmp_eq_u32_e32 vcc_lo, 0, v59
	v_cndmask_b32_e32 v59, v89, v58, vcc_lo
; %bb.1505:                             ;   in Loop: Header=BB4_1498 Depth=3
	s_or_b32 exec_lo, exec_lo, s14
	v_and_b32_e32 v8, 0xffff0000, v8
	s_delay_alu instid0(VALU_DEP_1) | instskip(NEXT) | instid1(VALU_DEP_1)
	v_mul_f32_e32 v8, v88, v8
	v_and_b32_e32 v58, 0x7f800000, v8
	s_delay_alu instid0(VALU_DEP_1) | instskip(SKIP_1) | instid1(SALU_CYCLE_1)
	v_cmp_ne_u32_e32 vcc_lo, 0x7f800000, v58
                                        ; implicit-def: $vgpr58
	s_and_saveexec_b32 s14, vcc_lo
	s_xor_b32 s14, exec_lo, s14
; %bb.1506:                             ;   in Loop: Header=BB4_1498 Depth=3
	v_bfe_u32 v58, v8, 16, 1
	s_delay_alu instid0(VALU_DEP_1)
	v_add3_u32 v58, v8, v58, 0x7fff
                                        ; implicit-def: $vgpr8
; %bb.1507:                             ;   in Loop: Header=BB4_1498 Depth=3
	s_and_not1_saveexec_b32 s14, s14
; %bb.1508:                             ;   in Loop: Header=BB4_1498 Depth=3
	v_and_b32_e32 v58, 0xffff, v8
	v_or_b32_e32 v89, 0x10000, v8
	s_delay_alu instid0(VALU_DEP_2) | instskip(NEXT) | instid1(VALU_DEP_2)
	v_cmp_eq_u32_e32 vcc_lo, 0, v58
	v_cndmask_b32_e32 v58, v89, v8, vcc_lo
; %bb.1509:                             ;   in Loop: Header=BB4_1498 Depth=3
	s_or_b32 exec_lo, exec_lo, s14
	v_lshlrev_b32_e32 v8, 16, v9
	s_mov_b32 s14, exec_lo
                                        ; implicit-def: $vgpr95
	s_delay_alu instid0(VALU_DEP_1) | instskip(NEXT) | instid1(VALU_DEP_1)
	v_mul_f32_e32 v8, v88, v8
	v_and_b32_e32 v89, 0x7f800000, v8
	s_delay_alu instid0(VALU_DEP_1)
	v_cmpx_ne_u32_e32 0x7f800000, v89
	s_xor_b32 s14, exec_lo, s14
; %bb.1510:                             ;   in Loop: Header=BB4_1498 Depth=3
	v_bfe_u32 v89, v8, 16, 1
	s_delay_alu instid0(VALU_DEP_1)
	v_add3_u32 v95, v8, v89, 0x7fff
                                        ; implicit-def: $vgpr8
; %bb.1511:                             ;   in Loop: Header=BB4_1498 Depth=3
	s_and_not1_saveexec_b32 s14, s14
; %bb.1512:                             ;   in Loop: Header=BB4_1498 Depth=3
	v_and_b32_e32 v89, 0xffff, v8
	v_or_b32_e32 v90, 0x10000, v8
	s_delay_alu instid0(VALU_DEP_2) | instskip(NEXT) | instid1(VALU_DEP_2)
	v_cmp_eq_u32_e32 vcc_lo, 0, v89
	v_cndmask_b32_e32 v95, v90, v8, vcc_lo
; %bb.1513:                             ;   in Loop: Header=BB4_1498 Depth=3
	s_or_b32 exec_lo, exec_lo, s14
	v_and_b32_e32 v8, 0xffff0000, v9
	s_mov_b32 s14, exec_lo
                                        ; implicit-def: $vgpr93
	s_delay_alu instid0(VALU_DEP_1) | instskip(NEXT) | instid1(VALU_DEP_1)
	v_mul_f32_e32 v8, v88, v8
	v_and_b32_e32 v9, 0x7f800000, v8
	s_delay_alu instid0(VALU_DEP_1)
	v_cmpx_ne_u32_e32 0x7f800000, v9
	s_xor_b32 s14, exec_lo, s14
; %bb.1514:                             ;   in Loop: Header=BB4_1498 Depth=3
	v_bfe_u32 v9, v8, 16, 1
	s_delay_alu instid0(VALU_DEP_1)
	v_add3_u32 v93, v8, v9, 0x7fff
                                        ; implicit-def: $vgpr8
; %bb.1515:                             ;   in Loop: Header=BB4_1498 Depth=3
	s_and_not1_saveexec_b32 s14, s14
; %bb.1516:                             ;   in Loop: Header=BB4_1498 Depth=3
	v_and_b32_e32 v9, 0xffff, v8
	v_or_b32_e32 v89, 0x10000, v8
	s_delay_alu instid0(VALU_DEP_2) | instskip(NEXT) | instid1(VALU_DEP_2)
	v_cmp_eq_u32_e32 vcc_lo, 0, v9
	v_cndmask_b32_e32 v93, v89, v8, vcc_lo
; %bb.1517:                             ;   in Loop: Header=BB4_1498 Depth=3
	s_or_b32 exec_lo, exec_lo, s14
	v_lshlrev_b32_e32 v8, 16, v10
	s_mov_b32 s14, exec_lo
                                        ; implicit-def: $vgpr94
	s_delay_alu instid0(VALU_DEP_1) | instskip(NEXT) | instid1(VALU_DEP_1)
	v_mul_f32_e32 v8, v88, v8
	v_and_b32_e32 v9, 0x7f800000, v8
	s_delay_alu instid0(VALU_DEP_1)
	v_cmpx_ne_u32_e32 0x7f800000, v9
	s_xor_b32 s14, exec_lo, s14
; %bb.1518:                             ;   in Loop: Header=BB4_1498 Depth=3
	v_bfe_u32 v9, v8, 16, 1
	s_delay_alu instid0(VALU_DEP_1)
	v_add3_u32 v94, v8, v9, 0x7fff
                                        ; implicit-def: $vgpr8
; %bb.1519:                             ;   in Loop: Header=BB4_1498 Depth=3
	s_and_not1_saveexec_b32 s14, s14
; %bb.1520:                             ;   in Loop: Header=BB4_1498 Depth=3
	v_and_b32_e32 v9, 0xffff, v8
	v_or_b32_e32 v89, 0x10000, v8
	s_delay_alu instid0(VALU_DEP_2) | instskip(NEXT) | instid1(VALU_DEP_2)
	v_cmp_eq_u32_e32 vcc_lo, 0, v9
	v_cndmask_b32_e32 v94, v89, v8, vcc_lo
; %bb.1521:                             ;   in Loop: Header=BB4_1498 Depth=3
	s_or_b32 exec_lo, exec_lo, s14
	v_and_b32_e32 v8, 0xffff0000, v10
	s_mov_b32 s14, exec_lo
                                        ; implicit-def: $vgpr91
	s_delay_alu instid0(VALU_DEP_1) | instskip(NEXT) | instid1(VALU_DEP_1)
	v_mul_f32_e32 v8, v88, v8
	v_and_b32_e32 v9, 0x7f800000, v8
	s_delay_alu instid0(VALU_DEP_1)
	v_cmpx_ne_u32_e32 0x7f800000, v9
	s_xor_b32 s14, exec_lo, s14
; %bb.1522:                             ;   in Loop: Header=BB4_1498 Depth=3
	v_bfe_u32 v9, v8, 16, 1
	s_delay_alu instid0(VALU_DEP_1)
	v_add3_u32 v91, v8, v9, 0x7fff
                                        ; implicit-def: $vgpr8
; %bb.1523:                             ;   in Loop: Header=BB4_1498 Depth=3
	s_and_not1_saveexec_b32 s14, s14
; %bb.1524:                             ;   in Loop: Header=BB4_1498 Depth=3
	v_and_b32_e32 v9, 0xffff, v8
	v_or_b32_e32 v10, 0x10000, v8
	s_delay_alu instid0(VALU_DEP_2) | instskip(NEXT) | instid1(VALU_DEP_2)
	v_cmp_eq_u32_e32 vcc_lo, 0, v9
	v_cndmask_b32_e32 v91, v10, v8, vcc_lo
; %bb.1525:                             ;   in Loop: Header=BB4_1498 Depth=3
	s_or_b32 exec_lo, exec_lo, s14
	v_lshlrev_b32_e32 v8, 16, v11
	s_mov_b32 s14, exec_lo
                                        ; implicit-def: $vgpr92
	s_delay_alu instid0(VALU_DEP_1) | instskip(NEXT) | instid1(VALU_DEP_1)
	v_mul_f32_e32 v8, v88, v8
	v_and_b32_e32 v9, 0x7f800000, v8
	s_delay_alu instid0(VALU_DEP_1)
	v_cmpx_ne_u32_e32 0x7f800000, v9
	s_xor_b32 s14, exec_lo, s14
; %bb.1526:                             ;   in Loop: Header=BB4_1498 Depth=3
	v_bfe_u32 v9, v8, 16, 1
	s_delay_alu instid0(VALU_DEP_1)
	v_add3_u32 v92, v8, v9, 0x7fff
                                        ; implicit-def: $vgpr8
; %bb.1527:                             ;   in Loop: Header=BB4_1498 Depth=3
	s_and_not1_saveexec_b32 s14, s14
; %bb.1528:                             ;   in Loop: Header=BB4_1498 Depth=3
	v_and_b32_e32 v9, 0xffff, v8
	v_or_b32_e32 v10, 0x10000, v8
	s_delay_alu instid0(VALU_DEP_2) | instskip(NEXT) | instid1(VALU_DEP_2)
	v_cmp_eq_u32_e32 vcc_lo, 0, v9
	v_cndmask_b32_e32 v92, v10, v8, vcc_lo
; %bb.1529:                             ;   in Loop: Header=BB4_1498 Depth=3
	s_or_b32 exec_lo, exec_lo, s14
	v_and_b32_e32 v8, 0xffff0000, v11
	s_mov_b32 s14, exec_lo
                                        ; implicit-def: $vgpr89
	s_delay_alu instid0(VALU_DEP_1) | instskip(NEXT) | instid1(VALU_DEP_1)
	v_mul_f32_e32 v8, v88, v8
	v_and_b32_e32 v9, 0x7f800000, v8
	s_delay_alu instid0(VALU_DEP_1)
	v_cmpx_ne_u32_e32 0x7f800000, v9
	s_xor_b32 s14, exec_lo, s14
; %bb.1530:                             ;   in Loop: Header=BB4_1498 Depth=3
	v_bfe_u32 v9, v8, 16, 1
	s_delay_alu instid0(VALU_DEP_1)
	v_add3_u32 v89, v8, v9, 0x7fff
                                        ; implicit-def: $vgpr8
; %bb.1531:                             ;   in Loop: Header=BB4_1498 Depth=3
	s_and_not1_saveexec_b32 s14, s14
; %bb.1532:                             ;   in Loop: Header=BB4_1498 Depth=3
	v_and_b32_e32 v9, 0xffff, v8
	v_or_b32_e32 v10, 0x10000, v8
	s_delay_alu instid0(VALU_DEP_2) | instskip(NEXT) | instid1(VALU_DEP_2)
	v_cmp_eq_u32_e32 vcc_lo, 0, v9
	v_cndmask_b32_e32 v89, v10, v8, vcc_lo
; %bb.1533:                             ;   in Loop: Header=BB4_1498 Depth=3
	s_or_b32 exec_lo, exec_lo, s14
	scratch_load_b128 v[8:11], off, s33 offset:208
	v_and_b32_e32 v59, 0xffff0000, v59
	s_wait_loadcnt 0x0
	v_lshlrev_b32_e32 v90, 16, v8
	s_delay_alu instid0(VALU_DEP_1) | instskip(NEXT) | instid1(VALU_DEP_1)
	v_add_f32_e32 v59, v59, v90
	v_and_b32_e32 v90, 0x7f800000, v59
	s_delay_alu instid0(VALU_DEP_1) | instskip(SKIP_2) | instid1(SALU_CYCLE_1)
	v_cmp_ne_u32_e32 vcc_lo, 0x7f800000, v90
                                        ; implicit-def: $vgpr90
	s_wait_xcnt 0x0
	s_and_saveexec_b32 s14, vcc_lo
	s_xor_b32 s14, exec_lo, s14
; %bb.1534:                             ;   in Loop: Header=BB4_1498 Depth=3
	v_bfe_u32 v90, v59, 16, 1
	s_delay_alu instid0(VALU_DEP_1)
	v_add3_u32 v90, v59, v90, 0x7fff
                                        ; implicit-def: $vgpr59
; %bb.1535:                             ;   in Loop: Header=BB4_1498 Depth=3
	s_and_not1_saveexec_b32 s14, s14
; %bb.1536:                             ;   in Loop: Header=BB4_1498 Depth=3
	v_and_b32_e32 v90, 0xffff, v59
	v_or_b32_e32 v104, 0x10000, v59
	s_delay_alu instid0(VALU_DEP_2) | instskip(NEXT) | instid1(VALU_DEP_2)
	v_cmp_eq_u32_e32 vcc_lo, 0, v90
	v_cndmask_b32_e32 v90, v104, v59, vcc_lo
; %bb.1537:                             ;   in Loop: Header=BB4_1498 Depth=3
	s_or_b32 exec_lo, exec_lo, s14
	v_and_b32_e32 v59, 0xffff0000, v8
	v_and_b32_e32 v58, 0xffff0000, v58
	s_delay_alu instid0(VALU_DEP_2) | instskip(NEXT) | instid1(VALU_DEP_1)
	v_mov_b32_e32 v8, v59
	v_pk_add_f32 v[58:59], v[8:9], v[58:59]
	s_delay_alu instid0(VALU_DEP_1) | instskip(NEXT) | instid1(VALU_DEP_1)
	v_and_b32_e32 v8, 0x7f800000, v58
	v_cmp_ne_u32_e32 vcc_lo, 0x7f800000, v8
                                        ; implicit-def: $vgpr8
	s_and_saveexec_b32 s14, vcc_lo
	s_delay_alu instid0(SALU_CYCLE_1)
	s_xor_b32 s14, exec_lo, s14
; %bb.1538:                             ;   in Loop: Header=BB4_1498 Depth=3
	v_bfe_u32 v8, v58, 16, 1
	s_delay_alu instid0(VALU_DEP_1)
	v_add3_u32 v8, v58, v8, 0x7fff
                                        ; implicit-def: $vgpr58_vgpr59
; %bb.1539:                             ;   in Loop: Header=BB4_1498 Depth=3
	s_and_not1_saveexec_b32 s14, s14
; %bb.1540:                             ;   in Loop: Header=BB4_1498 Depth=3
	v_and_b32_e32 v8, 0xffff, v58
	v_or_b32_e32 v59, 0x10000, v58
	s_delay_alu instid0(VALU_DEP_2) | instskip(NEXT) | instid1(VALU_DEP_2)
	v_cmp_eq_u32_e32 vcc_lo, 0, v8
	v_cndmask_b32_e32 v8, v59, v58, vcc_lo
; %bb.1541:                             ;   in Loop: Header=BB4_1498 Depth=3
	s_or_b32 exec_lo, exec_lo, s14
	v_and_b32_e32 v58, 0xffff0000, v95
	v_lshlrev_b32_e32 v59, 16, v9
	s_delay_alu instid0(VALU_DEP_1) | instskip(NEXT) | instid1(VALU_DEP_1)
	v_add_f32_e32 v59, v58, v59
	v_and_b32_e32 v58, 0x7f800000, v59
	s_delay_alu instid0(VALU_DEP_1) | instskip(SKIP_1) | instid1(SALU_CYCLE_1)
	v_cmp_ne_u32_e32 vcc_lo, 0x7f800000, v58
                                        ; implicit-def: $vgpr58
	s_and_saveexec_b32 s14, vcc_lo
	s_xor_b32 s14, exec_lo, s14
; %bb.1542:                             ;   in Loop: Header=BB4_1498 Depth=3
	v_bfe_u32 v58, v59, 16, 1
	s_delay_alu instid0(VALU_DEP_1)
	v_add3_u32 v58, v59, v58, 0x7fff
                                        ; implicit-def: $vgpr59
; %bb.1543:                             ;   in Loop: Header=BB4_1498 Depth=3
	s_and_not1_saveexec_b32 s14, s14
; %bb.1544:                             ;   in Loop: Header=BB4_1498 Depth=3
	v_and_b32_e32 v58, 0xffff, v59
	v_or_b32_e32 v95, 0x10000, v59
	s_delay_alu instid0(VALU_DEP_2) | instskip(NEXT) | instid1(VALU_DEP_2)
	v_cmp_eq_u32_e32 vcc_lo, 0, v58
	v_cndmask_b32_e32 v58, v95, v59, vcc_lo
; %bb.1545:                             ;   in Loop: Header=BB4_1498 Depth=3
	s_or_b32 exec_lo, exec_lo, s14
	v_and_b32_e32 v9, 0xffff0000, v9
	v_and_b32_e32 v59, 0xffff0000, v93
	s_delay_alu instid0(VALU_DEP_1) | instskip(NEXT) | instid1(VALU_DEP_1)
	v_add_f32_e32 v59, v59, v9
	v_and_b32_e32 v9, 0x7f800000, v59
	s_delay_alu instid0(VALU_DEP_1) | instskip(SKIP_1) | instid1(SALU_CYCLE_1)
	v_cmp_ne_u32_e32 vcc_lo, 0x7f800000, v9
                                        ; implicit-def: $vgpr9
	s_and_saveexec_b32 s14, vcc_lo
	s_xor_b32 s14, exec_lo, s14
; %bb.1546:                             ;   in Loop: Header=BB4_1498 Depth=3
	v_bfe_u32 v9, v59, 16, 1
	s_delay_alu instid0(VALU_DEP_1)
	v_add3_u32 v9, v59, v9, 0x7fff
                                        ; implicit-def: $vgpr59
; %bb.1547:                             ;   in Loop: Header=BB4_1498 Depth=3
	s_and_not1_saveexec_b32 s14, s14
; %bb.1548:                             ;   in Loop: Header=BB4_1498 Depth=3
	v_and_b32_e32 v9, 0xffff, v59
	v_or_b32_e32 v93, 0x10000, v59
	s_delay_alu instid0(VALU_DEP_2) | instskip(NEXT) | instid1(VALU_DEP_2)
	v_cmp_eq_u32_e32 vcc_lo, 0, v9
	v_cndmask_b32_e32 v9, v93, v59, vcc_lo
; %bb.1549:                             ;   in Loop: Header=BB4_1498 Depth=3
	s_or_b32 exec_lo, exec_lo, s14
	v_and_b32_e32 v59, 0xffff0000, v94
	v_lshlrev_b32_e32 v93, 16, v10
	s_delay_alu instid0(VALU_DEP_1) | instskip(NEXT) | instid1(VALU_DEP_1)
	v_add_f32_e32 v93, v59, v93
	v_and_b32_e32 v59, 0x7f800000, v93
	s_delay_alu instid0(VALU_DEP_1) | instskip(SKIP_1) | instid1(SALU_CYCLE_1)
	v_cmp_ne_u32_e32 vcc_lo, 0x7f800000, v59
                                        ; implicit-def: $vgpr59
	s_and_saveexec_b32 s14, vcc_lo
	s_xor_b32 s14, exec_lo, s14
; %bb.1550:                             ;   in Loop: Header=BB4_1498 Depth=3
	v_bfe_u32 v59, v93, 16, 1
	s_delay_alu instid0(VALU_DEP_1)
	v_add3_u32 v59, v93, v59, 0x7fff
                                        ; implicit-def: $vgpr93
; %bb.1551:                             ;   in Loop: Header=BB4_1498 Depth=3
	s_and_not1_saveexec_b32 s14, s14
; %bb.1552:                             ;   in Loop: Header=BB4_1498 Depth=3
	v_and_b32_e32 v59, 0xffff, v93
	v_or_b32_e32 v94, 0x10000, v93
	s_delay_alu instid0(VALU_DEP_2) | instskip(NEXT) | instid1(VALU_DEP_2)
	v_cmp_eq_u32_e32 vcc_lo, 0, v59
	v_cndmask_b32_e32 v59, v94, v93, vcc_lo
; %bb.1553:                             ;   in Loop: Header=BB4_1498 Depth=3
	s_or_b32 exec_lo, exec_lo, s14
	v_and_b32_e32 v10, 0xffff0000, v10
	v_and_b32_e32 v91, 0xffff0000, v91
	s_delay_alu instid0(VALU_DEP_1) | instskip(NEXT) | instid1(VALU_DEP_1)
	v_add_f32_e32 v91, v91, v10
	v_and_b32_e32 v10, 0x7f800000, v91
	s_delay_alu instid0(VALU_DEP_1) | instskip(SKIP_1) | instid1(SALU_CYCLE_1)
	v_cmp_ne_u32_e32 vcc_lo, 0x7f800000, v10
                                        ; implicit-def: $vgpr10
	s_and_saveexec_b32 s14, vcc_lo
	s_xor_b32 s14, exec_lo, s14
; %bb.1554:                             ;   in Loop: Header=BB4_1498 Depth=3
	v_bfe_u32 v10, v91, 16, 1
	s_delay_alu instid0(VALU_DEP_1)
	v_add3_u32 v10, v91, v10, 0x7fff
                                        ; implicit-def: $vgpr91
; %bb.1555:                             ;   in Loop: Header=BB4_1498 Depth=3
	s_and_not1_saveexec_b32 s14, s14
; %bb.1556:                             ;   in Loop: Header=BB4_1498 Depth=3
	v_and_b32_e32 v10, 0xffff, v91
	v_or_b32_e32 v93, 0x10000, v91
	s_delay_alu instid0(VALU_DEP_2) | instskip(NEXT) | instid1(VALU_DEP_2)
	v_cmp_eq_u32_e32 vcc_lo, 0, v10
	v_cndmask_b32_e32 v10, v93, v91, vcc_lo
; %bb.1557:                             ;   in Loop: Header=BB4_1498 Depth=3
	s_or_b32 exec_lo, exec_lo, s14
	v_and_b32_e32 v91, 0xffff0000, v92
	v_lshlrev_b32_e32 v92, 16, v11
	s_delay_alu instid0(VALU_DEP_1) | instskip(NEXT) | instid1(VALU_DEP_1)
	v_add_f32_e32 v92, v91, v92
	v_and_b32_e32 v91, 0x7f800000, v92
	s_delay_alu instid0(VALU_DEP_1) | instskip(SKIP_1) | instid1(SALU_CYCLE_1)
	v_cmp_ne_u32_e32 vcc_lo, 0x7f800000, v91
                                        ; implicit-def: $vgpr91
	s_and_saveexec_b32 s14, vcc_lo
	s_xor_b32 s14, exec_lo, s14
; %bb.1558:                             ;   in Loop: Header=BB4_1498 Depth=3
	v_bfe_u32 v91, v92, 16, 1
	s_delay_alu instid0(VALU_DEP_1)
	v_add3_u32 v91, v92, v91, 0x7fff
                                        ; implicit-def: $vgpr92
; %bb.1559:                             ;   in Loop: Header=BB4_1498 Depth=3
	s_and_not1_saveexec_b32 s14, s14
; %bb.1560:                             ;   in Loop: Header=BB4_1498 Depth=3
	v_and_b32_e32 v91, 0xffff, v92
	v_or_b32_e32 v93, 0x10000, v92
	s_delay_alu instid0(VALU_DEP_2) | instskip(NEXT) | instid1(VALU_DEP_2)
	v_cmp_eq_u32_e32 vcc_lo, 0, v91
	v_cndmask_b32_e32 v91, v93, v92, vcc_lo
; %bb.1561:                             ;   in Loop: Header=BB4_1498 Depth=3
	s_or_b32 exec_lo, exec_lo, s14
	v_and_b32_e32 v11, 0xffff0000, v11
	v_and_b32_e32 v89, 0xffff0000, v89
	s_delay_alu instid0(VALU_DEP_1) | instskip(NEXT) | instid1(VALU_DEP_1)
	v_add_f32_e32 v89, v89, v11
	v_and_b32_e32 v11, 0x7f800000, v89
	s_delay_alu instid0(VALU_DEP_1) | instskip(SKIP_1) | instid1(SALU_CYCLE_1)
	v_cmp_ne_u32_e32 vcc_lo, 0x7f800000, v11
                                        ; implicit-def: $vgpr11
	s_and_saveexec_b32 s14, vcc_lo
	s_xor_b32 s14, exec_lo, s14
; %bb.1562:                             ;   in Loop: Header=BB4_1498 Depth=3
	v_bfe_u32 v11, v89, 16, 1
	s_delay_alu instid0(VALU_DEP_1)
	v_add3_u32 v11, v89, v11, 0x7fff
                                        ; implicit-def: $vgpr89
; %bb.1563:                             ;   in Loop: Header=BB4_1498 Depth=3
	s_and_not1_saveexec_b32 s14, s14
; %bb.1564:                             ;   in Loop: Header=BB4_1498 Depth=3
	v_and_b32_e32 v11, 0xffff, v89
	v_or_b32_e32 v92, 0x10000, v89
	s_delay_alu instid0(VALU_DEP_2) | instskip(NEXT) | instid1(VALU_DEP_2)
	v_cmp_eq_u32_e32 vcc_lo, 0, v11
	v_cndmask_b32_e32 v11, v92, v89, vcc_lo
; %bb.1565:                             ;   in Loop: Header=BB4_1498 Depth=3
	s_or_b32 exec_lo, exec_lo, s14
	v_dual_lshrrev_b32 v58, 16, v58 :: v_dual_lshrrev_b32 v59, 16, v59
	v_dual_lshrrev_b32 v89, 16, v90 :: v_dual_lshrrev_b32 v90, 16, v91
	s_mov_b64 s[40:41], 0
	s_delay_alu instid0(VALU_DEP_2) | instskip(NEXT) | instid1(VALU_DEP_3)
	v_and_or_b32 v9, 0xffff0000, v9, v58
	v_and_or_b32 v10, 0xffff0000, v10, v59
	s_delay_alu instid0(VALU_DEP_3)
	v_and_or_b32 v8, 0xffff0000, v8, v89
	v_and_or_b32 v11, 0xffff0000, v11, v90
	s_mov_b32 s94, -1
	scratch_store_b128 off, v[8:11], s33 offset:192
.LBB4_1566:                             ;   Parent Loop BB4_47 Depth=1
                                        ;     Parent Loop BB4_1420 Depth=2
                                        ;       Parent Loop BB4_1498 Depth=3
                                        ; =>      This Inner Loop Header: Depth=4
	s_cmp_eq_u32 s40, 1
	s_cselect_b32 vcc_lo, -1, 0
	s_cmp_eq_u32 s40, 0
	s_wait_xcnt 0x0
	v_dual_cndmask_b32 v59, v43, v45 :: v_dual_cndmask_b32 v58, v42, v44
	s_cselect_b32 s14, -1, 0
	s_and_b32 s15, exec_lo, s94
	s_mov_b64 s[40:41], 1
	s_mov_b32 s94, 0
	v_add_nc_u64_e32 v[90:91], 0x200, v[58:59]
	global_store_b128 v[58:59], v[8:11], off th:TH_STORE_NT
	v_dual_cndmask_b32 v45, v45, v91 :: v_dual_cndmask_b32 v44, v44, v90
	v_dual_cndmask_b32 v43, v43, v91, s14 :: v_dual_cndmask_b32 v42, v42, v90, s14
	s_mov_b32 vcc_lo, s15
	s_cbranch_vccnz .LBB4_1566
; %bb.1567:                             ;   in Loop: Header=BB4_1498 Depth=3
	s_delay_alu instid0(VALU_DEP_1)
	v_add_nc_u64_e32 v[42:43], v[42:43], v[84:85]
	v_add_nc_u64_e32 v[44:45], v[44:45], v[84:85]
.LBB4_1568:                             ;   in Loop: Header=BB4_1498 Depth=3
	s_wait_xcnt 0x0
	s_or_b32 exec_lo, exec_lo, s95
	v_sub_nc_u32_e32 v15, v15, v78
	v_add_nc_u64_e32 v[46:47], v[46:47], v[84:85]
	v_add_nc_u64_e32 v[56:57], v[56:57], v[84:85]
	s_delay_alu instid0(VALU_DEP_3)
	v_cmp_lt_i32_e64 s94, 15, v15
	s_and_saveexec_b32 s95, s94
	s_cbranch_execz .LBB4_1571
; %bb.1569:                             ;   in Loop: Header=BB4_1498 Depth=3
	s_add_co_i32 s14, s33, 0xc0
	s_mov_b64 s[40:41], 0
	s_mov_b32 vcc_hi, s14
	s_mov_b32 s30, -1
.LBB4_1570:                             ;   Parent Loop BB4_47 Depth=1
                                        ;     Parent Loop BB4_1420 Depth=2
                                        ;       Parent Loop BB4_1498 Depth=3
                                        ; =>      This Inner Loop Header: Depth=4
	s_cmp_eq_u32 s40, 1
	s_cselect_b32 vcc_lo, -1, 0
	s_cmp_eq_u32 s40, 0
	v_dual_cndmask_b32 v59, v47, v57 :: v_dual_cndmask_b32 v58, v46, v56
	s_cselect_b32 s14, -1, 0
	s_and_b32 s15, exec_lo, s30
	s_mov_b64 s[40:41], 1
	s_mov_b32 s30, 0
	global_load_b128 v[8:11], v[58:59], off th:TH_LOAD_NT
	s_wait_xcnt 0x0
	v_add_nc_u64_e32 v[58:59], 0x200, v[58:59]
	s_delay_alu instid0(VALU_DEP_1)
	v_dual_cndmask_b32 v47, v47, v59, s14 :: v_dual_cndmask_b32 v46, v46, v58, s14
	v_dual_cndmask_b32 v57, v57, v59 :: v_dual_cndmask_b32 v56, v56, v58
	s_mov_b32 vcc_lo, s15
	s_wait_loadcnt 0x0
	scratch_store_b128 off, v[8:11], vcc_hi
	s_wait_xcnt 0x0
	s_mov_b32 vcc_hi, s59
	s_cbranch_vccnz .LBB4_1570
.LBB4_1571:                             ;   in Loop: Header=BB4_1498 Depth=3
	s_or_b32 exec_lo, exec_lo, s95
	scratch_load_b128 v[8:11], off, s33 offset:160
	s_wait_loadcnt 0x0
	v_lshlrev_b32_e32 v58, 16, v8
	s_delay_alu instid0(VALU_DEP_1) | instskip(NEXT) | instid1(VALU_DEP_1)
	v_mul_f32_e32 v58, v88, v58
	v_and_b32_e32 v59, 0x7f800000, v58
	s_delay_alu instid0(VALU_DEP_1) | instskip(SKIP_2) | instid1(SALU_CYCLE_1)
	v_cmp_ne_u32_e32 vcc_lo, 0x7f800000, v59
                                        ; implicit-def: $vgpr59
	s_wait_xcnt 0x0
	s_and_saveexec_b32 s14, vcc_lo
	s_xor_b32 s14, exec_lo, s14
; %bb.1572:                             ;   in Loop: Header=BB4_1498 Depth=3
	v_bfe_u32 v59, v58, 16, 1
	s_delay_alu instid0(VALU_DEP_1)
	v_add3_u32 v59, v58, v59, 0x7fff
                                        ; implicit-def: $vgpr58
; %bb.1573:                             ;   in Loop: Header=BB4_1498 Depth=3
	s_and_not1_saveexec_b32 s14, s14
; %bb.1574:                             ;   in Loop: Header=BB4_1498 Depth=3
	v_and_b32_e32 v59, 0xffff, v58
	v_or_b32_e32 v89, 0x10000, v58
	s_delay_alu instid0(VALU_DEP_2) | instskip(NEXT) | instid1(VALU_DEP_2)
	v_cmp_eq_u32_e32 vcc_lo, 0, v59
	v_cndmask_b32_e32 v59, v89, v58, vcc_lo
; %bb.1575:                             ;   in Loop: Header=BB4_1498 Depth=3
	s_or_b32 exec_lo, exec_lo, s14
	v_and_b32_e32 v8, 0xffff0000, v8
	s_delay_alu instid0(VALU_DEP_1) | instskip(NEXT) | instid1(VALU_DEP_1)
	v_mul_f32_e32 v8, v88, v8
	v_and_b32_e32 v58, 0x7f800000, v8
	s_delay_alu instid0(VALU_DEP_1) | instskip(SKIP_1) | instid1(SALU_CYCLE_1)
	v_cmp_ne_u32_e32 vcc_lo, 0x7f800000, v58
                                        ; implicit-def: $vgpr58
	s_and_saveexec_b32 s14, vcc_lo
	s_xor_b32 s14, exec_lo, s14
; %bb.1576:                             ;   in Loop: Header=BB4_1498 Depth=3
	v_bfe_u32 v58, v8, 16, 1
	s_delay_alu instid0(VALU_DEP_1)
	v_add3_u32 v58, v8, v58, 0x7fff
                                        ; implicit-def: $vgpr8
; %bb.1577:                             ;   in Loop: Header=BB4_1498 Depth=3
	s_and_not1_saveexec_b32 s14, s14
; %bb.1578:                             ;   in Loop: Header=BB4_1498 Depth=3
	v_and_b32_e32 v58, 0xffff, v8
	v_or_b32_e32 v89, 0x10000, v8
	s_delay_alu instid0(VALU_DEP_2) | instskip(NEXT) | instid1(VALU_DEP_2)
	v_cmp_eq_u32_e32 vcc_lo, 0, v58
	v_cndmask_b32_e32 v58, v89, v8, vcc_lo
; %bb.1579:                             ;   in Loop: Header=BB4_1498 Depth=3
	s_or_b32 exec_lo, exec_lo, s14
	v_lshlrev_b32_e32 v8, 16, v9
	s_mov_b32 s14, exec_lo
                                        ; implicit-def: $vgpr95
	s_delay_alu instid0(VALU_DEP_1) | instskip(NEXT) | instid1(VALU_DEP_1)
	v_mul_f32_e32 v8, v88, v8
	v_and_b32_e32 v89, 0x7f800000, v8
	s_delay_alu instid0(VALU_DEP_1)
	v_cmpx_ne_u32_e32 0x7f800000, v89
	s_xor_b32 s14, exec_lo, s14
; %bb.1580:                             ;   in Loop: Header=BB4_1498 Depth=3
	v_bfe_u32 v89, v8, 16, 1
	s_delay_alu instid0(VALU_DEP_1)
	v_add3_u32 v95, v8, v89, 0x7fff
                                        ; implicit-def: $vgpr8
; %bb.1581:                             ;   in Loop: Header=BB4_1498 Depth=3
	s_and_not1_saveexec_b32 s14, s14
; %bb.1582:                             ;   in Loop: Header=BB4_1498 Depth=3
	v_and_b32_e32 v89, 0xffff, v8
	v_or_b32_e32 v90, 0x10000, v8
	s_delay_alu instid0(VALU_DEP_2) | instskip(NEXT) | instid1(VALU_DEP_2)
	v_cmp_eq_u32_e32 vcc_lo, 0, v89
	v_cndmask_b32_e32 v95, v90, v8, vcc_lo
; %bb.1583:                             ;   in Loop: Header=BB4_1498 Depth=3
	s_or_b32 exec_lo, exec_lo, s14
	v_and_b32_e32 v8, 0xffff0000, v9
	s_mov_b32 s14, exec_lo
                                        ; implicit-def: $vgpr93
	s_delay_alu instid0(VALU_DEP_1) | instskip(NEXT) | instid1(VALU_DEP_1)
	v_mul_f32_e32 v8, v88, v8
	v_and_b32_e32 v9, 0x7f800000, v8
	s_delay_alu instid0(VALU_DEP_1)
	v_cmpx_ne_u32_e32 0x7f800000, v9
	s_xor_b32 s14, exec_lo, s14
; %bb.1584:                             ;   in Loop: Header=BB4_1498 Depth=3
	v_bfe_u32 v9, v8, 16, 1
	s_delay_alu instid0(VALU_DEP_1)
	v_add3_u32 v93, v8, v9, 0x7fff
                                        ; implicit-def: $vgpr8
; %bb.1585:                             ;   in Loop: Header=BB4_1498 Depth=3
	s_and_not1_saveexec_b32 s14, s14
; %bb.1586:                             ;   in Loop: Header=BB4_1498 Depth=3
	v_and_b32_e32 v9, 0xffff, v8
	v_or_b32_e32 v89, 0x10000, v8
	s_delay_alu instid0(VALU_DEP_2) | instskip(NEXT) | instid1(VALU_DEP_2)
	v_cmp_eq_u32_e32 vcc_lo, 0, v9
	v_cndmask_b32_e32 v93, v89, v8, vcc_lo
; %bb.1587:                             ;   in Loop: Header=BB4_1498 Depth=3
	s_or_b32 exec_lo, exec_lo, s14
	v_lshlrev_b32_e32 v8, 16, v10
	s_mov_b32 s14, exec_lo
                                        ; implicit-def: $vgpr94
	s_delay_alu instid0(VALU_DEP_1) | instskip(NEXT) | instid1(VALU_DEP_1)
	v_mul_f32_e32 v8, v88, v8
	v_and_b32_e32 v9, 0x7f800000, v8
	s_delay_alu instid0(VALU_DEP_1)
	v_cmpx_ne_u32_e32 0x7f800000, v9
	s_xor_b32 s14, exec_lo, s14
; %bb.1588:                             ;   in Loop: Header=BB4_1498 Depth=3
	v_bfe_u32 v9, v8, 16, 1
	s_delay_alu instid0(VALU_DEP_1)
	v_add3_u32 v94, v8, v9, 0x7fff
                                        ; implicit-def: $vgpr8
; %bb.1589:                             ;   in Loop: Header=BB4_1498 Depth=3
	s_and_not1_saveexec_b32 s14, s14
; %bb.1590:                             ;   in Loop: Header=BB4_1498 Depth=3
	v_and_b32_e32 v9, 0xffff, v8
	v_or_b32_e32 v89, 0x10000, v8
	s_delay_alu instid0(VALU_DEP_2) | instskip(NEXT) | instid1(VALU_DEP_2)
	v_cmp_eq_u32_e32 vcc_lo, 0, v9
	v_cndmask_b32_e32 v94, v89, v8, vcc_lo
; %bb.1591:                             ;   in Loop: Header=BB4_1498 Depth=3
	s_or_b32 exec_lo, exec_lo, s14
	v_and_b32_e32 v8, 0xffff0000, v10
	s_mov_b32 s14, exec_lo
                                        ; implicit-def: $vgpr91
	s_delay_alu instid0(VALU_DEP_1) | instskip(NEXT) | instid1(VALU_DEP_1)
	v_mul_f32_e32 v8, v88, v8
	v_and_b32_e32 v9, 0x7f800000, v8
	s_delay_alu instid0(VALU_DEP_1)
	v_cmpx_ne_u32_e32 0x7f800000, v9
	s_xor_b32 s14, exec_lo, s14
; %bb.1592:                             ;   in Loop: Header=BB4_1498 Depth=3
	v_bfe_u32 v9, v8, 16, 1
	s_delay_alu instid0(VALU_DEP_1)
	v_add3_u32 v91, v8, v9, 0x7fff
                                        ; implicit-def: $vgpr8
; %bb.1593:                             ;   in Loop: Header=BB4_1498 Depth=3
	s_and_not1_saveexec_b32 s14, s14
; %bb.1594:                             ;   in Loop: Header=BB4_1498 Depth=3
	v_and_b32_e32 v9, 0xffff, v8
	v_or_b32_e32 v10, 0x10000, v8
	s_delay_alu instid0(VALU_DEP_2) | instskip(NEXT) | instid1(VALU_DEP_2)
	v_cmp_eq_u32_e32 vcc_lo, 0, v9
	v_cndmask_b32_e32 v91, v10, v8, vcc_lo
; %bb.1595:                             ;   in Loop: Header=BB4_1498 Depth=3
	s_or_b32 exec_lo, exec_lo, s14
	v_lshlrev_b32_e32 v8, 16, v11
	s_mov_b32 s14, exec_lo
                                        ; implicit-def: $vgpr92
	s_delay_alu instid0(VALU_DEP_1) | instskip(NEXT) | instid1(VALU_DEP_1)
	v_mul_f32_e32 v8, v88, v8
	v_and_b32_e32 v9, 0x7f800000, v8
	s_delay_alu instid0(VALU_DEP_1)
	v_cmpx_ne_u32_e32 0x7f800000, v9
	s_xor_b32 s14, exec_lo, s14
; %bb.1596:                             ;   in Loop: Header=BB4_1498 Depth=3
	v_bfe_u32 v9, v8, 16, 1
	s_delay_alu instid0(VALU_DEP_1)
	v_add3_u32 v92, v8, v9, 0x7fff
                                        ; implicit-def: $vgpr8
; %bb.1597:                             ;   in Loop: Header=BB4_1498 Depth=3
	s_and_not1_saveexec_b32 s14, s14
; %bb.1598:                             ;   in Loop: Header=BB4_1498 Depth=3
	v_and_b32_e32 v9, 0xffff, v8
	v_or_b32_e32 v10, 0x10000, v8
	s_delay_alu instid0(VALU_DEP_2) | instskip(NEXT) | instid1(VALU_DEP_2)
	v_cmp_eq_u32_e32 vcc_lo, 0, v9
	v_cndmask_b32_e32 v92, v10, v8, vcc_lo
; %bb.1599:                             ;   in Loop: Header=BB4_1498 Depth=3
	s_or_b32 exec_lo, exec_lo, s14
	v_and_b32_e32 v8, 0xffff0000, v11
	s_mov_b32 s14, exec_lo
                                        ; implicit-def: $vgpr89
	s_delay_alu instid0(VALU_DEP_1) | instskip(NEXT) | instid1(VALU_DEP_1)
	v_mul_f32_e32 v8, v88, v8
	v_and_b32_e32 v9, 0x7f800000, v8
	s_delay_alu instid0(VALU_DEP_1)
	v_cmpx_ne_u32_e32 0x7f800000, v9
	s_xor_b32 s14, exec_lo, s14
; %bb.1600:                             ;   in Loop: Header=BB4_1498 Depth=3
	v_bfe_u32 v9, v8, 16, 1
	s_delay_alu instid0(VALU_DEP_1)
	v_add3_u32 v89, v8, v9, 0x7fff
                                        ; implicit-def: $vgpr8
; %bb.1601:                             ;   in Loop: Header=BB4_1498 Depth=3
	s_and_not1_saveexec_b32 s14, s14
; %bb.1602:                             ;   in Loop: Header=BB4_1498 Depth=3
	v_and_b32_e32 v9, 0xffff, v8
	v_or_b32_e32 v10, 0x10000, v8
	s_delay_alu instid0(VALU_DEP_2) | instskip(NEXT) | instid1(VALU_DEP_2)
	v_cmp_eq_u32_e32 vcc_lo, 0, v9
	v_cndmask_b32_e32 v89, v10, v8, vcc_lo
; %bb.1603:                             ;   in Loop: Header=BB4_1498 Depth=3
	s_or_b32 exec_lo, exec_lo, s14
	scratch_load_b128 v[8:11], off, s33 offset:176
	v_and_b32_e32 v59, 0xffff0000, v59
	s_wait_loadcnt 0x0
	v_lshlrev_b32_e32 v90, 16, v8
	s_delay_alu instid0(VALU_DEP_1) | instskip(NEXT) | instid1(VALU_DEP_1)
	v_add_f32_e32 v59, v59, v90
	v_and_b32_e32 v90, 0x7f800000, v59
	s_delay_alu instid0(VALU_DEP_1) | instskip(SKIP_2) | instid1(SALU_CYCLE_1)
	v_cmp_ne_u32_e32 vcc_lo, 0x7f800000, v90
                                        ; implicit-def: $vgpr90
	s_wait_xcnt 0x0
	s_and_saveexec_b32 s14, vcc_lo
	s_xor_b32 s14, exec_lo, s14
; %bb.1604:                             ;   in Loop: Header=BB4_1498 Depth=3
	v_bfe_u32 v90, v59, 16, 1
	s_delay_alu instid0(VALU_DEP_1)
	v_add3_u32 v90, v59, v90, 0x7fff
                                        ; implicit-def: $vgpr59
; %bb.1605:                             ;   in Loop: Header=BB4_1498 Depth=3
	s_and_not1_saveexec_b32 s14, s14
; %bb.1606:                             ;   in Loop: Header=BB4_1498 Depth=3
	v_and_b32_e32 v90, 0xffff, v59
	v_or_b32_e32 v104, 0x10000, v59
	s_delay_alu instid0(VALU_DEP_2) | instskip(NEXT) | instid1(VALU_DEP_2)
	v_cmp_eq_u32_e32 vcc_lo, 0, v90
	v_cndmask_b32_e32 v90, v104, v59, vcc_lo
; %bb.1607:                             ;   in Loop: Header=BB4_1498 Depth=3
	s_or_b32 exec_lo, exec_lo, s14
	v_and_b32_e32 v59, 0xffff0000, v8
	v_and_b32_e32 v58, 0xffff0000, v58
	s_delay_alu instid0(VALU_DEP_2) | instskip(NEXT) | instid1(VALU_DEP_1)
	v_mov_b32_e32 v8, v59
	v_pk_add_f32 v[58:59], v[8:9], v[58:59]
	s_delay_alu instid0(VALU_DEP_1) | instskip(NEXT) | instid1(VALU_DEP_1)
	v_and_b32_e32 v8, 0x7f800000, v58
	v_cmp_ne_u32_e32 vcc_lo, 0x7f800000, v8
                                        ; implicit-def: $vgpr8
	s_and_saveexec_b32 s14, vcc_lo
	s_delay_alu instid0(SALU_CYCLE_1)
	s_xor_b32 s14, exec_lo, s14
; %bb.1608:                             ;   in Loop: Header=BB4_1498 Depth=3
	v_bfe_u32 v8, v58, 16, 1
	s_delay_alu instid0(VALU_DEP_1)
	v_add3_u32 v8, v58, v8, 0x7fff
                                        ; implicit-def: $vgpr58_vgpr59
; %bb.1609:                             ;   in Loop: Header=BB4_1498 Depth=3
	s_and_not1_saveexec_b32 s14, s14
; %bb.1610:                             ;   in Loop: Header=BB4_1498 Depth=3
	v_and_b32_e32 v8, 0xffff, v58
	v_or_b32_e32 v59, 0x10000, v58
	s_delay_alu instid0(VALU_DEP_2) | instskip(NEXT) | instid1(VALU_DEP_2)
	v_cmp_eq_u32_e32 vcc_lo, 0, v8
	v_cndmask_b32_e32 v8, v59, v58, vcc_lo
; %bb.1611:                             ;   in Loop: Header=BB4_1498 Depth=3
	s_or_b32 exec_lo, exec_lo, s14
	v_and_b32_e32 v58, 0xffff0000, v95
	v_lshlrev_b32_e32 v59, 16, v9
	s_delay_alu instid0(VALU_DEP_1) | instskip(NEXT) | instid1(VALU_DEP_1)
	v_add_f32_e32 v59, v58, v59
	v_and_b32_e32 v58, 0x7f800000, v59
	s_delay_alu instid0(VALU_DEP_1) | instskip(SKIP_1) | instid1(SALU_CYCLE_1)
	v_cmp_ne_u32_e32 vcc_lo, 0x7f800000, v58
                                        ; implicit-def: $vgpr58
	s_and_saveexec_b32 s14, vcc_lo
	s_xor_b32 s14, exec_lo, s14
; %bb.1612:                             ;   in Loop: Header=BB4_1498 Depth=3
	v_bfe_u32 v58, v59, 16, 1
	s_delay_alu instid0(VALU_DEP_1)
	v_add3_u32 v58, v59, v58, 0x7fff
                                        ; implicit-def: $vgpr59
; %bb.1613:                             ;   in Loop: Header=BB4_1498 Depth=3
	s_and_not1_saveexec_b32 s14, s14
; %bb.1614:                             ;   in Loop: Header=BB4_1498 Depth=3
	v_and_b32_e32 v58, 0xffff, v59
	v_or_b32_e32 v95, 0x10000, v59
	s_delay_alu instid0(VALU_DEP_2) | instskip(NEXT) | instid1(VALU_DEP_2)
	v_cmp_eq_u32_e32 vcc_lo, 0, v58
	v_cndmask_b32_e32 v58, v95, v59, vcc_lo
; %bb.1615:                             ;   in Loop: Header=BB4_1498 Depth=3
	s_or_b32 exec_lo, exec_lo, s14
	v_and_b32_e32 v9, 0xffff0000, v9
	v_and_b32_e32 v59, 0xffff0000, v93
	s_delay_alu instid0(VALU_DEP_1) | instskip(NEXT) | instid1(VALU_DEP_1)
	v_add_f32_e32 v59, v59, v9
	v_and_b32_e32 v9, 0x7f800000, v59
	s_delay_alu instid0(VALU_DEP_1) | instskip(SKIP_1) | instid1(SALU_CYCLE_1)
	v_cmp_ne_u32_e32 vcc_lo, 0x7f800000, v9
                                        ; implicit-def: $vgpr9
	s_and_saveexec_b32 s14, vcc_lo
	s_xor_b32 s14, exec_lo, s14
; %bb.1616:                             ;   in Loop: Header=BB4_1498 Depth=3
	v_bfe_u32 v9, v59, 16, 1
	s_delay_alu instid0(VALU_DEP_1)
	v_add3_u32 v9, v59, v9, 0x7fff
                                        ; implicit-def: $vgpr59
; %bb.1617:                             ;   in Loop: Header=BB4_1498 Depth=3
	s_and_not1_saveexec_b32 s14, s14
; %bb.1618:                             ;   in Loop: Header=BB4_1498 Depth=3
	v_and_b32_e32 v9, 0xffff, v59
	v_or_b32_e32 v93, 0x10000, v59
	s_delay_alu instid0(VALU_DEP_2) | instskip(NEXT) | instid1(VALU_DEP_2)
	v_cmp_eq_u32_e32 vcc_lo, 0, v9
	v_cndmask_b32_e32 v9, v93, v59, vcc_lo
; %bb.1619:                             ;   in Loop: Header=BB4_1498 Depth=3
	s_or_b32 exec_lo, exec_lo, s14
	v_and_b32_e32 v59, 0xffff0000, v94
	v_lshlrev_b32_e32 v93, 16, v10
	s_delay_alu instid0(VALU_DEP_1) | instskip(NEXT) | instid1(VALU_DEP_1)
	v_add_f32_e32 v93, v59, v93
	v_and_b32_e32 v59, 0x7f800000, v93
	s_delay_alu instid0(VALU_DEP_1) | instskip(SKIP_1) | instid1(SALU_CYCLE_1)
	v_cmp_ne_u32_e32 vcc_lo, 0x7f800000, v59
                                        ; implicit-def: $vgpr59
	s_and_saveexec_b32 s14, vcc_lo
	s_xor_b32 s14, exec_lo, s14
; %bb.1620:                             ;   in Loop: Header=BB4_1498 Depth=3
	v_bfe_u32 v59, v93, 16, 1
	s_delay_alu instid0(VALU_DEP_1)
	v_add3_u32 v59, v93, v59, 0x7fff
                                        ; implicit-def: $vgpr93
; %bb.1621:                             ;   in Loop: Header=BB4_1498 Depth=3
	s_and_not1_saveexec_b32 s14, s14
; %bb.1622:                             ;   in Loop: Header=BB4_1498 Depth=3
	v_and_b32_e32 v59, 0xffff, v93
	v_or_b32_e32 v94, 0x10000, v93
	s_delay_alu instid0(VALU_DEP_2) | instskip(NEXT) | instid1(VALU_DEP_2)
	v_cmp_eq_u32_e32 vcc_lo, 0, v59
	v_cndmask_b32_e32 v59, v94, v93, vcc_lo
; %bb.1623:                             ;   in Loop: Header=BB4_1498 Depth=3
	s_or_b32 exec_lo, exec_lo, s14
	v_and_b32_e32 v10, 0xffff0000, v10
	v_and_b32_e32 v91, 0xffff0000, v91
	s_delay_alu instid0(VALU_DEP_1) | instskip(NEXT) | instid1(VALU_DEP_1)
	v_add_f32_e32 v91, v91, v10
	v_and_b32_e32 v10, 0x7f800000, v91
	s_delay_alu instid0(VALU_DEP_1) | instskip(SKIP_1) | instid1(SALU_CYCLE_1)
	v_cmp_ne_u32_e32 vcc_lo, 0x7f800000, v10
                                        ; implicit-def: $vgpr10
	s_and_saveexec_b32 s14, vcc_lo
	s_xor_b32 s14, exec_lo, s14
; %bb.1624:                             ;   in Loop: Header=BB4_1498 Depth=3
	v_bfe_u32 v10, v91, 16, 1
	s_delay_alu instid0(VALU_DEP_1)
	v_add3_u32 v10, v91, v10, 0x7fff
                                        ; implicit-def: $vgpr91
; %bb.1625:                             ;   in Loop: Header=BB4_1498 Depth=3
	s_and_not1_saveexec_b32 s14, s14
; %bb.1626:                             ;   in Loop: Header=BB4_1498 Depth=3
	v_and_b32_e32 v10, 0xffff, v91
	v_or_b32_e32 v93, 0x10000, v91
	s_delay_alu instid0(VALU_DEP_2) | instskip(NEXT) | instid1(VALU_DEP_2)
	v_cmp_eq_u32_e32 vcc_lo, 0, v10
	v_cndmask_b32_e32 v10, v93, v91, vcc_lo
; %bb.1627:                             ;   in Loop: Header=BB4_1498 Depth=3
	s_or_b32 exec_lo, exec_lo, s14
	v_and_b32_e32 v91, 0xffff0000, v92
	v_lshlrev_b32_e32 v92, 16, v11
	s_delay_alu instid0(VALU_DEP_1) | instskip(NEXT) | instid1(VALU_DEP_1)
	v_add_f32_e32 v92, v91, v92
	v_and_b32_e32 v91, 0x7f800000, v92
	s_delay_alu instid0(VALU_DEP_1) | instskip(SKIP_1) | instid1(SALU_CYCLE_1)
	v_cmp_ne_u32_e32 vcc_lo, 0x7f800000, v91
                                        ; implicit-def: $vgpr91
	s_and_saveexec_b32 s14, vcc_lo
	s_xor_b32 s14, exec_lo, s14
; %bb.1628:                             ;   in Loop: Header=BB4_1498 Depth=3
	v_bfe_u32 v91, v92, 16, 1
	s_delay_alu instid0(VALU_DEP_1)
	v_add3_u32 v91, v92, v91, 0x7fff
                                        ; implicit-def: $vgpr92
; %bb.1629:                             ;   in Loop: Header=BB4_1498 Depth=3
	s_and_not1_saveexec_b32 s14, s14
; %bb.1630:                             ;   in Loop: Header=BB4_1498 Depth=3
	v_and_b32_e32 v91, 0xffff, v92
	v_or_b32_e32 v93, 0x10000, v92
	s_delay_alu instid0(VALU_DEP_2) | instskip(NEXT) | instid1(VALU_DEP_2)
	v_cmp_eq_u32_e32 vcc_lo, 0, v91
	v_cndmask_b32_e32 v91, v93, v92, vcc_lo
; %bb.1631:                             ;   in Loop: Header=BB4_1498 Depth=3
	s_or_b32 exec_lo, exec_lo, s14
	v_and_b32_e32 v11, 0xffff0000, v11
	v_and_b32_e32 v89, 0xffff0000, v89
	s_delay_alu instid0(VALU_DEP_1) | instskip(NEXT) | instid1(VALU_DEP_1)
	v_add_f32_e32 v89, v89, v11
	v_and_b32_e32 v11, 0x7f800000, v89
	s_delay_alu instid0(VALU_DEP_1) | instskip(SKIP_1) | instid1(SALU_CYCLE_1)
	v_cmp_ne_u32_e32 vcc_lo, 0x7f800000, v11
                                        ; implicit-def: $vgpr11
	s_and_saveexec_b32 s14, vcc_lo
	s_xor_b32 s14, exec_lo, s14
; %bb.1632:                             ;   in Loop: Header=BB4_1498 Depth=3
	v_bfe_u32 v11, v89, 16, 1
	s_delay_alu instid0(VALU_DEP_1)
	v_add3_u32 v11, v89, v11, 0x7fff
                                        ; implicit-def: $vgpr89
; %bb.1633:                             ;   in Loop: Header=BB4_1498 Depth=3
	s_and_not1_saveexec_b32 s14, s14
; %bb.1634:                             ;   in Loop: Header=BB4_1498 Depth=3
	v_and_b32_e32 v11, 0xffff, v89
	v_or_b32_e32 v92, 0x10000, v89
	s_delay_alu instid0(VALU_DEP_2) | instskip(NEXT) | instid1(VALU_DEP_2)
	v_cmp_eq_u32_e32 vcc_lo, 0, v11
	v_cndmask_b32_e32 v11, v92, v89, vcc_lo
; %bb.1635:                             ;   in Loop: Header=BB4_1498 Depth=3
	s_or_b32 exec_lo, exec_lo, s14
	v_dual_lshrrev_b32 v58, 16, v58 :: v_dual_lshrrev_b32 v59, 16, v59
	v_dual_lshrrev_b32 v89, 16, v90 :: v_dual_lshrrev_b32 v90, 16, v91
	s_mov_b64 s[40:41], 0
	s_delay_alu instid0(VALU_DEP_2) | instskip(NEXT) | instid1(VALU_DEP_3)
	v_and_or_b32 v9, 0xffff0000, v9, v58
	v_and_or_b32 v10, 0xffff0000, v10, v59
	s_delay_alu instid0(VALU_DEP_3)
	v_and_or_b32 v8, 0xffff0000, v8, v89
	v_and_or_b32 v11, 0xffff0000, v11, v90
	s_mov_b32 s95, -1
	scratch_store_b128 off, v[8:11], s33 offset:160
.LBB4_1636:                             ;   Parent Loop BB4_47 Depth=1
                                        ;     Parent Loop BB4_1420 Depth=2
                                        ;       Parent Loop BB4_1498 Depth=3
                                        ; =>      This Inner Loop Header: Depth=4
	s_cmp_eq_u32 s40, 1
	s_cselect_b32 vcc_lo, -1, 0
	s_cmp_eq_u32 s40, 0
	s_wait_xcnt 0x0
	v_dual_cndmask_b32 v59, v43, v45 :: v_dual_cndmask_b32 v58, v42, v44
	s_cselect_b32 s14, -1, 0
	s_and_b32 s15, exec_lo, s95
	s_mov_b64 s[40:41], 1
	s_mov_b32 s95, 0
	v_add_nc_u64_e32 v[90:91], 0x200, v[58:59]
	global_store_b128 v[58:59], v[8:11], off th:TH_STORE_NT
	v_dual_cndmask_b32 v45, v45, v91 :: v_dual_cndmask_b32 v44, v44, v90
	v_dual_cndmask_b32 v43, v43, v91, s14 :: v_dual_cndmask_b32 v42, v42, v90, s14
	s_mov_b32 vcc_lo, s15
	s_cbranch_vccnz .LBB4_1636
; %bb.1637:                             ;   in Loop: Header=BB4_1498 Depth=3
	v_sub_nc_u32_e32 v63, v63, v52
	s_wait_xcnt 0x0
	s_and_saveexec_b32 s14, s94
	s_cbranch_execz .LBB4_1497
; %bb.1638:                             ;   in Loop: Header=BB4_1498 Depth=3
	v_add_nc_u64_e32 v[42:43], v[42:43], v[84:85]
	v_add_nc_u64_e32 v[44:45], v[44:45], v[84:85]
	;; [unrolled: 1-line block ×4, first 2 shown]
	v_sub_nc_u32_e32 v15, v15, v78
	v_sub_nc_u32_e32 v63, v63, v52
	s_branch .LBB4_1497
.LBB4_1639:                             ;   in Loop: Header=BB4_1420 Depth=2
	s_mov_b32 s13, 0
	s_and_saveexec_b32 s14, s2
	s_cbranch_execnz .LBB4_2653
	s_branch .LBB4_2671
.LBB4_1640:                             ;   in Loop: Header=BB4_1420 Depth=2
	s_mov_b32 s90, 0
	v_mov_b32_e32 v57, 0
	s_and_not1_b32 vcc_lo, exec_lo, s13
	s_cbranch_vccz .LBB4_1495
.LBB4_1641:                             ;   in Loop: Header=BB4_1420 Depth=2
	v_dual_mov_b32 v56, v13 :: v_dual_mov_b32 v8, v0
	v_mov_b32_e32 v88, v73
	s_and_saveexec_b32 s15, s90
	s_cbranch_execnz .LBB4_1927
	s_branch .LBB4_2079
.LBB4_1642:                             ;   in Loop: Header=BB4_1420 Depth=2
	s_or_b32 exec_lo, exec_lo, s92
	s_delay_alu instid0(SALU_CYCLE_1)
	s_and_b32 s14, s93, exec_lo
.LBB4_1643:                             ;   in Loop: Header=BB4_1420 Depth=2
	s_or_b32 exec_lo, exec_lo, s91
	s_and_saveexec_b32 s91, s14
	s_cbranch_execz .LBB4_1710
; %bb.1644:                             ;   in Loop: Header=BB4_1420 Depth=2
	s_trap 2
	scratch_load_b128 v[8:11], off, s33 offset:192
	ds_load_b32 v15, v0
	s_wait_loadcnt_dscnt 0x0
	v_dual_lshlrev_b32 v15, 16, v15 :: v_dual_lshlrev_b32 v46, 16, v8
	s_delay_alu instid0(VALU_DEP_1) | instskip(NEXT) | instid1(VALU_DEP_1)
	v_mul_f32_e32 v46, v15, v46
	v_and_b32_e32 v47, 0x7f800000, v46
	s_delay_alu instid0(VALU_DEP_1) | instskip(SKIP_2) | instid1(SALU_CYCLE_1)
	v_cmp_ne_u32_e32 vcc_lo, 0x7f800000, v47
                                        ; implicit-def: $vgpr47
	s_wait_xcnt 0x0
	s_and_saveexec_b32 s14, vcc_lo
	s_xor_b32 s14, exec_lo, s14
; %bb.1645:                             ;   in Loop: Header=BB4_1420 Depth=2
	v_bfe_u32 v47, v46, 16, 1
	s_delay_alu instid0(VALU_DEP_1)
	v_add3_u32 v47, v46, v47, 0x7fff
                                        ; implicit-def: $vgpr46
; %bb.1646:                             ;   in Loop: Header=BB4_1420 Depth=2
	s_and_not1_saveexec_b32 s14, s14
; %bb.1647:                             ;   in Loop: Header=BB4_1420 Depth=2
	v_and_b32_e32 v47, 0xffff, v46
	v_or_b32_e32 v56, 0x10000, v46
	s_delay_alu instid0(VALU_DEP_2) | instskip(NEXT) | instid1(VALU_DEP_2)
	v_cmp_eq_u32_e32 vcc_lo, 0, v47
	v_cndmask_b32_e32 v47, v56, v46, vcc_lo
; %bb.1648:                             ;   in Loop: Header=BB4_1420 Depth=2
	s_or_b32 exec_lo, exec_lo, s14
	v_and_b32_e32 v8, 0xffff0000, v8
	s_delay_alu instid0(VALU_DEP_1) | instskip(NEXT) | instid1(VALU_DEP_1)
	v_mul_f32_e32 v8, v15, v8
	v_and_b32_e32 v46, 0x7f800000, v8
	s_delay_alu instid0(VALU_DEP_1) | instskip(SKIP_1) | instid1(SALU_CYCLE_1)
	v_cmp_ne_u32_e32 vcc_lo, 0x7f800000, v46
                                        ; implicit-def: $vgpr46
	s_and_saveexec_b32 s14, vcc_lo
	s_xor_b32 s14, exec_lo, s14
; %bb.1649:                             ;   in Loop: Header=BB4_1420 Depth=2
	v_bfe_u32 v46, v8, 16, 1
	s_delay_alu instid0(VALU_DEP_1)
	v_add3_u32 v46, v8, v46, 0x7fff
                                        ; implicit-def: $vgpr8
; %bb.1650:                             ;   in Loop: Header=BB4_1420 Depth=2
	s_and_not1_saveexec_b32 s14, s14
; %bb.1651:                             ;   in Loop: Header=BB4_1420 Depth=2
	v_and_b32_e32 v46, 0xffff, v8
	v_or_b32_e32 v56, 0x10000, v8
	s_delay_alu instid0(VALU_DEP_2) | instskip(NEXT) | instid1(VALU_DEP_2)
	v_cmp_eq_u32_e32 vcc_lo, 0, v46
	v_cndmask_b32_e32 v46, v56, v8, vcc_lo
; %bb.1652:                             ;   in Loop: Header=BB4_1420 Depth=2
	s_or_b32 exec_lo, exec_lo, s14
	v_lshlrev_b32_e32 v8, 16, v9
	s_mov_b32 s14, exec_lo
                                        ; implicit-def: $vgpr89
	s_delay_alu instid0(VALU_DEP_1) | instskip(NEXT) | instid1(VALU_DEP_1)
	v_mul_f32_e32 v8, v15, v8
	v_and_b32_e32 v56, 0x7f800000, v8
	s_delay_alu instid0(VALU_DEP_1)
	v_cmpx_ne_u32_e32 0x7f800000, v56
	s_xor_b32 s14, exec_lo, s14
; %bb.1653:                             ;   in Loop: Header=BB4_1420 Depth=2
	v_bfe_u32 v56, v8, 16, 1
	s_delay_alu instid0(VALU_DEP_1)
	v_add3_u32 v89, v8, v56, 0x7fff
                                        ; implicit-def: $vgpr8
; %bb.1654:                             ;   in Loop: Header=BB4_1420 Depth=2
	s_and_not1_saveexec_b32 s14, s14
; %bb.1655:                             ;   in Loop: Header=BB4_1420 Depth=2
	v_and_b32_e32 v56, 0xffff, v8
	v_or_b32_e32 v57, 0x10000, v8
	s_delay_alu instid0(VALU_DEP_2) | instskip(NEXT) | instid1(VALU_DEP_2)
	v_cmp_eq_u32_e32 vcc_lo, 0, v56
	v_cndmask_b32_e32 v89, v57, v8, vcc_lo
; %bb.1656:                             ;   in Loop: Header=BB4_1420 Depth=2
	s_or_b32 exec_lo, exec_lo, s14
	v_and_b32_e32 v8, 0xffff0000, v9
	s_mov_b32 s14, exec_lo
                                        ; implicit-def: $vgpr59
	s_delay_alu instid0(VALU_DEP_1) | instskip(NEXT) | instid1(VALU_DEP_1)
	v_mul_f32_e32 v8, v15, v8
	v_and_b32_e32 v9, 0x7f800000, v8
	s_delay_alu instid0(VALU_DEP_1)
	v_cmpx_ne_u32_e32 0x7f800000, v9
	s_xor_b32 s14, exec_lo, s14
; %bb.1657:                             ;   in Loop: Header=BB4_1420 Depth=2
	v_bfe_u32 v9, v8, 16, 1
	s_delay_alu instid0(VALU_DEP_1)
	v_add3_u32 v59, v8, v9, 0x7fff
                                        ; implicit-def: $vgpr8
; %bb.1658:                             ;   in Loop: Header=BB4_1420 Depth=2
	s_and_not1_saveexec_b32 s14, s14
; %bb.1659:                             ;   in Loop: Header=BB4_1420 Depth=2
	v_and_b32_e32 v9, 0xffff, v8
	v_or_b32_e32 v56, 0x10000, v8
	s_delay_alu instid0(VALU_DEP_2) | instskip(NEXT) | instid1(VALU_DEP_2)
	v_cmp_eq_u32_e32 vcc_lo, 0, v9
	v_cndmask_b32_e32 v59, v56, v8, vcc_lo
; %bb.1660:                             ;   in Loop: Header=BB4_1420 Depth=2
	s_or_b32 exec_lo, exec_lo, s14
	v_lshlrev_b32_e32 v8, 16, v10
	s_mov_b32 s14, exec_lo
                                        ; implicit-def: $vgpr88
	s_delay_alu instid0(VALU_DEP_1) | instskip(NEXT) | instid1(VALU_DEP_1)
	v_mul_f32_e32 v8, v15, v8
	v_and_b32_e32 v9, 0x7f800000, v8
	s_delay_alu instid0(VALU_DEP_1)
	v_cmpx_ne_u32_e32 0x7f800000, v9
	s_xor_b32 s14, exec_lo, s14
; %bb.1661:                             ;   in Loop: Header=BB4_1420 Depth=2
	v_bfe_u32 v9, v8, 16, 1
	s_delay_alu instid0(VALU_DEP_1)
	v_add3_u32 v88, v8, v9, 0x7fff
                                        ; implicit-def: $vgpr8
; %bb.1662:                             ;   in Loop: Header=BB4_1420 Depth=2
	s_and_not1_saveexec_b32 s14, s14
; %bb.1663:                             ;   in Loop: Header=BB4_1420 Depth=2
	v_and_b32_e32 v9, 0xffff, v8
	v_or_b32_e32 v56, 0x10000, v8
	s_delay_alu instid0(VALU_DEP_2) | instskip(NEXT) | instid1(VALU_DEP_2)
	v_cmp_eq_u32_e32 vcc_lo, 0, v9
	v_cndmask_b32_e32 v88, v56, v8, vcc_lo
; %bb.1664:                             ;   in Loop: Header=BB4_1420 Depth=2
	s_or_b32 exec_lo, exec_lo, s14
	v_and_b32_e32 v8, 0xffff0000, v10
	s_mov_b32 s14, exec_lo
                                        ; implicit-def: $vgpr57
	s_delay_alu instid0(VALU_DEP_1) | instskip(NEXT) | instid1(VALU_DEP_1)
	v_mul_f32_e32 v8, v15, v8
	v_and_b32_e32 v9, 0x7f800000, v8
	s_delay_alu instid0(VALU_DEP_1)
	v_cmpx_ne_u32_e32 0x7f800000, v9
	s_xor_b32 s14, exec_lo, s14
; %bb.1665:                             ;   in Loop: Header=BB4_1420 Depth=2
	v_bfe_u32 v9, v8, 16, 1
	s_delay_alu instid0(VALU_DEP_1)
	v_add3_u32 v57, v8, v9, 0x7fff
                                        ; implicit-def: $vgpr8
; %bb.1666:                             ;   in Loop: Header=BB4_1420 Depth=2
	s_and_not1_saveexec_b32 s14, s14
; %bb.1667:                             ;   in Loop: Header=BB4_1420 Depth=2
	v_and_b32_e32 v9, 0xffff, v8
	v_or_b32_e32 v10, 0x10000, v8
	s_delay_alu instid0(VALU_DEP_2) | instskip(NEXT) | instid1(VALU_DEP_2)
	v_cmp_eq_u32_e32 vcc_lo, 0, v9
	v_cndmask_b32_e32 v57, v10, v8, vcc_lo
; %bb.1668:                             ;   in Loop: Header=BB4_1420 Depth=2
	s_or_b32 exec_lo, exec_lo, s14
	v_lshlrev_b32_e32 v8, 16, v11
	s_mov_b32 s14, exec_lo
                                        ; implicit-def: $vgpr58
	s_delay_alu instid0(VALU_DEP_1) | instskip(NEXT) | instid1(VALU_DEP_1)
	v_mul_f32_e32 v8, v15, v8
	v_and_b32_e32 v9, 0x7f800000, v8
	s_delay_alu instid0(VALU_DEP_1)
	v_cmpx_ne_u32_e32 0x7f800000, v9
	s_xor_b32 s14, exec_lo, s14
; %bb.1669:                             ;   in Loop: Header=BB4_1420 Depth=2
	v_bfe_u32 v9, v8, 16, 1
	s_delay_alu instid0(VALU_DEP_1)
	v_add3_u32 v58, v8, v9, 0x7fff
                                        ; implicit-def: $vgpr8
; %bb.1670:                             ;   in Loop: Header=BB4_1420 Depth=2
	s_and_not1_saveexec_b32 s14, s14
; %bb.1671:                             ;   in Loop: Header=BB4_1420 Depth=2
	v_and_b32_e32 v9, 0xffff, v8
	v_or_b32_e32 v10, 0x10000, v8
	s_delay_alu instid0(VALU_DEP_2) | instskip(NEXT) | instid1(VALU_DEP_2)
	v_cmp_eq_u32_e32 vcc_lo, 0, v9
	v_cndmask_b32_e32 v58, v10, v8, vcc_lo
; %bb.1672:                             ;   in Loop: Header=BB4_1420 Depth=2
	s_or_b32 exec_lo, exec_lo, s14
	v_and_b32_e32 v8, 0xffff0000, v11
	s_mov_b32 s14, exec_lo
	s_delay_alu instid0(VALU_DEP_1) | instskip(NEXT) | instid1(VALU_DEP_1)
	v_mul_f32_e32 v8, v15, v8
                                        ; implicit-def: $vgpr15
	v_and_b32_e32 v9, 0x7f800000, v8
	s_delay_alu instid0(VALU_DEP_1)
	v_cmpx_ne_u32_e32 0x7f800000, v9
	s_xor_b32 s14, exec_lo, s14
; %bb.1673:                             ;   in Loop: Header=BB4_1420 Depth=2
	v_bfe_u32 v9, v8, 16, 1
	s_delay_alu instid0(VALU_DEP_1)
	v_add3_u32 v15, v8, v9, 0x7fff
                                        ; implicit-def: $vgpr8
; %bb.1674:                             ;   in Loop: Header=BB4_1420 Depth=2
	s_and_not1_saveexec_b32 s14, s14
; %bb.1675:                             ;   in Loop: Header=BB4_1420 Depth=2
	v_and_b32_e32 v9, 0xffff, v8
	v_or_b32_e32 v10, 0x10000, v8
	s_delay_alu instid0(VALU_DEP_2) | instskip(NEXT) | instid1(VALU_DEP_2)
	v_cmp_eq_u32_e32 vcc_lo, 0, v9
	v_cndmask_b32_e32 v15, v10, v8, vcc_lo
; %bb.1676:                             ;   in Loop: Header=BB4_1420 Depth=2
	s_or_b32 exec_lo, exec_lo, s14
	scratch_load_b128 v[8:11], off, s33 offset:208
	v_and_b32_e32 v47, 0xffff0000, v47
	s_wait_loadcnt 0x0
	v_lshlrev_b32_e32 v56, 16, v8
	s_delay_alu instid0(VALU_DEP_1) | instskip(NEXT) | instid1(VALU_DEP_1)
	v_add_f32_e32 v47, v47, v56
	v_and_b32_e32 v56, 0x7f800000, v47
	s_delay_alu instid0(VALU_DEP_1) | instskip(SKIP_2) | instid1(SALU_CYCLE_1)
	v_cmp_ne_u32_e32 vcc_lo, 0x7f800000, v56
                                        ; implicit-def: $vgpr56
	s_wait_xcnt 0x0
	s_and_saveexec_b32 s14, vcc_lo
	s_xor_b32 s14, exec_lo, s14
; %bb.1677:                             ;   in Loop: Header=BB4_1420 Depth=2
	v_bfe_u32 v56, v47, 16, 1
	s_delay_alu instid0(VALU_DEP_1)
	v_add3_u32 v56, v47, v56, 0x7fff
                                        ; implicit-def: $vgpr47
; %bb.1678:                             ;   in Loop: Header=BB4_1420 Depth=2
	s_and_not1_saveexec_b32 s14, s14
; %bb.1679:                             ;   in Loop: Header=BB4_1420 Depth=2
	v_and_b32_e32 v56, 0xffff, v47
	v_or_b32_e32 v90, 0x10000, v47
	s_delay_alu instid0(VALU_DEP_2) | instskip(NEXT) | instid1(VALU_DEP_2)
	v_cmp_eq_u32_e32 vcc_lo, 0, v56
	v_cndmask_b32_e32 v56, v90, v47, vcc_lo
; %bb.1680:                             ;   in Loop: Header=BB4_1420 Depth=2
	s_or_b32 exec_lo, exec_lo, s14
	v_and_b32_e32 v47, 0xffff0000, v8
	v_and_b32_e32 v46, 0xffff0000, v46
	s_delay_alu instid0(VALU_DEP_2) | instskip(NEXT) | instid1(VALU_DEP_1)
	v_mov_b32_e32 v8, v47
	v_pk_add_f32 v[46:47], v[8:9], v[46:47]
	s_delay_alu instid0(VALU_DEP_1) | instskip(NEXT) | instid1(VALU_DEP_1)
	v_and_b32_e32 v8, 0x7f800000, v46
	v_cmp_ne_u32_e32 vcc_lo, 0x7f800000, v8
                                        ; implicit-def: $vgpr8
	s_and_saveexec_b32 s14, vcc_lo
	s_delay_alu instid0(SALU_CYCLE_1)
	s_xor_b32 s14, exec_lo, s14
; %bb.1681:                             ;   in Loop: Header=BB4_1420 Depth=2
	v_bfe_u32 v8, v46, 16, 1
	s_delay_alu instid0(VALU_DEP_1)
	v_add3_u32 v8, v46, v8, 0x7fff
                                        ; implicit-def: $vgpr46_vgpr47
; %bb.1682:                             ;   in Loop: Header=BB4_1420 Depth=2
	s_and_not1_saveexec_b32 s14, s14
; %bb.1683:                             ;   in Loop: Header=BB4_1420 Depth=2
	v_and_b32_e32 v8, 0xffff, v46
	v_or_b32_e32 v47, 0x10000, v46
	s_delay_alu instid0(VALU_DEP_2) | instskip(NEXT) | instid1(VALU_DEP_2)
	v_cmp_eq_u32_e32 vcc_lo, 0, v8
	v_cndmask_b32_e32 v8, v47, v46, vcc_lo
; %bb.1684:                             ;   in Loop: Header=BB4_1420 Depth=2
	s_or_b32 exec_lo, exec_lo, s14
	v_and_b32_e32 v46, 0xffff0000, v89
	v_lshlrev_b32_e32 v47, 16, v9
	s_delay_alu instid0(VALU_DEP_1) | instskip(NEXT) | instid1(VALU_DEP_1)
	v_add_f32_e32 v47, v46, v47
	v_and_b32_e32 v46, 0x7f800000, v47
	s_delay_alu instid0(VALU_DEP_1) | instskip(SKIP_1) | instid1(SALU_CYCLE_1)
	v_cmp_ne_u32_e32 vcc_lo, 0x7f800000, v46
                                        ; implicit-def: $vgpr46
	s_and_saveexec_b32 s14, vcc_lo
	s_xor_b32 s14, exec_lo, s14
; %bb.1685:                             ;   in Loop: Header=BB4_1420 Depth=2
	v_bfe_u32 v46, v47, 16, 1
	s_delay_alu instid0(VALU_DEP_1)
	v_add3_u32 v46, v47, v46, 0x7fff
                                        ; implicit-def: $vgpr47
; %bb.1686:                             ;   in Loop: Header=BB4_1420 Depth=2
	s_and_not1_saveexec_b32 s14, s14
; %bb.1687:                             ;   in Loop: Header=BB4_1420 Depth=2
	v_and_b32_e32 v46, 0xffff, v47
	v_or_b32_e32 v89, 0x10000, v47
	s_delay_alu instid0(VALU_DEP_2) | instskip(NEXT) | instid1(VALU_DEP_2)
	v_cmp_eq_u32_e32 vcc_lo, 0, v46
	v_cndmask_b32_e32 v46, v89, v47, vcc_lo
; %bb.1688:                             ;   in Loop: Header=BB4_1420 Depth=2
	s_or_b32 exec_lo, exec_lo, s14
	v_and_b32_e32 v9, 0xffff0000, v9
	v_and_b32_e32 v47, 0xffff0000, v59
	s_delay_alu instid0(VALU_DEP_1) | instskip(NEXT) | instid1(VALU_DEP_1)
	v_add_f32_e32 v47, v47, v9
	v_and_b32_e32 v9, 0x7f800000, v47
	s_delay_alu instid0(VALU_DEP_1) | instskip(SKIP_1) | instid1(SALU_CYCLE_1)
	v_cmp_ne_u32_e32 vcc_lo, 0x7f800000, v9
                                        ; implicit-def: $vgpr9
	s_and_saveexec_b32 s14, vcc_lo
	s_xor_b32 s14, exec_lo, s14
; %bb.1689:                             ;   in Loop: Header=BB4_1420 Depth=2
	v_bfe_u32 v9, v47, 16, 1
	s_delay_alu instid0(VALU_DEP_1)
	v_add3_u32 v9, v47, v9, 0x7fff
                                        ; implicit-def: $vgpr47
; %bb.1690:                             ;   in Loop: Header=BB4_1420 Depth=2
	s_and_not1_saveexec_b32 s14, s14
; %bb.1691:                             ;   in Loop: Header=BB4_1420 Depth=2
	v_and_b32_e32 v9, 0xffff, v47
	v_or_b32_e32 v59, 0x10000, v47
	s_delay_alu instid0(VALU_DEP_2) | instskip(NEXT) | instid1(VALU_DEP_2)
	v_cmp_eq_u32_e32 vcc_lo, 0, v9
	v_cndmask_b32_e32 v9, v59, v47, vcc_lo
; %bb.1692:                             ;   in Loop: Header=BB4_1420 Depth=2
	s_or_b32 exec_lo, exec_lo, s14
	v_and_b32_e32 v47, 0xffff0000, v88
	v_lshlrev_b32_e32 v59, 16, v10
	s_delay_alu instid0(VALU_DEP_1) | instskip(NEXT) | instid1(VALU_DEP_1)
	v_add_f32_e32 v59, v47, v59
	v_and_b32_e32 v47, 0x7f800000, v59
	s_delay_alu instid0(VALU_DEP_1) | instskip(SKIP_1) | instid1(SALU_CYCLE_1)
	v_cmp_ne_u32_e32 vcc_lo, 0x7f800000, v47
                                        ; implicit-def: $vgpr47
	s_and_saveexec_b32 s14, vcc_lo
	s_xor_b32 s14, exec_lo, s14
; %bb.1693:                             ;   in Loop: Header=BB4_1420 Depth=2
	v_bfe_u32 v47, v59, 16, 1
	s_delay_alu instid0(VALU_DEP_1)
	v_add3_u32 v47, v59, v47, 0x7fff
                                        ; implicit-def: $vgpr59
; %bb.1694:                             ;   in Loop: Header=BB4_1420 Depth=2
	s_and_not1_saveexec_b32 s14, s14
; %bb.1695:                             ;   in Loop: Header=BB4_1420 Depth=2
	v_and_b32_e32 v47, 0xffff, v59
	v_or_b32_e32 v88, 0x10000, v59
	s_delay_alu instid0(VALU_DEP_2) | instskip(NEXT) | instid1(VALU_DEP_2)
	v_cmp_eq_u32_e32 vcc_lo, 0, v47
	v_cndmask_b32_e32 v47, v88, v59, vcc_lo
; %bb.1696:                             ;   in Loop: Header=BB4_1420 Depth=2
	s_or_b32 exec_lo, exec_lo, s14
	v_and_b32_e32 v10, 0xffff0000, v10
	v_and_b32_e32 v57, 0xffff0000, v57
	s_delay_alu instid0(VALU_DEP_1) | instskip(NEXT) | instid1(VALU_DEP_1)
	v_add_f32_e32 v57, v57, v10
	v_and_b32_e32 v10, 0x7f800000, v57
	s_delay_alu instid0(VALU_DEP_1) | instskip(SKIP_1) | instid1(SALU_CYCLE_1)
	v_cmp_ne_u32_e32 vcc_lo, 0x7f800000, v10
                                        ; implicit-def: $vgpr10
	s_and_saveexec_b32 s14, vcc_lo
	s_xor_b32 s14, exec_lo, s14
; %bb.1697:                             ;   in Loop: Header=BB4_1420 Depth=2
	v_bfe_u32 v10, v57, 16, 1
	s_delay_alu instid0(VALU_DEP_1)
	v_add3_u32 v10, v57, v10, 0x7fff
                                        ; implicit-def: $vgpr57
; %bb.1698:                             ;   in Loop: Header=BB4_1420 Depth=2
	s_and_not1_saveexec_b32 s14, s14
; %bb.1699:                             ;   in Loop: Header=BB4_1420 Depth=2
	v_and_b32_e32 v10, 0xffff, v57
	v_or_b32_e32 v59, 0x10000, v57
	s_delay_alu instid0(VALU_DEP_2) | instskip(NEXT) | instid1(VALU_DEP_2)
	v_cmp_eq_u32_e32 vcc_lo, 0, v10
	v_cndmask_b32_e32 v10, v59, v57, vcc_lo
; %bb.1700:                             ;   in Loop: Header=BB4_1420 Depth=2
	s_or_b32 exec_lo, exec_lo, s14
	v_and_b32_e32 v57, 0xffff0000, v58
	v_lshlrev_b32_e32 v58, 16, v11
	s_delay_alu instid0(VALU_DEP_1) | instskip(NEXT) | instid1(VALU_DEP_1)
	v_add_f32_e32 v58, v57, v58
	v_and_b32_e32 v57, 0x7f800000, v58
	s_delay_alu instid0(VALU_DEP_1) | instskip(SKIP_1) | instid1(SALU_CYCLE_1)
	v_cmp_ne_u32_e32 vcc_lo, 0x7f800000, v57
                                        ; implicit-def: $vgpr57
	s_and_saveexec_b32 s14, vcc_lo
	s_xor_b32 s14, exec_lo, s14
; %bb.1701:                             ;   in Loop: Header=BB4_1420 Depth=2
	v_bfe_u32 v57, v58, 16, 1
	s_delay_alu instid0(VALU_DEP_1)
	v_add3_u32 v57, v58, v57, 0x7fff
                                        ; implicit-def: $vgpr58
; %bb.1702:                             ;   in Loop: Header=BB4_1420 Depth=2
	s_and_not1_saveexec_b32 s14, s14
; %bb.1703:                             ;   in Loop: Header=BB4_1420 Depth=2
	v_and_b32_e32 v57, 0xffff, v58
	v_or_b32_e32 v59, 0x10000, v58
	s_delay_alu instid0(VALU_DEP_2) | instskip(NEXT) | instid1(VALU_DEP_2)
	v_cmp_eq_u32_e32 vcc_lo, 0, v57
	v_cndmask_b32_e32 v57, v59, v58, vcc_lo
; %bb.1704:                             ;   in Loop: Header=BB4_1420 Depth=2
	s_or_b32 exec_lo, exec_lo, s14
	v_and_b32_e32 v11, 0xffff0000, v11
	v_and_b32_e32 v15, 0xffff0000, v15
	s_delay_alu instid0(VALU_DEP_1) | instskip(NEXT) | instid1(VALU_DEP_1)
	v_add_f32_e32 v15, v15, v11
	v_and_b32_e32 v11, 0x7f800000, v15
	s_delay_alu instid0(VALU_DEP_1) | instskip(SKIP_1) | instid1(SALU_CYCLE_1)
	v_cmp_ne_u32_e32 vcc_lo, 0x7f800000, v11
                                        ; implicit-def: $vgpr11
	s_and_saveexec_b32 s14, vcc_lo
	s_xor_b32 s14, exec_lo, s14
; %bb.1705:                             ;   in Loop: Header=BB4_1420 Depth=2
	v_bfe_u32 v11, v15, 16, 1
	s_delay_alu instid0(VALU_DEP_1)
	v_add3_u32 v11, v15, v11, 0x7fff
                                        ; implicit-def: $vgpr15
; %bb.1706:                             ;   in Loop: Header=BB4_1420 Depth=2
	s_and_not1_saveexec_b32 s14, s14
; %bb.1707:                             ;   in Loop: Header=BB4_1420 Depth=2
	v_and_b32_e32 v11, 0xffff, v15
	v_or_b32_e32 v58, 0x10000, v15
	s_delay_alu instid0(VALU_DEP_2) | instskip(NEXT) | instid1(VALU_DEP_2)
	v_cmp_eq_u32_e32 vcc_lo, 0, v11
	v_cndmask_b32_e32 v11, v58, v15, vcc_lo
; %bb.1708:                             ;   in Loop: Header=BB4_1420 Depth=2
	s_or_b32 exec_lo, exec_lo, s14
	v_dual_lshrrev_b32 v15, 16, v46 :: v_dual_lshrrev_b32 v46, 16, v56
	v_dual_lshrrev_b32 v47, 16, v47 :: v_dual_lshrrev_b32 v56, 16, v57
	s_mov_b64 s[40:41], 0
	s_delay_alu instid0(VALU_DEP_2) | instskip(NEXT) | instid1(VALU_DEP_3)
	v_and_or_b32 v9, 0xffff0000, v9, v15
	v_and_or_b32 v8, 0xffff0000, v8, v46
	s_delay_alu instid0(VALU_DEP_3)
	v_and_or_b32 v10, 0xffff0000, v10, v47
	v_and_or_b32 v11, 0xffff0000, v11, v56
	s_mov_b32 s92, -1
.LBB4_1709:                             ;   Parent Loop BB4_47 Depth=1
                                        ;     Parent Loop BB4_1420 Depth=2
                                        ; =>    This Inner Loop Header: Depth=3
	s_cmp_eq_u32 s40, 1
	s_cselect_b32 vcc_lo, -1, 0
	s_cmp_eq_u32 s40, 0
	s_wait_xcnt 0x0
	v_dual_cndmask_b32 v47, v43, v45 :: v_dual_cndmask_b32 v46, v42, v44
	s_cselect_b32 s14, -1, 0
	s_and_b32 s15, exec_lo, s92
	s_mov_b64 s[40:41], 1
	s_mov_b32 s92, 0
	v_add_nc_u64_e32 v[56:57], 0x200, v[46:47]
	global_store_b128 v[46:47], v[8:11], off th:TH_STORE_NT
	v_dual_cndmask_b32 v45, v45, v57 :: v_dual_cndmask_b32 v44, v44, v56
	v_dual_cndmask_b32 v43, v43, v57, s14 :: v_dual_cndmask_b32 v42, v42, v56, s14
	s_mov_b32 vcc_lo, s15
	s_cbranch_vccnz .LBB4_1709
.LBB4_1710:                             ;   in Loop: Header=BB4_1420 Depth=2
	s_wait_xcnt 0x0
	s_or_b32 exec_lo, exec_lo, s91
	v_and_b32_e32 v9, 14, v13
	s_mov_b32 s91, exec_lo
                                        ; implicit-def: $vgpr56
                                        ; implicit-def: $vgpr57
                                        ; implicit-def: $vgpr8
                                        ; implicit-def: $vgpr88
	s_delay_alu instid0(VALU_DEP_1) | instskip(NEXT) | instid1(VALU_DEP_1)
	v_cndmask_b32_e64 v15, v62, v9, s13
	v_cmpx_ne_u32_e32 0, v15
	s_cbranch_execz .LBB4_1926
; %bb.1711:                             ;   in Loop: Header=BB4_1420 Depth=2
	v_cmp_lt_i32_e32 vcc_lo, 0, v63
	s_mov_b32 s14, 0
	s_mov_b32 s92, exec_lo
	v_dual_sub_nc_u32 v9, v62, v9 :: v_dual_ashrrev_i32 v42, 31, v15
	s_delay_alu instid0(VALU_DEP_1) | instskip(NEXT) | instid1(VALU_DEP_1)
	v_dual_cndmask_b32 v8, 0, v52, vcc_lo :: v_dual_cndmask_b32 v9, 0, v9, s13
	v_dual_sub_nc_u32 v8, v8, v63 :: v_dual_add_nc_u32 v58, v9, v61
	s_delay_alu instid0(VALU_DEP_1) | instskip(NEXT) | instid1(VALU_DEP_1)
	v_lshl_or_b32 v8, v8, 5, v73
	v_ashrrev_i32_e32 v10, 31, v8
	s_delay_alu instid0(VALU_DEP_1) | instskip(NEXT) | instid1(VALU_DEP_1)
	v_lshrrev_b32_e32 v10, 27, v10
	v_add_nc_u32_e32 v10, v8, v10
	s_delay_alu instid0(VALU_DEP_1) | instskip(NEXT) | instid1(VALU_DEP_1)
	v_and_b32_e32 v11, 0xffffffe0, v10
	v_dual_sub_nc_u32 v59, v8, v11 :: v_dual_lshrrev_b32 v8, 23, v42
	s_delay_alu instid0(VALU_DEP_1) | instskip(NEXT) | instid1(VALU_DEP_2)
	v_dual_ashrrev_i32 v10, 5, v10 :: v_dual_lshlrev_b32 v11, 4, v59
	v_add_nc_u32_e32 v42, v15, v8
	s_delay_alu instid0(VALU_DEP_2) | instskip(NEXT) | instid1(VALU_DEP_2)
	v_lshl_add_u32 v11, v10, 9, v11
	v_and_b32_e32 v61, 0xfffffe00, v42
	v_ashrrev_i32_e32 v42, 9, v42
	s_delay_alu instid0(VALU_DEP_3) | instskip(NEXT) | instid1(VALU_DEP_3)
	v_add_nc_u32_e32 v8, v11, v58
	v_dual_sub_nc_u32 v62, v15, v61 :: v_dual_sub_nc_u32 v88, v15, v11
	s_delay_alu instid0(VALU_DEP_2) | instskip(NEXT) | instid1(VALU_DEP_2)
	v_ashrrev_i32_e32 v9, 31, v8
	v_cmp_lt_i32_e64 s13, 15, v62
	s_delay_alu instid0(VALU_DEP_2) | instskip(NEXT) | instid1(VALU_DEP_2)
	v_add_nc_u64_e32 v[44:45], v[8:9], v[22:23]
	v_add_co_ci_u32_e64 v46, null, 0, v42, s13
	v_add_nc_u64_e32 v[42:43], v[8:9], v[20:21]
	s_delay_alu instid0(VALU_DEP_2)
	v_sub_nc_u32_e32 v63, v46, v10
	v_cmpx_lt_i32_e32 15, v88
	s_cbranch_execz .LBB4_1856
; %bb.1712:                             ;   in Loop: Header=BB4_1420 Depth=2
	s_trap 2
	ds_load_b32 v10, v0
	v_add_nc_u64_e32 v[46:47], v[8:9], v[18:19]
	s_wait_dscnt 0x1
	v_add_nc_u64_e32 v[40:41], v[8:9], v[40:41]
	s_mov_b32 s95, 0
	s_mov_b32 s93, 0
                                        ; implicit-def: $sgpr94
	s_wait_dscnt 0x0
	v_lshlrev_b32_e32 v89, 16, v10
	s_branch .LBB4_1714
.LBB4_1713:                             ;   in Loop: Header=BB4_1714 Depth=3
	s_or_b32 exec_lo, exec_lo, s14
	s_delay_alu instid0(VALU_DEP_1) | instskip(SKIP_3) | instid1(SALU_CYCLE_1)
	v_cmp_gt_i32_e32 vcc_lo, 16, v88
	s_or_b32 s93, vcc_lo, s93
	s_and_not1_b32 s14, s94, exec_lo
	s_and_b32 s15, s95, exec_lo
	s_or_b32 s94, s14, s15
	s_and_not1_b32 exec_lo, exec_lo, s93
	s_cbranch_execz .LBB4_1855
.LBB4_1714:                             ;   Parent Loop BB4_47 Depth=1
                                        ;     Parent Loop BB4_1420 Depth=2
                                        ; =>    This Loop Header: Depth=3
                                        ;         Child Loop BB4_1715 Depth 4
                                        ;         Child Loop BB4_1782 Depth 4
	;; [unrolled: 1-line block ×4, first 2 shown]
	s_add_co_i32 s14, s33, 0xa0
	s_mov_b64 s[40:41], 0
	s_mov_b32 vcc_hi, s14
	s_mov_b32 s30, -1
.LBB4_1715:                             ;   Parent Loop BB4_47 Depth=1
                                        ;     Parent Loop BB4_1420 Depth=2
                                        ;       Parent Loop BB4_1714 Depth=3
                                        ; =>      This Inner Loop Header: Depth=4
	s_cmp_eq_u32 s40, 1
	s_cselect_b32 vcc_lo, -1, 0
	s_cmp_eq_u32 s40, 0
	v_dual_cndmask_b32 v57, v47, v41 :: v_dual_cndmask_b32 v56, v46, v40
	s_cselect_b32 s14, -1, 0
	s_and_b32 s15, exec_lo, s30
	s_mov_b64 s[40:41], 1
	s_mov_b32 s30, 0
	global_load_b128 v[8:11], v[56:57], off th:TH_LOAD_NT
	s_wait_xcnt 0x0
	v_add_nc_u64_e32 v[56:57], 0x200, v[56:57]
	s_delay_alu instid0(VALU_DEP_1)
	v_dual_cndmask_b32 v47, v47, v57, s14 :: v_dual_cndmask_b32 v46, v46, v56, s14
	v_dual_cndmask_b32 v41, v41, v57 :: v_dual_cndmask_b32 v40, v40, v56
	s_mov_b32 vcc_lo, s15
	s_wait_loadcnt 0x0
	scratch_store_b128 off, v[8:11], vcc_hi
	s_wait_xcnt 0x0
	s_mov_b32 vcc_hi, s62
	s_cbranch_vccnz .LBB4_1715
; %bb.1716:                             ;   in Loop: Header=BB4_1714 Depth=3
	s_and_saveexec_b32 vcc_hi, s95
	s_cbranch_execz .LBB4_1784
; %bb.1717:                             ;   in Loop: Header=BB4_1714 Depth=3
	scratch_load_b128 v[8:11], off, s33 offset:192
	s_wait_loadcnt 0x0
	v_lshlrev_b32_e32 v56, 16, v8
	s_delay_alu instid0(VALU_DEP_1) | instskip(NEXT) | instid1(VALU_DEP_1)
	v_mul_f32_e32 v56, v89, v56
	v_and_b32_e32 v57, 0x7f800000, v56
	s_delay_alu instid0(VALU_DEP_1) | instskip(SKIP_2) | instid1(SALU_CYCLE_1)
	v_cmp_ne_u32_e32 vcc_lo, 0x7f800000, v57
                                        ; implicit-def: $vgpr57
	s_wait_xcnt 0x0
	s_and_saveexec_b32 s14, vcc_lo
	s_xor_b32 s14, exec_lo, s14
; %bb.1718:                             ;   in Loop: Header=BB4_1714 Depth=3
	v_bfe_u32 v57, v56, 16, 1
	s_delay_alu instid0(VALU_DEP_1)
	v_add3_u32 v57, v56, v57, 0x7fff
                                        ; implicit-def: $vgpr56
; %bb.1719:                             ;   in Loop: Header=BB4_1714 Depth=3
	s_and_not1_saveexec_b32 s14, s14
; %bb.1720:                             ;   in Loop: Header=BB4_1714 Depth=3
	v_and_b32_e32 v57, 0xffff, v56
	v_or_b32_e32 v90, 0x10000, v56
	s_delay_alu instid0(VALU_DEP_2) | instskip(NEXT) | instid1(VALU_DEP_2)
	v_cmp_eq_u32_e32 vcc_lo, 0, v57
	v_cndmask_b32_e32 v57, v90, v56, vcc_lo
; %bb.1721:                             ;   in Loop: Header=BB4_1714 Depth=3
	s_or_b32 exec_lo, exec_lo, s14
	v_and_b32_e32 v8, 0xffff0000, v8
	s_delay_alu instid0(VALU_DEP_1) | instskip(NEXT) | instid1(VALU_DEP_1)
	v_mul_f32_e32 v8, v89, v8
	v_and_b32_e32 v56, 0x7f800000, v8
	s_delay_alu instid0(VALU_DEP_1) | instskip(SKIP_1) | instid1(SALU_CYCLE_1)
	v_cmp_ne_u32_e32 vcc_lo, 0x7f800000, v56
                                        ; implicit-def: $vgpr56
	s_and_saveexec_b32 s14, vcc_lo
	s_xor_b32 s14, exec_lo, s14
; %bb.1722:                             ;   in Loop: Header=BB4_1714 Depth=3
	v_bfe_u32 v56, v8, 16, 1
	s_delay_alu instid0(VALU_DEP_1)
	v_add3_u32 v56, v8, v56, 0x7fff
                                        ; implicit-def: $vgpr8
; %bb.1723:                             ;   in Loop: Header=BB4_1714 Depth=3
	s_and_not1_saveexec_b32 s14, s14
; %bb.1724:                             ;   in Loop: Header=BB4_1714 Depth=3
	v_and_b32_e32 v56, 0xffff, v8
	v_or_b32_e32 v90, 0x10000, v8
	s_delay_alu instid0(VALU_DEP_2) | instskip(NEXT) | instid1(VALU_DEP_2)
	v_cmp_eq_u32_e32 vcc_lo, 0, v56
	v_cndmask_b32_e32 v56, v90, v8, vcc_lo
; %bb.1725:                             ;   in Loop: Header=BB4_1714 Depth=3
	s_or_b32 exec_lo, exec_lo, s14
	v_lshlrev_b32_e32 v8, 16, v9
	s_mov_b32 s14, exec_lo
                                        ; implicit-def: $vgpr104
	s_delay_alu instid0(VALU_DEP_1) | instskip(NEXT) | instid1(VALU_DEP_1)
	v_mul_f32_e32 v8, v89, v8
	v_and_b32_e32 v90, 0x7f800000, v8
	s_delay_alu instid0(VALU_DEP_1)
	v_cmpx_ne_u32_e32 0x7f800000, v90
	s_xor_b32 s14, exec_lo, s14
; %bb.1726:                             ;   in Loop: Header=BB4_1714 Depth=3
	v_bfe_u32 v90, v8, 16, 1
	s_delay_alu instid0(VALU_DEP_1)
	v_add3_u32 v104, v8, v90, 0x7fff
                                        ; implicit-def: $vgpr8
; %bb.1727:                             ;   in Loop: Header=BB4_1714 Depth=3
	s_and_not1_saveexec_b32 s14, s14
; %bb.1728:                             ;   in Loop: Header=BB4_1714 Depth=3
	v_and_b32_e32 v90, 0xffff, v8
	v_or_b32_e32 v91, 0x10000, v8
	s_delay_alu instid0(VALU_DEP_2) | instskip(NEXT) | instid1(VALU_DEP_2)
	v_cmp_eq_u32_e32 vcc_lo, 0, v90
	v_cndmask_b32_e32 v104, v91, v8, vcc_lo
; %bb.1729:                             ;   in Loop: Header=BB4_1714 Depth=3
	s_or_b32 exec_lo, exec_lo, s14
	v_and_b32_e32 v8, 0xffff0000, v9
	s_mov_b32 s14, exec_lo
                                        ; implicit-def: $vgpr94
	s_delay_alu instid0(VALU_DEP_1) | instskip(NEXT) | instid1(VALU_DEP_1)
	v_mul_f32_e32 v8, v89, v8
	v_and_b32_e32 v9, 0x7f800000, v8
	s_delay_alu instid0(VALU_DEP_1)
	v_cmpx_ne_u32_e32 0x7f800000, v9
	s_xor_b32 s14, exec_lo, s14
; %bb.1730:                             ;   in Loop: Header=BB4_1714 Depth=3
	v_bfe_u32 v9, v8, 16, 1
	s_delay_alu instid0(VALU_DEP_1)
	v_add3_u32 v94, v8, v9, 0x7fff
                                        ; implicit-def: $vgpr8
; %bb.1731:                             ;   in Loop: Header=BB4_1714 Depth=3
	s_and_not1_saveexec_b32 s14, s14
; %bb.1732:                             ;   in Loop: Header=BB4_1714 Depth=3
	v_and_b32_e32 v9, 0xffff, v8
	v_or_b32_e32 v90, 0x10000, v8
	s_delay_alu instid0(VALU_DEP_2) | instskip(NEXT) | instid1(VALU_DEP_2)
	v_cmp_eq_u32_e32 vcc_lo, 0, v9
	v_cndmask_b32_e32 v94, v90, v8, vcc_lo
; %bb.1733:                             ;   in Loop: Header=BB4_1714 Depth=3
	s_or_b32 exec_lo, exec_lo, s14
	v_lshlrev_b32_e32 v8, 16, v10
	s_mov_b32 s14, exec_lo
                                        ; implicit-def: $vgpr95
	s_delay_alu instid0(VALU_DEP_1) | instskip(NEXT) | instid1(VALU_DEP_1)
	v_mul_f32_e32 v8, v89, v8
	v_and_b32_e32 v9, 0x7f800000, v8
	s_delay_alu instid0(VALU_DEP_1)
	v_cmpx_ne_u32_e32 0x7f800000, v9
	s_xor_b32 s14, exec_lo, s14
; %bb.1734:                             ;   in Loop: Header=BB4_1714 Depth=3
	v_bfe_u32 v9, v8, 16, 1
	s_delay_alu instid0(VALU_DEP_1)
	v_add3_u32 v95, v8, v9, 0x7fff
                                        ; implicit-def: $vgpr8
; %bb.1735:                             ;   in Loop: Header=BB4_1714 Depth=3
	s_and_not1_saveexec_b32 s14, s14
; %bb.1736:                             ;   in Loop: Header=BB4_1714 Depth=3
	v_and_b32_e32 v9, 0xffff, v8
	v_or_b32_e32 v90, 0x10000, v8
	s_delay_alu instid0(VALU_DEP_2) | instskip(NEXT) | instid1(VALU_DEP_2)
	v_cmp_eq_u32_e32 vcc_lo, 0, v9
	v_cndmask_b32_e32 v95, v90, v8, vcc_lo
; %bb.1737:                             ;   in Loop: Header=BB4_1714 Depth=3
	s_or_b32 exec_lo, exec_lo, s14
	v_and_b32_e32 v8, 0xffff0000, v10
	s_mov_b32 s14, exec_lo
                                        ; implicit-def: $vgpr92
	s_delay_alu instid0(VALU_DEP_1) | instskip(NEXT) | instid1(VALU_DEP_1)
	v_mul_f32_e32 v8, v89, v8
	v_and_b32_e32 v9, 0x7f800000, v8
	s_delay_alu instid0(VALU_DEP_1)
	v_cmpx_ne_u32_e32 0x7f800000, v9
	s_xor_b32 s14, exec_lo, s14
; %bb.1738:                             ;   in Loop: Header=BB4_1714 Depth=3
	v_bfe_u32 v9, v8, 16, 1
	s_delay_alu instid0(VALU_DEP_1)
	v_add3_u32 v92, v8, v9, 0x7fff
                                        ; implicit-def: $vgpr8
; %bb.1739:                             ;   in Loop: Header=BB4_1714 Depth=3
	s_and_not1_saveexec_b32 s14, s14
; %bb.1740:                             ;   in Loop: Header=BB4_1714 Depth=3
	v_and_b32_e32 v9, 0xffff, v8
	v_or_b32_e32 v10, 0x10000, v8
	s_delay_alu instid0(VALU_DEP_2) | instskip(NEXT) | instid1(VALU_DEP_2)
	v_cmp_eq_u32_e32 vcc_lo, 0, v9
	v_cndmask_b32_e32 v92, v10, v8, vcc_lo
; %bb.1741:                             ;   in Loop: Header=BB4_1714 Depth=3
	s_or_b32 exec_lo, exec_lo, s14
	v_lshlrev_b32_e32 v8, 16, v11
	s_mov_b32 s14, exec_lo
                                        ; implicit-def: $vgpr93
	s_delay_alu instid0(VALU_DEP_1) | instskip(NEXT) | instid1(VALU_DEP_1)
	v_mul_f32_e32 v8, v89, v8
	v_and_b32_e32 v9, 0x7f800000, v8
	s_delay_alu instid0(VALU_DEP_1)
	v_cmpx_ne_u32_e32 0x7f800000, v9
	s_xor_b32 s14, exec_lo, s14
; %bb.1742:                             ;   in Loop: Header=BB4_1714 Depth=3
	v_bfe_u32 v9, v8, 16, 1
	s_delay_alu instid0(VALU_DEP_1)
	v_add3_u32 v93, v8, v9, 0x7fff
                                        ; implicit-def: $vgpr8
; %bb.1743:                             ;   in Loop: Header=BB4_1714 Depth=3
	s_and_not1_saveexec_b32 s14, s14
; %bb.1744:                             ;   in Loop: Header=BB4_1714 Depth=3
	v_and_b32_e32 v9, 0xffff, v8
	v_or_b32_e32 v10, 0x10000, v8
	s_delay_alu instid0(VALU_DEP_2) | instskip(NEXT) | instid1(VALU_DEP_2)
	v_cmp_eq_u32_e32 vcc_lo, 0, v9
	v_cndmask_b32_e32 v93, v10, v8, vcc_lo
; %bb.1745:                             ;   in Loop: Header=BB4_1714 Depth=3
	s_or_b32 exec_lo, exec_lo, s14
	v_and_b32_e32 v8, 0xffff0000, v11
	s_mov_b32 s14, exec_lo
                                        ; implicit-def: $vgpr90
	s_delay_alu instid0(VALU_DEP_1) | instskip(NEXT) | instid1(VALU_DEP_1)
	v_mul_f32_e32 v8, v89, v8
	v_and_b32_e32 v9, 0x7f800000, v8
	s_delay_alu instid0(VALU_DEP_1)
	v_cmpx_ne_u32_e32 0x7f800000, v9
	s_xor_b32 s14, exec_lo, s14
; %bb.1746:                             ;   in Loop: Header=BB4_1714 Depth=3
	v_bfe_u32 v9, v8, 16, 1
	s_delay_alu instid0(VALU_DEP_1)
	v_add3_u32 v90, v8, v9, 0x7fff
                                        ; implicit-def: $vgpr8
; %bb.1747:                             ;   in Loop: Header=BB4_1714 Depth=3
	s_and_not1_saveexec_b32 s14, s14
; %bb.1748:                             ;   in Loop: Header=BB4_1714 Depth=3
	v_and_b32_e32 v9, 0xffff, v8
	v_or_b32_e32 v10, 0x10000, v8
	s_delay_alu instid0(VALU_DEP_2) | instskip(NEXT) | instid1(VALU_DEP_2)
	v_cmp_eq_u32_e32 vcc_lo, 0, v9
	v_cndmask_b32_e32 v90, v10, v8, vcc_lo
; %bb.1749:                             ;   in Loop: Header=BB4_1714 Depth=3
	s_or_b32 exec_lo, exec_lo, s14
	scratch_load_b128 v[8:11], off, s33 offset:208
	v_and_b32_e32 v57, 0xffff0000, v57
	s_wait_loadcnt 0x0
	v_lshlrev_b32_e32 v91, 16, v8
	s_delay_alu instid0(VALU_DEP_1) | instskip(NEXT) | instid1(VALU_DEP_1)
	v_add_f32_e32 v57, v57, v91
	v_and_b32_e32 v91, 0x7f800000, v57
	s_delay_alu instid0(VALU_DEP_1) | instskip(SKIP_2) | instid1(SALU_CYCLE_1)
	v_cmp_ne_u32_e32 vcc_lo, 0x7f800000, v91
                                        ; implicit-def: $vgpr91
	s_wait_xcnt 0x0
	s_and_saveexec_b32 s14, vcc_lo
	s_xor_b32 s14, exec_lo, s14
; %bb.1750:                             ;   in Loop: Header=BB4_1714 Depth=3
	v_bfe_u32 v91, v57, 16, 1
	s_delay_alu instid0(VALU_DEP_1)
	v_add3_u32 v91, v57, v91, 0x7fff
                                        ; implicit-def: $vgpr57
; %bb.1751:                             ;   in Loop: Header=BB4_1714 Depth=3
	s_and_not1_saveexec_b32 s14, s14
; %bb.1752:                             ;   in Loop: Header=BB4_1714 Depth=3
	v_and_b32_e32 v91, 0xffff, v57
	v_or_b32_e32 v105, 0x10000, v57
	s_delay_alu instid0(VALU_DEP_2) | instskip(NEXT) | instid1(VALU_DEP_2)
	v_cmp_eq_u32_e32 vcc_lo, 0, v91
	v_cndmask_b32_e32 v91, v105, v57, vcc_lo
; %bb.1753:                             ;   in Loop: Header=BB4_1714 Depth=3
	s_or_b32 exec_lo, exec_lo, s14
	v_and_b32_e32 v57, 0xffff0000, v8
	v_and_b32_e32 v56, 0xffff0000, v56
	s_delay_alu instid0(VALU_DEP_2) | instskip(NEXT) | instid1(VALU_DEP_1)
	v_mov_b32_e32 v8, v57
	v_pk_add_f32 v[56:57], v[8:9], v[56:57]
	s_delay_alu instid0(VALU_DEP_1) | instskip(NEXT) | instid1(VALU_DEP_1)
	v_and_b32_e32 v8, 0x7f800000, v56
	v_cmp_ne_u32_e32 vcc_lo, 0x7f800000, v8
                                        ; implicit-def: $vgpr8
	s_and_saveexec_b32 s14, vcc_lo
	s_delay_alu instid0(SALU_CYCLE_1)
	s_xor_b32 s14, exec_lo, s14
; %bb.1754:                             ;   in Loop: Header=BB4_1714 Depth=3
	v_bfe_u32 v8, v56, 16, 1
	s_delay_alu instid0(VALU_DEP_1)
	v_add3_u32 v8, v56, v8, 0x7fff
                                        ; implicit-def: $vgpr56_vgpr57
; %bb.1755:                             ;   in Loop: Header=BB4_1714 Depth=3
	s_and_not1_saveexec_b32 s14, s14
; %bb.1756:                             ;   in Loop: Header=BB4_1714 Depth=3
	v_and_b32_e32 v8, 0xffff, v56
	v_or_b32_e32 v57, 0x10000, v56
	s_delay_alu instid0(VALU_DEP_2) | instskip(NEXT) | instid1(VALU_DEP_2)
	v_cmp_eq_u32_e32 vcc_lo, 0, v8
	v_cndmask_b32_e32 v8, v57, v56, vcc_lo
; %bb.1757:                             ;   in Loop: Header=BB4_1714 Depth=3
	s_or_b32 exec_lo, exec_lo, s14
	v_and_b32_e32 v56, 0xffff0000, v104
	v_lshlrev_b32_e32 v57, 16, v9
	s_delay_alu instid0(VALU_DEP_1) | instskip(NEXT) | instid1(VALU_DEP_1)
	v_add_f32_e32 v57, v56, v57
	v_and_b32_e32 v56, 0x7f800000, v57
	s_delay_alu instid0(VALU_DEP_1) | instskip(SKIP_1) | instid1(SALU_CYCLE_1)
	v_cmp_ne_u32_e32 vcc_lo, 0x7f800000, v56
                                        ; implicit-def: $vgpr56
	s_and_saveexec_b32 s14, vcc_lo
	s_xor_b32 s14, exec_lo, s14
; %bb.1758:                             ;   in Loop: Header=BB4_1714 Depth=3
	v_bfe_u32 v56, v57, 16, 1
	s_delay_alu instid0(VALU_DEP_1)
	v_add3_u32 v56, v57, v56, 0x7fff
                                        ; implicit-def: $vgpr57
; %bb.1759:                             ;   in Loop: Header=BB4_1714 Depth=3
	s_and_not1_saveexec_b32 s14, s14
; %bb.1760:                             ;   in Loop: Header=BB4_1714 Depth=3
	v_and_b32_e32 v56, 0xffff, v57
	v_or_b32_e32 v104, 0x10000, v57
	s_delay_alu instid0(VALU_DEP_2) | instskip(NEXT) | instid1(VALU_DEP_2)
	v_cmp_eq_u32_e32 vcc_lo, 0, v56
	v_cndmask_b32_e32 v56, v104, v57, vcc_lo
; %bb.1761:                             ;   in Loop: Header=BB4_1714 Depth=3
	s_or_b32 exec_lo, exec_lo, s14
	v_and_b32_e32 v9, 0xffff0000, v9
	v_and_b32_e32 v57, 0xffff0000, v94
	s_delay_alu instid0(VALU_DEP_1) | instskip(NEXT) | instid1(VALU_DEP_1)
	v_add_f32_e32 v57, v57, v9
	v_and_b32_e32 v9, 0x7f800000, v57
	s_delay_alu instid0(VALU_DEP_1) | instskip(SKIP_1) | instid1(SALU_CYCLE_1)
	v_cmp_ne_u32_e32 vcc_lo, 0x7f800000, v9
                                        ; implicit-def: $vgpr9
	s_and_saveexec_b32 s14, vcc_lo
	s_xor_b32 s14, exec_lo, s14
; %bb.1762:                             ;   in Loop: Header=BB4_1714 Depth=3
	v_bfe_u32 v9, v57, 16, 1
	s_delay_alu instid0(VALU_DEP_1)
	v_add3_u32 v9, v57, v9, 0x7fff
                                        ; implicit-def: $vgpr57
; %bb.1763:                             ;   in Loop: Header=BB4_1714 Depth=3
	s_and_not1_saveexec_b32 s14, s14
; %bb.1764:                             ;   in Loop: Header=BB4_1714 Depth=3
	v_and_b32_e32 v9, 0xffff, v57
	v_or_b32_e32 v94, 0x10000, v57
	s_delay_alu instid0(VALU_DEP_2) | instskip(NEXT) | instid1(VALU_DEP_2)
	v_cmp_eq_u32_e32 vcc_lo, 0, v9
	v_cndmask_b32_e32 v9, v94, v57, vcc_lo
; %bb.1765:                             ;   in Loop: Header=BB4_1714 Depth=3
	s_or_b32 exec_lo, exec_lo, s14
	v_and_b32_e32 v57, 0xffff0000, v95
	v_lshlrev_b32_e32 v94, 16, v10
	s_delay_alu instid0(VALU_DEP_1) | instskip(NEXT) | instid1(VALU_DEP_1)
	v_add_f32_e32 v94, v57, v94
	v_and_b32_e32 v57, 0x7f800000, v94
	s_delay_alu instid0(VALU_DEP_1) | instskip(SKIP_1) | instid1(SALU_CYCLE_1)
	v_cmp_ne_u32_e32 vcc_lo, 0x7f800000, v57
                                        ; implicit-def: $vgpr57
	s_and_saveexec_b32 s14, vcc_lo
	s_xor_b32 s14, exec_lo, s14
; %bb.1766:                             ;   in Loop: Header=BB4_1714 Depth=3
	v_bfe_u32 v57, v94, 16, 1
	s_delay_alu instid0(VALU_DEP_1)
	v_add3_u32 v57, v94, v57, 0x7fff
                                        ; implicit-def: $vgpr94
; %bb.1767:                             ;   in Loop: Header=BB4_1714 Depth=3
	s_and_not1_saveexec_b32 s14, s14
; %bb.1768:                             ;   in Loop: Header=BB4_1714 Depth=3
	v_and_b32_e32 v57, 0xffff, v94
	v_or_b32_e32 v95, 0x10000, v94
	s_delay_alu instid0(VALU_DEP_2) | instskip(NEXT) | instid1(VALU_DEP_2)
	v_cmp_eq_u32_e32 vcc_lo, 0, v57
	v_cndmask_b32_e32 v57, v95, v94, vcc_lo
; %bb.1769:                             ;   in Loop: Header=BB4_1714 Depth=3
	s_or_b32 exec_lo, exec_lo, s14
	v_and_b32_e32 v10, 0xffff0000, v10
	v_and_b32_e32 v92, 0xffff0000, v92
	s_delay_alu instid0(VALU_DEP_1) | instskip(NEXT) | instid1(VALU_DEP_1)
	v_add_f32_e32 v92, v92, v10
	v_and_b32_e32 v10, 0x7f800000, v92
	s_delay_alu instid0(VALU_DEP_1) | instskip(SKIP_1) | instid1(SALU_CYCLE_1)
	v_cmp_ne_u32_e32 vcc_lo, 0x7f800000, v10
                                        ; implicit-def: $vgpr10
	s_and_saveexec_b32 s14, vcc_lo
	s_xor_b32 s14, exec_lo, s14
; %bb.1770:                             ;   in Loop: Header=BB4_1714 Depth=3
	v_bfe_u32 v10, v92, 16, 1
	s_delay_alu instid0(VALU_DEP_1)
	v_add3_u32 v10, v92, v10, 0x7fff
                                        ; implicit-def: $vgpr92
; %bb.1771:                             ;   in Loop: Header=BB4_1714 Depth=3
	s_and_not1_saveexec_b32 s14, s14
; %bb.1772:                             ;   in Loop: Header=BB4_1714 Depth=3
	v_and_b32_e32 v10, 0xffff, v92
	v_or_b32_e32 v94, 0x10000, v92
	s_delay_alu instid0(VALU_DEP_2) | instskip(NEXT) | instid1(VALU_DEP_2)
	v_cmp_eq_u32_e32 vcc_lo, 0, v10
	v_cndmask_b32_e32 v10, v94, v92, vcc_lo
; %bb.1773:                             ;   in Loop: Header=BB4_1714 Depth=3
	s_or_b32 exec_lo, exec_lo, s14
	v_and_b32_e32 v92, 0xffff0000, v93
	v_lshlrev_b32_e32 v93, 16, v11
	s_delay_alu instid0(VALU_DEP_1) | instskip(NEXT) | instid1(VALU_DEP_1)
	v_add_f32_e32 v93, v92, v93
	v_and_b32_e32 v92, 0x7f800000, v93
	s_delay_alu instid0(VALU_DEP_1) | instskip(SKIP_1) | instid1(SALU_CYCLE_1)
	v_cmp_ne_u32_e32 vcc_lo, 0x7f800000, v92
                                        ; implicit-def: $vgpr92
	s_and_saveexec_b32 s14, vcc_lo
	s_xor_b32 s14, exec_lo, s14
; %bb.1774:                             ;   in Loop: Header=BB4_1714 Depth=3
	v_bfe_u32 v92, v93, 16, 1
	s_delay_alu instid0(VALU_DEP_1)
	v_add3_u32 v92, v93, v92, 0x7fff
                                        ; implicit-def: $vgpr93
; %bb.1775:                             ;   in Loop: Header=BB4_1714 Depth=3
	s_and_not1_saveexec_b32 s14, s14
; %bb.1776:                             ;   in Loop: Header=BB4_1714 Depth=3
	v_and_b32_e32 v92, 0xffff, v93
	v_or_b32_e32 v94, 0x10000, v93
	s_delay_alu instid0(VALU_DEP_2) | instskip(NEXT) | instid1(VALU_DEP_2)
	v_cmp_eq_u32_e32 vcc_lo, 0, v92
	v_cndmask_b32_e32 v92, v94, v93, vcc_lo
; %bb.1777:                             ;   in Loop: Header=BB4_1714 Depth=3
	s_or_b32 exec_lo, exec_lo, s14
	v_and_b32_e32 v11, 0xffff0000, v11
	v_and_b32_e32 v90, 0xffff0000, v90
	s_delay_alu instid0(VALU_DEP_1) | instskip(NEXT) | instid1(VALU_DEP_1)
	v_add_f32_e32 v90, v90, v11
	v_and_b32_e32 v11, 0x7f800000, v90
	s_delay_alu instid0(VALU_DEP_1) | instskip(SKIP_1) | instid1(SALU_CYCLE_1)
	v_cmp_ne_u32_e32 vcc_lo, 0x7f800000, v11
                                        ; implicit-def: $vgpr11
	s_and_saveexec_b32 s14, vcc_lo
	s_xor_b32 s14, exec_lo, s14
; %bb.1778:                             ;   in Loop: Header=BB4_1714 Depth=3
	v_bfe_u32 v11, v90, 16, 1
	s_delay_alu instid0(VALU_DEP_1)
	v_add3_u32 v11, v90, v11, 0x7fff
                                        ; implicit-def: $vgpr90
; %bb.1779:                             ;   in Loop: Header=BB4_1714 Depth=3
	s_and_not1_saveexec_b32 s14, s14
; %bb.1780:                             ;   in Loop: Header=BB4_1714 Depth=3
	v_and_b32_e32 v11, 0xffff, v90
	v_or_b32_e32 v93, 0x10000, v90
	s_delay_alu instid0(VALU_DEP_2) | instskip(NEXT) | instid1(VALU_DEP_2)
	v_cmp_eq_u32_e32 vcc_lo, 0, v11
	v_cndmask_b32_e32 v11, v93, v90, vcc_lo
; %bb.1781:                             ;   in Loop: Header=BB4_1714 Depth=3
	s_or_b32 exec_lo, exec_lo, s14
	v_dual_lshrrev_b32 v56, 16, v56 :: v_dual_lshrrev_b32 v90, 16, v91
	v_dual_lshrrev_b32 v57, 16, v57 :: v_dual_lshrrev_b32 v91, 16, v92
	s_mov_b64 s[40:41], 0
	s_delay_alu instid0(VALU_DEP_2) | instskip(NEXT) | instid1(VALU_DEP_3)
	v_and_or_b32 v9, 0xffff0000, v9, v56
	v_and_or_b32 v8, 0xffff0000, v8, v90
	s_delay_alu instid0(VALU_DEP_3)
	v_and_or_b32 v10, 0xffff0000, v10, v57
	v_and_or_b32 v11, 0xffff0000, v11, v91
	s_mov_b32 s95, -1
	scratch_store_b128 off, v[8:11], s33 offset:192
.LBB4_1782:                             ;   Parent Loop BB4_47 Depth=1
                                        ;     Parent Loop BB4_1420 Depth=2
                                        ;       Parent Loop BB4_1714 Depth=3
                                        ; =>      This Inner Loop Header: Depth=4
	s_cmp_eq_u32 s40, 1
	s_cselect_b32 vcc_lo, -1, 0
	s_cmp_eq_u32 s40, 0
	s_wait_xcnt 0x0
	v_dual_cndmask_b32 v57, v43, v45 :: v_dual_cndmask_b32 v56, v42, v44
	s_cselect_b32 s14, -1, 0
	s_and_b32 s15, exec_lo, s95
	s_mov_b64 s[40:41], 1
	s_mov_b32 s95, 0
	v_add_nc_u64_e32 v[90:91], 0x200, v[56:57]
	global_store_b128 v[56:57], v[8:11], off th:TH_STORE_NT
	v_dual_cndmask_b32 v45, v45, v91 :: v_dual_cndmask_b32 v44, v44, v90
	v_dual_cndmask_b32 v43, v43, v91, s14 :: v_dual_cndmask_b32 v42, v42, v90, s14
	s_mov_b32 vcc_lo, s15
	s_cbranch_vccnz .LBB4_1782
; %bb.1783:                             ;   in Loop: Header=BB4_1714 Depth=3
	s_delay_alu instid0(VALU_DEP_1)
	v_add_nc_u64_e32 v[42:43], v[42:43], v[84:85]
	v_add_nc_u64_e32 v[44:45], v[44:45], v[84:85]
.LBB4_1784:                             ;   in Loop: Header=BB4_1714 Depth=3
	s_wait_xcnt 0x0
	s_or_b32 exec_lo, exec_lo, vcc_hi
	v_sub_nc_u32_e32 v88, v88, v78
	v_add_nc_u64_e32 v[46:47], v[46:47], v[84:85]
	v_add_nc_u64_e32 v[40:41], v[40:41], v[84:85]
	s_delay_alu instid0(VALU_DEP_3)
	v_cmp_lt_i32_e64 s95, 15, v88
	s_and_saveexec_b32 vcc_hi, s95
	s_cbranch_execz .LBB4_1787
; %bb.1785:                             ;   in Loop: Header=BB4_1714 Depth=3
	s_add_co_i32 s14, s33, 0xc0
	s_mov_b64 s[40:41], 0
	s_mov_b32 s30, s14
	s_mov_b32 s31, -1
.LBB4_1786:                             ;   Parent Loop BB4_47 Depth=1
                                        ;     Parent Loop BB4_1420 Depth=2
                                        ;       Parent Loop BB4_1714 Depth=3
                                        ; =>      This Inner Loop Header: Depth=4
	s_cmp_eq_u32 s40, 1
	s_cselect_b32 vcc_lo, -1, 0
	s_cmp_eq_u32 s40, 0
	v_dual_cndmask_b32 v57, v47, v41 :: v_dual_cndmask_b32 v56, v46, v40
	s_cselect_b32 s14, -1, 0
	s_and_b32 s15, exec_lo, s31
	s_mov_b64 s[40:41], 1
	s_mov_b32 s31, 0
	global_load_b128 v[8:11], v[56:57], off th:TH_LOAD_NT
	s_wait_xcnt 0x0
	v_add_nc_u64_e32 v[56:57], 0x200, v[56:57]
	s_delay_alu instid0(VALU_DEP_1)
	v_dual_cndmask_b32 v47, v47, v57, s14 :: v_dual_cndmask_b32 v46, v46, v56, s14
	v_dual_cndmask_b32 v41, v41, v57 :: v_dual_cndmask_b32 v40, v40, v56
	s_mov_b32 vcc_lo, s15
	s_wait_loadcnt 0x0
	scratch_store_b128 off, v[8:11], s30
	s_wait_xcnt 0x0
	s_mov_b32 s30, s61
	s_cbranch_vccnz .LBB4_1786
.LBB4_1787:                             ;   in Loop: Header=BB4_1714 Depth=3
	s_or_b32 exec_lo, exec_lo, vcc_hi
	scratch_load_b128 v[8:11], off, s33 offset:160
	s_wait_loadcnt 0x0
	v_lshlrev_b32_e32 v56, 16, v8
	s_delay_alu instid0(VALU_DEP_1) | instskip(NEXT) | instid1(VALU_DEP_1)
	v_mul_f32_e32 v56, v89, v56
	v_and_b32_e32 v57, 0x7f800000, v56
	s_delay_alu instid0(VALU_DEP_1) | instskip(SKIP_2) | instid1(SALU_CYCLE_1)
	v_cmp_ne_u32_e32 vcc_lo, 0x7f800000, v57
                                        ; implicit-def: $vgpr57
	s_wait_xcnt 0x0
	s_and_saveexec_b32 s14, vcc_lo
	s_xor_b32 s14, exec_lo, s14
; %bb.1788:                             ;   in Loop: Header=BB4_1714 Depth=3
	v_bfe_u32 v57, v56, 16, 1
	s_delay_alu instid0(VALU_DEP_1)
	v_add3_u32 v57, v56, v57, 0x7fff
                                        ; implicit-def: $vgpr56
; %bb.1789:                             ;   in Loop: Header=BB4_1714 Depth=3
	s_and_not1_saveexec_b32 s14, s14
; %bb.1790:                             ;   in Loop: Header=BB4_1714 Depth=3
	v_and_b32_e32 v57, 0xffff, v56
	v_or_b32_e32 v90, 0x10000, v56
	s_delay_alu instid0(VALU_DEP_2) | instskip(NEXT) | instid1(VALU_DEP_2)
	v_cmp_eq_u32_e32 vcc_lo, 0, v57
	v_cndmask_b32_e32 v57, v90, v56, vcc_lo
; %bb.1791:                             ;   in Loop: Header=BB4_1714 Depth=3
	s_or_b32 exec_lo, exec_lo, s14
	v_and_b32_e32 v8, 0xffff0000, v8
	s_delay_alu instid0(VALU_DEP_1) | instskip(NEXT) | instid1(VALU_DEP_1)
	v_mul_f32_e32 v8, v89, v8
	v_and_b32_e32 v56, 0x7f800000, v8
	s_delay_alu instid0(VALU_DEP_1) | instskip(SKIP_1) | instid1(SALU_CYCLE_1)
	v_cmp_ne_u32_e32 vcc_lo, 0x7f800000, v56
                                        ; implicit-def: $vgpr56
	s_and_saveexec_b32 s14, vcc_lo
	s_xor_b32 s14, exec_lo, s14
; %bb.1792:                             ;   in Loop: Header=BB4_1714 Depth=3
	v_bfe_u32 v56, v8, 16, 1
	s_delay_alu instid0(VALU_DEP_1)
	v_add3_u32 v56, v8, v56, 0x7fff
                                        ; implicit-def: $vgpr8
; %bb.1793:                             ;   in Loop: Header=BB4_1714 Depth=3
	s_and_not1_saveexec_b32 s14, s14
; %bb.1794:                             ;   in Loop: Header=BB4_1714 Depth=3
	v_and_b32_e32 v56, 0xffff, v8
	v_or_b32_e32 v90, 0x10000, v8
	s_delay_alu instid0(VALU_DEP_2) | instskip(NEXT) | instid1(VALU_DEP_2)
	v_cmp_eq_u32_e32 vcc_lo, 0, v56
	v_cndmask_b32_e32 v56, v90, v8, vcc_lo
; %bb.1795:                             ;   in Loop: Header=BB4_1714 Depth=3
	s_or_b32 exec_lo, exec_lo, s14
	v_lshlrev_b32_e32 v8, 16, v9
	s_mov_b32 s14, exec_lo
                                        ; implicit-def: $vgpr104
	s_delay_alu instid0(VALU_DEP_1) | instskip(NEXT) | instid1(VALU_DEP_1)
	v_mul_f32_e32 v8, v89, v8
	v_and_b32_e32 v90, 0x7f800000, v8
	s_delay_alu instid0(VALU_DEP_1)
	v_cmpx_ne_u32_e32 0x7f800000, v90
	s_xor_b32 s14, exec_lo, s14
; %bb.1796:                             ;   in Loop: Header=BB4_1714 Depth=3
	v_bfe_u32 v90, v8, 16, 1
	s_delay_alu instid0(VALU_DEP_1)
	v_add3_u32 v104, v8, v90, 0x7fff
                                        ; implicit-def: $vgpr8
; %bb.1797:                             ;   in Loop: Header=BB4_1714 Depth=3
	s_and_not1_saveexec_b32 s14, s14
; %bb.1798:                             ;   in Loop: Header=BB4_1714 Depth=3
	v_and_b32_e32 v90, 0xffff, v8
	v_or_b32_e32 v91, 0x10000, v8
	s_delay_alu instid0(VALU_DEP_2) | instskip(NEXT) | instid1(VALU_DEP_2)
	v_cmp_eq_u32_e32 vcc_lo, 0, v90
	v_cndmask_b32_e32 v104, v91, v8, vcc_lo
; %bb.1799:                             ;   in Loop: Header=BB4_1714 Depth=3
	s_or_b32 exec_lo, exec_lo, s14
	v_and_b32_e32 v8, 0xffff0000, v9
	s_mov_b32 s14, exec_lo
                                        ; implicit-def: $vgpr94
	s_delay_alu instid0(VALU_DEP_1) | instskip(NEXT) | instid1(VALU_DEP_1)
	v_mul_f32_e32 v8, v89, v8
	v_and_b32_e32 v9, 0x7f800000, v8
	s_delay_alu instid0(VALU_DEP_1)
	v_cmpx_ne_u32_e32 0x7f800000, v9
	s_xor_b32 s14, exec_lo, s14
; %bb.1800:                             ;   in Loop: Header=BB4_1714 Depth=3
	v_bfe_u32 v9, v8, 16, 1
	s_delay_alu instid0(VALU_DEP_1)
	v_add3_u32 v94, v8, v9, 0x7fff
                                        ; implicit-def: $vgpr8
; %bb.1801:                             ;   in Loop: Header=BB4_1714 Depth=3
	s_and_not1_saveexec_b32 s14, s14
; %bb.1802:                             ;   in Loop: Header=BB4_1714 Depth=3
	v_and_b32_e32 v9, 0xffff, v8
	v_or_b32_e32 v90, 0x10000, v8
	s_delay_alu instid0(VALU_DEP_2) | instskip(NEXT) | instid1(VALU_DEP_2)
	v_cmp_eq_u32_e32 vcc_lo, 0, v9
	v_cndmask_b32_e32 v94, v90, v8, vcc_lo
; %bb.1803:                             ;   in Loop: Header=BB4_1714 Depth=3
	s_or_b32 exec_lo, exec_lo, s14
	v_lshlrev_b32_e32 v8, 16, v10
	s_mov_b32 s14, exec_lo
                                        ; implicit-def: $vgpr95
	s_delay_alu instid0(VALU_DEP_1) | instskip(NEXT) | instid1(VALU_DEP_1)
	v_mul_f32_e32 v8, v89, v8
	v_and_b32_e32 v9, 0x7f800000, v8
	s_delay_alu instid0(VALU_DEP_1)
	v_cmpx_ne_u32_e32 0x7f800000, v9
	s_xor_b32 s14, exec_lo, s14
; %bb.1804:                             ;   in Loop: Header=BB4_1714 Depth=3
	v_bfe_u32 v9, v8, 16, 1
	s_delay_alu instid0(VALU_DEP_1)
	v_add3_u32 v95, v8, v9, 0x7fff
                                        ; implicit-def: $vgpr8
; %bb.1805:                             ;   in Loop: Header=BB4_1714 Depth=3
	s_and_not1_saveexec_b32 s14, s14
; %bb.1806:                             ;   in Loop: Header=BB4_1714 Depth=3
	v_and_b32_e32 v9, 0xffff, v8
	v_or_b32_e32 v90, 0x10000, v8
	s_delay_alu instid0(VALU_DEP_2) | instskip(NEXT) | instid1(VALU_DEP_2)
	v_cmp_eq_u32_e32 vcc_lo, 0, v9
	v_cndmask_b32_e32 v95, v90, v8, vcc_lo
; %bb.1807:                             ;   in Loop: Header=BB4_1714 Depth=3
	s_or_b32 exec_lo, exec_lo, s14
	v_and_b32_e32 v8, 0xffff0000, v10
	s_mov_b32 s14, exec_lo
                                        ; implicit-def: $vgpr92
	s_delay_alu instid0(VALU_DEP_1) | instskip(NEXT) | instid1(VALU_DEP_1)
	v_mul_f32_e32 v8, v89, v8
	v_and_b32_e32 v9, 0x7f800000, v8
	s_delay_alu instid0(VALU_DEP_1)
	v_cmpx_ne_u32_e32 0x7f800000, v9
	s_xor_b32 s14, exec_lo, s14
; %bb.1808:                             ;   in Loop: Header=BB4_1714 Depth=3
	v_bfe_u32 v9, v8, 16, 1
	s_delay_alu instid0(VALU_DEP_1)
	v_add3_u32 v92, v8, v9, 0x7fff
                                        ; implicit-def: $vgpr8
; %bb.1809:                             ;   in Loop: Header=BB4_1714 Depth=3
	s_and_not1_saveexec_b32 s14, s14
; %bb.1810:                             ;   in Loop: Header=BB4_1714 Depth=3
	v_and_b32_e32 v9, 0xffff, v8
	v_or_b32_e32 v10, 0x10000, v8
	s_delay_alu instid0(VALU_DEP_2) | instskip(NEXT) | instid1(VALU_DEP_2)
	v_cmp_eq_u32_e32 vcc_lo, 0, v9
	v_cndmask_b32_e32 v92, v10, v8, vcc_lo
; %bb.1811:                             ;   in Loop: Header=BB4_1714 Depth=3
	s_or_b32 exec_lo, exec_lo, s14
	v_lshlrev_b32_e32 v8, 16, v11
	s_mov_b32 s14, exec_lo
                                        ; implicit-def: $vgpr93
	s_delay_alu instid0(VALU_DEP_1) | instskip(NEXT) | instid1(VALU_DEP_1)
	v_mul_f32_e32 v8, v89, v8
	v_and_b32_e32 v9, 0x7f800000, v8
	s_delay_alu instid0(VALU_DEP_1)
	v_cmpx_ne_u32_e32 0x7f800000, v9
	s_xor_b32 s14, exec_lo, s14
; %bb.1812:                             ;   in Loop: Header=BB4_1714 Depth=3
	v_bfe_u32 v9, v8, 16, 1
	s_delay_alu instid0(VALU_DEP_1)
	v_add3_u32 v93, v8, v9, 0x7fff
                                        ; implicit-def: $vgpr8
; %bb.1813:                             ;   in Loop: Header=BB4_1714 Depth=3
	s_and_not1_saveexec_b32 s14, s14
; %bb.1814:                             ;   in Loop: Header=BB4_1714 Depth=3
	v_and_b32_e32 v9, 0xffff, v8
	v_or_b32_e32 v10, 0x10000, v8
	s_delay_alu instid0(VALU_DEP_2) | instskip(NEXT) | instid1(VALU_DEP_2)
	v_cmp_eq_u32_e32 vcc_lo, 0, v9
	v_cndmask_b32_e32 v93, v10, v8, vcc_lo
; %bb.1815:                             ;   in Loop: Header=BB4_1714 Depth=3
	s_or_b32 exec_lo, exec_lo, s14
	v_and_b32_e32 v8, 0xffff0000, v11
	s_mov_b32 s14, exec_lo
                                        ; implicit-def: $vgpr90
	s_delay_alu instid0(VALU_DEP_1) | instskip(NEXT) | instid1(VALU_DEP_1)
	v_mul_f32_e32 v8, v89, v8
	v_and_b32_e32 v9, 0x7f800000, v8
	s_delay_alu instid0(VALU_DEP_1)
	v_cmpx_ne_u32_e32 0x7f800000, v9
	s_xor_b32 s14, exec_lo, s14
; %bb.1816:                             ;   in Loop: Header=BB4_1714 Depth=3
	v_bfe_u32 v9, v8, 16, 1
	s_delay_alu instid0(VALU_DEP_1)
	v_add3_u32 v90, v8, v9, 0x7fff
                                        ; implicit-def: $vgpr8
; %bb.1817:                             ;   in Loop: Header=BB4_1714 Depth=3
	s_and_not1_saveexec_b32 s14, s14
; %bb.1818:                             ;   in Loop: Header=BB4_1714 Depth=3
	v_and_b32_e32 v9, 0xffff, v8
	v_or_b32_e32 v10, 0x10000, v8
	s_delay_alu instid0(VALU_DEP_2) | instskip(NEXT) | instid1(VALU_DEP_2)
	v_cmp_eq_u32_e32 vcc_lo, 0, v9
	v_cndmask_b32_e32 v90, v10, v8, vcc_lo
; %bb.1819:                             ;   in Loop: Header=BB4_1714 Depth=3
	s_or_b32 exec_lo, exec_lo, s14
	scratch_load_b128 v[8:11], off, s33 offset:176
	v_and_b32_e32 v57, 0xffff0000, v57
	s_wait_loadcnt 0x0
	v_lshlrev_b32_e32 v91, 16, v8
	s_delay_alu instid0(VALU_DEP_1) | instskip(NEXT) | instid1(VALU_DEP_1)
	v_add_f32_e32 v57, v57, v91
	v_and_b32_e32 v91, 0x7f800000, v57
	s_delay_alu instid0(VALU_DEP_1) | instskip(SKIP_2) | instid1(SALU_CYCLE_1)
	v_cmp_ne_u32_e32 vcc_lo, 0x7f800000, v91
                                        ; implicit-def: $vgpr91
	s_wait_xcnt 0x0
	s_and_saveexec_b32 s14, vcc_lo
	s_xor_b32 s14, exec_lo, s14
; %bb.1820:                             ;   in Loop: Header=BB4_1714 Depth=3
	v_bfe_u32 v91, v57, 16, 1
	s_delay_alu instid0(VALU_DEP_1)
	v_add3_u32 v91, v57, v91, 0x7fff
                                        ; implicit-def: $vgpr57
; %bb.1821:                             ;   in Loop: Header=BB4_1714 Depth=3
	s_and_not1_saveexec_b32 s14, s14
; %bb.1822:                             ;   in Loop: Header=BB4_1714 Depth=3
	v_and_b32_e32 v91, 0xffff, v57
	v_or_b32_e32 v105, 0x10000, v57
	s_delay_alu instid0(VALU_DEP_2) | instskip(NEXT) | instid1(VALU_DEP_2)
	v_cmp_eq_u32_e32 vcc_lo, 0, v91
	v_cndmask_b32_e32 v91, v105, v57, vcc_lo
; %bb.1823:                             ;   in Loop: Header=BB4_1714 Depth=3
	s_or_b32 exec_lo, exec_lo, s14
	v_and_b32_e32 v57, 0xffff0000, v8
	v_and_b32_e32 v56, 0xffff0000, v56
	s_delay_alu instid0(VALU_DEP_2) | instskip(NEXT) | instid1(VALU_DEP_1)
	v_mov_b32_e32 v8, v57
	v_pk_add_f32 v[56:57], v[8:9], v[56:57]
	s_delay_alu instid0(VALU_DEP_1) | instskip(NEXT) | instid1(VALU_DEP_1)
	v_and_b32_e32 v8, 0x7f800000, v56
	v_cmp_ne_u32_e32 vcc_lo, 0x7f800000, v8
                                        ; implicit-def: $vgpr8
	s_and_saveexec_b32 s14, vcc_lo
	s_delay_alu instid0(SALU_CYCLE_1)
	s_xor_b32 s14, exec_lo, s14
; %bb.1824:                             ;   in Loop: Header=BB4_1714 Depth=3
	v_bfe_u32 v8, v56, 16, 1
	s_delay_alu instid0(VALU_DEP_1)
	v_add3_u32 v8, v56, v8, 0x7fff
                                        ; implicit-def: $vgpr56_vgpr57
; %bb.1825:                             ;   in Loop: Header=BB4_1714 Depth=3
	s_and_not1_saveexec_b32 s14, s14
; %bb.1826:                             ;   in Loop: Header=BB4_1714 Depth=3
	v_and_b32_e32 v8, 0xffff, v56
	v_or_b32_e32 v57, 0x10000, v56
	s_delay_alu instid0(VALU_DEP_2) | instskip(NEXT) | instid1(VALU_DEP_2)
	v_cmp_eq_u32_e32 vcc_lo, 0, v8
	v_cndmask_b32_e32 v8, v57, v56, vcc_lo
; %bb.1827:                             ;   in Loop: Header=BB4_1714 Depth=3
	s_or_b32 exec_lo, exec_lo, s14
	v_and_b32_e32 v56, 0xffff0000, v104
	v_lshlrev_b32_e32 v57, 16, v9
	s_delay_alu instid0(VALU_DEP_1) | instskip(NEXT) | instid1(VALU_DEP_1)
	v_add_f32_e32 v57, v56, v57
	v_and_b32_e32 v56, 0x7f800000, v57
	s_delay_alu instid0(VALU_DEP_1) | instskip(SKIP_1) | instid1(SALU_CYCLE_1)
	v_cmp_ne_u32_e32 vcc_lo, 0x7f800000, v56
                                        ; implicit-def: $vgpr56
	s_and_saveexec_b32 s14, vcc_lo
	s_xor_b32 s14, exec_lo, s14
; %bb.1828:                             ;   in Loop: Header=BB4_1714 Depth=3
	v_bfe_u32 v56, v57, 16, 1
	s_delay_alu instid0(VALU_DEP_1)
	v_add3_u32 v56, v57, v56, 0x7fff
                                        ; implicit-def: $vgpr57
; %bb.1829:                             ;   in Loop: Header=BB4_1714 Depth=3
	s_and_not1_saveexec_b32 s14, s14
; %bb.1830:                             ;   in Loop: Header=BB4_1714 Depth=3
	v_and_b32_e32 v56, 0xffff, v57
	v_or_b32_e32 v104, 0x10000, v57
	s_delay_alu instid0(VALU_DEP_2) | instskip(NEXT) | instid1(VALU_DEP_2)
	v_cmp_eq_u32_e32 vcc_lo, 0, v56
	v_cndmask_b32_e32 v56, v104, v57, vcc_lo
; %bb.1831:                             ;   in Loop: Header=BB4_1714 Depth=3
	s_or_b32 exec_lo, exec_lo, s14
	v_and_b32_e32 v9, 0xffff0000, v9
	v_and_b32_e32 v57, 0xffff0000, v94
	s_delay_alu instid0(VALU_DEP_1) | instskip(NEXT) | instid1(VALU_DEP_1)
	v_add_f32_e32 v57, v57, v9
	v_and_b32_e32 v9, 0x7f800000, v57
	s_delay_alu instid0(VALU_DEP_1) | instskip(SKIP_1) | instid1(SALU_CYCLE_1)
	v_cmp_ne_u32_e32 vcc_lo, 0x7f800000, v9
                                        ; implicit-def: $vgpr9
	s_and_saveexec_b32 s14, vcc_lo
	s_xor_b32 s14, exec_lo, s14
; %bb.1832:                             ;   in Loop: Header=BB4_1714 Depth=3
	v_bfe_u32 v9, v57, 16, 1
	s_delay_alu instid0(VALU_DEP_1)
	v_add3_u32 v9, v57, v9, 0x7fff
                                        ; implicit-def: $vgpr57
; %bb.1833:                             ;   in Loop: Header=BB4_1714 Depth=3
	s_and_not1_saveexec_b32 s14, s14
; %bb.1834:                             ;   in Loop: Header=BB4_1714 Depth=3
	v_and_b32_e32 v9, 0xffff, v57
	v_or_b32_e32 v94, 0x10000, v57
	s_delay_alu instid0(VALU_DEP_2) | instskip(NEXT) | instid1(VALU_DEP_2)
	v_cmp_eq_u32_e32 vcc_lo, 0, v9
	v_cndmask_b32_e32 v9, v94, v57, vcc_lo
; %bb.1835:                             ;   in Loop: Header=BB4_1714 Depth=3
	s_or_b32 exec_lo, exec_lo, s14
	v_and_b32_e32 v57, 0xffff0000, v95
	v_lshlrev_b32_e32 v94, 16, v10
	s_delay_alu instid0(VALU_DEP_1) | instskip(NEXT) | instid1(VALU_DEP_1)
	v_add_f32_e32 v94, v57, v94
	v_and_b32_e32 v57, 0x7f800000, v94
	s_delay_alu instid0(VALU_DEP_1) | instskip(SKIP_1) | instid1(SALU_CYCLE_1)
	v_cmp_ne_u32_e32 vcc_lo, 0x7f800000, v57
                                        ; implicit-def: $vgpr57
	s_and_saveexec_b32 s14, vcc_lo
	s_xor_b32 s14, exec_lo, s14
; %bb.1836:                             ;   in Loop: Header=BB4_1714 Depth=3
	v_bfe_u32 v57, v94, 16, 1
	s_delay_alu instid0(VALU_DEP_1)
	v_add3_u32 v57, v94, v57, 0x7fff
                                        ; implicit-def: $vgpr94
; %bb.1837:                             ;   in Loop: Header=BB4_1714 Depth=3
	s_and_not1_saveexec_b32 s14, s14
; %bb.1838:                             ;   in Loop: Header=BB4_1714 Depth=3
	v_and_b32_e32 v57, 0xffff, v94
	v_or_b32_e32 v95, 0x10000, v94
	s_delay_alu instid0(VALU_DEP_2) | instskip(NEXT) | instid1(VALU_DEP_2)
	v_cmp_eq_u32_e32 vcc_lo, 0, v57
	v_cndmask_b32_e32 v57, v95, v94, vcc_lo
; %bb.1839:                             ;   in Loop: Header=BB4_1714 Depth=3
	s_or_b32 exec_lo, exec_lo, s14
	v_and_b32_e32 v10, 0xffff0000, v10
	v_and_b32_e32 v92, 0xffff0000, v92
	s_delay_alu instid0(VALU_DEP_1) | instskip(NEXT) | instid1(VALU_DEP_1)
	v_add_f32_e32 v92, v92, v10
	v_and_b32_e32 v10, 0x7f800000, v92
	s_delay_alu instid0(VALU_DEP_1) | instskip(SKIP_1) | instid1(SALU_CYCLE_1)
	v_cmp_ne_u32_e32 vcc_lo, 0x7f800000, v10
                                        ; implicit-def: $vgpr10
	s_and_saveexec_b32 s14, vcc_lo
	s_xor_b32 s14, exec_lo, s14
; %bb.1840:                             ;   in Loop: Header=BB4_1714 Depth=3
	v_bfe_u32 v10, v92, 16, 1
	s_delay_alu instid0(VALU_DEP_1)
	v_add3_u32 v10, v92, v10, 0x7fff
                                        ; implicit-def: $vgpr92
; %bb.1841:                             ;   in Loop: Header=BB4_1714 Depth=3
	s_and_not1_saveexec_b32 s14, s14
; %bb.1842:                             ;   in Loop: Header=BB4_1714 Depth=3
	v_and_b32_e32 v10, 0xffff, v92
	v_or_b32_e32 v94, 0x10000, v92
	s_delay_alu instid0(VALU_DEP_2) | instskip(NEXT) | instid1(VALU_DEP_2)
	v_cmp_eq_u32_e32 vcc_lo, 0, v10
	v_cndmask_b32_e32 v10, v94, v92, vcc_lo
; %bb.1843:                             ;   in Loop: Header=BB4_1714 Depth=3
	s_or_b32 exec_lo, exec_lo, s14
	v_and_b32_e32 v92, 0xffff0000, v93
	v_lshlrev_b32_e32 v93, 16, v11
	s_delay_alu instid0(VALU_DEP_1) | instskip(NEXT) | instid1(VALU_DEP_1)
	v_add_f32_e32 v93, v92, v93
	v_and_b32_e32 v92, 0x7f800000, v93
	s_delay_alu instid0(VALU_DEP_1) | instskip(SKIP_1) | instid1(SALU_CYCLE_1)
	v_cmp_ne_u32_e32 vcc_lo, 0x7f800000, v92
                                        ; implicit-def: $vgpr92
	s_and_saveexec_b32 s14, vcc_lo
	s_xor_b32 s14, exec_lo, s14
; %bb.1844:                             ;   in Loop: Header=BB4_1714 Depth=3
	v_bfe_u32 v92, v93, 16, 1
	s_delay_alu instid0(VALU_DEP_1)
	v_add3_u32 v92, v93, v92, 0x7fff
                                        ; implicit-def: $vgpr93
; %bb.1845:                             ;   in Loop: Header=BB4_1714 Depth=3
	s_and_not1_saveexec_b32 s14, s14
; %bb.1846:                             ;   in Loop: Header=BB4_1714 Depth=3
	v_and_b32_e32 v92, 0xffff, v93
	v_or_b32_e32 v94, 0x10000, v93
	s_delay_alu instid0(VALU_DEP_2) | instskip(NEXT) | instid1(VALU_DEP_2)
	v_cmp_eq_u32_e32 vcc_lo, 0, v92
	v_cndmask_b32_e32 v92, v94, v93, vcc_lo
; %bb.1847:                             ;   in Loop: Header=BB4_1714 Depth=3
	s_or_b32 exec_lo, exec_lo, s14
	v_and_b32_e32 v11, 0xffff0000, v11
	v_and_b32_e32 v90, 0xffff0000, v90
	s_delay_alu instid0(VALU_DEP_1) | instskip(NEXT) | instid1(VALU_DEP_1)
	v_add_f32_e32 v90, v90, v11
	v_and_b32_e32 v11, 0x7f800000, v90
	s_delay_alu instid0(VALU_DEP_1) | instskip(SKIP_1) | instid1(SALU_CYCLE_1)
	v_cmp_ne_u32_e32 vcc_lo, 0x7f800000, v11
                                        ; implicit-def: $vgpr11
	s_and_saveexec_b32 s14, vcc_lo
	s_xor_b32 s14, exec_lo, s14
; %bb.1848:                             ;   in Loop: Header=BB4_1714 Depth=3
	v_bfe_u32 v11, v90, 16, 1
	s_delay_alu instid0(VALU_DEP_1)
	v_add3_u32 v11, v90, v11, 0x7fff
                                        ; implicit-def: $vgpr90
; %bb.1849:                             ;   in Loop: Header=BB4_1714 Depth=3
	s_and_not1_saveexec_b32 s14, s14
; %bb.1850:                             ;   in Loop: Header=BB4_1714 Depth=3
	v_and_b32_e32 v11, 0xffff, v90
	v_or_b32_e32 v93, 0x10000, v90
	s_delay_alu instid0(VALU_DEP_2) | instskip(NEXT) | instid1(VALU_DEP_2)
	v_cmp_eq_u32_e32 vcc_lo, 0, v11
	v_cndmask_b32_e32 v11, v93, v90, vcc_lo
; %bb.1851:                             ;   in Loop: Header=BB4_1714 Depth=3
	s_or_b32 exec_lo, exec_lo, s14
	v_dual_lshrrev_b32 v56, 16, v56 :: v_dual_lshrrev_b32 v90, 16, v91
	v_dual_lshrrev_b32 v57, 16, v57 :: v_dual_lshrrev_b32 v91, 16, v92
	s_mov_b64 s[40:41], 0
	s_delay_alu instid0(VALU_DEP_2) | instskip(NEXT) | instid1(VALU_DEP_3)
	v_and_or_b32 v9, 0xffff0000, v9, v56
	v_and_or_b32 v8, 0xffff0000, v8, v90
	s_delay_alu instid0(VALU_DEP_3)
	v_and_or_b32 v10, 0xffff0000, v10, v57
	v_and_or_b32 v11, 0xffff0000, v11, v91
	s_mov_b32 vcc_hi, -1
	scratch_store_b128 off, v[8:11], s33 offset:160
.LBB4_1852:                             ;   Parent Loop BB4_47 Depth=1
                                        ;     Parent Loop BB4_1420 Depth=2
                                        ;       Parent Loop BB4_1714 Depth=3
                                        ; =>      This Inner Loop Header: Depth=4
	s_cmp_eq_u32 s40, 1
	s_cselect_b32 vcc_lo, -1, 0
	s_cmp_eq_u32 s40, 0
	s_wait_xcnt 0x0
	v_dual_cndmask_b32 v57, v43, v45 :: v_dual_cndmask_b32 v56, v42, v44
	s_cselect_b32 s14, -1, 0
	s_and_b32 s15, exec_lo, vcc_hi
	s_mov_b64 s[40:41], 1
	s_mov_b32 vcc_hi, 0
	v_add_nc_u64_e32 v[90:91], 0x200, v[56:57]
	global_store_b128 v[56:57], v[8:11], off th:TH_STORE_NT
	v_dual_cndmask_b32 v45, v45, v91 :: v_dual_cndmask_b32 v44, v44, v90
	v_dual_cndmask_b32 v43, v43, v91, s14 :: v_dual_cndmask_b32 v42, v42, v90, s14
	s_mov_b32 vcc_lo, s15
	s_cbranch_vccnz .LBB4_1852
; %bb.1853:                             ;   in Loop: Header=BB4_1714 Depth=3
	v_sub_nc_u32_e32 v63, v63, v52
	s_wait_xcnt 0x0
	s_and_saveexec_b32 s14, s95
	s_cbranch_execz .LBB4_1713
; %bb.1854:                             ;   in Loop: Header=BB4_1714 Depth=3
	v_add_nc_u64_e32 v[42:43], v[42:43], v[84:85]
	v_add_nc_u64_e32 v[44:45], v[44:45], v[84:85]
	;; [unrolled: 1-line block ×4, first 2 shown]
	v_dual_sub_nc_u32 v88, v88, v78 :: v_dual_sub_nc_u32 v63, v63, v52
	s_branch .LBB4_1713
.LBB4_1855:                             ;   in Loop: Header=BB4_1420 Depth=2
	s_or_b32 exec_lo, exec_lo, s93
	s_delay_alu instid0(SALU_CYCLE_1)
	s_and_b32 s14, s94, exec_lo
.LBB4_1856:                             ;   in Loop: Header=BB4_1420 Depth=2
	s_or_b32 exec_lo, exec_lo, s92
	s_and_saveexec_b32 s92, s14
	s_cbranch_execz .LBB4_1923
; %bb.1857:                             ;   in Loop: Header=BB4_1420 Depth=2
	s_trap 2
	scratch_load_b128 v[8:11], off, s33 offset:192
	s_wait_dscnt 0x0
	ds_load_b32 v40, v0
	s_wait_dscnt 0x0
	v_lshlrev_b32_e32 v46, 16, v40
	s_wait_loadcnt 0x0
	v_lshlrev_b32_e32 v40, 16, v8
	s_delay_alu instid0(VALU_DEP_1) | instskip(NEXT) | instid1(VALU_DEP_1)
	v_mul_f32_e32 v40, v46, v40
	v_and_b32_e32 v41, 0x7f800000, v40
	s_delay_alu instid0(VALU_DEP_1) | instskip(SKIP_2) | instid1(SALU_CYCLE_1)
	v_cmp_ne_u32_e32 vcc_lo, 0x7f800000, v41
                                        ; implicit-def: $vgpr41
	s_wait_xcnt 0x0
	s_and_saveexec_b32 s14, vcc_lo
	s_xor_b32 s14, exec_lo, s14
; %bb.1858:                             ;   in Loop: Header=BB4_1420 Depth=2
	v_bfe_u32 v41, v40, 16, 1
	s_delay_alu instid0(VALU_DEP_1)
	v_add3_u32 v41, v40, v41, 0x7fff
                                        ; implicit-def: $vgpr40
; %bb.1859:                             ;   in Loop: Header=BB4_1420 Depth=2
	s_and_not1_saveexec_b32 s14, s14
; %bb.1860:                             ;   in Loop: Header=BB4_1420 Depth=2
	v_and_b32_e32 v41, 0xffff, v40
	v_or_b32_e32 v47, 0x10000, v40
	s_delay_alu instid0(VALU_DEP_2) | instskip(NEXT) | instid1(VALU_DEP_2)
	v_cmp_eq_u32_e32 vcc_lo, 0, v41
	v_cndmask_b32_e32 v41, v47, v40, vcc_lo
; %bb.1861:                             ;   in Loop: Header=BB4_1420 Depth=2
	s_or_b32 exec_lo, exec_lo, s14
	v_and_b32_e32 v8, 0xffff0000, v8
	s_delay_alu instid0(VALU_DEP_1) | instskip(NEXT) | instid1(VALU_DEP_1)
	v_mul_f32_e32 v8, v46, v8
	v_and_b32_e32 v40, 0x7f800000, v8
	s_delay_alu instid0(VALU_DEP_1) | instskip(SKIP_1) | instid1(SALU_CYCLE_1)
	v_cmp_ne_u32_e32 vcc_lo, 0x7f800000, v40
                                        ; implicit-def: $vgpr40
	s_and_saveexec_b32 s14, vcc_lo
	s_xor_b32 s14, exec_lo, s14
; %bb.1862:                             ;   in Loop: Header=BB4_1420 Depth=2
	v_bfe_u32 v40, v8, 16, 1
	s_delay_alu instid0(VALU_DEP_1)
	v_add3_u32 v40, v8, v40, 0x7fff
                                        ; implicit-def: $vgpr8
; %bb.1863:                             ;   in Loop: Header=BB4_1420 Depth=2
	s_and_not1_saveexec_b32 s14, s14
; %bb.1864:                             ;   in Loop: Header=BB4_1420 Depth=2
	v_and_b32_e32 v40, 0xffff, v8
	v_or_b32_e32 v47, 0x10000, v8
	s_delay_alu instid0(VALU_DEP_2) | instskip(NEXT) | instid1(VALU_DEP_2)
	v_cmp_eq_u32_e32 vcc_lo, 0, v40
	v_cndmask_b32_e32 v40, v47, v8, vcc_lo
; %bb.1865:                             ;   in Loop: Header=BB4_1420 Depth=2
	s_or_b32 exec_lo, exec_lo, s14
	v_lshlrev_b32_e32 v8, 16, v9
	s_mov_b32 s14, exec_lo
                                        ; implicit-def: $vgpr90
	s_delay_alu instid0(VALU_DEP_1) | instskip(NEXT) | instid1(VALU_DEP_1)
	v_mul_f32_e32 v8, v46, v8
	v_and_b32_e32 v47, 0x7f800000, v8
	s_delay_alu instid0(VALU_DEP_1)
	v_cmpx_ne_u32_e32 0x7f800000, v47
	s_xor_b32 s14, exec_lo, s14
; %bb.1866:                             ;   in Loop: Header=BB4_1420 Depth=2
	v_bfe_u32 v47, v8, 16, 1
	s_delay_alu instid0(VALU_DEP_1)
	v_add3_u32 v90, v8, v47, 0x7fff
                                        ; implicit-def: $vgpr8
; %bb.1867:                             ;   in Loop: Header=BB4_1420 Depth=2
	s_and_not1_saveexec_b32 s14, s14
; %bb.1868:                             ;   in Loop: Header=BB4_1420 Depth=2
	v_and_b32_e32 v47, 0xffff, v8
	v_or_b32_e32 v56, 0x10000, v8
	s_delay_alu instid0(VALU_DEP_2) | instskip(NEXT) | instid1(VALU_DEP_2)
	v_cmp_eq_u32_e32 vcc_lo, 0, v47
	v_cndmask_b32_e32 v90, v56, v8, vcc_lo
; %bb.1869:                             ;   in Loop: Header=BB4_1420 Depth=2
	s_or_b32 exec_lo, exec_lo, s14
	v_and_b32_e32 v8, 0xffff0000, v9
	s_mov_b32 s14, exec_lo
                                        ; implicit-def: $vgpr88
	s_delay_alu instid0(VALU_DEP_1) | instskip(NEXT) | instid1(VALU_DEP_1)
	v_mul_f32_e32 v8, v46, v8
	v_and_b32_e32 v9, 0x7f800000, v8
	s_delay_alu instid0(VALU_DEP_1)
	v_cmpx_ne_u32_e32 0x7f800000, v9
	s_xor_b32 s14, exec_lo, s14
; %bb.1870:                             ;   in Loop: Header=BB4_1420 Depth=2
	v_bfe_u32 v9, v8, 16, 1
	s_delay_alu instid0(VALU_DEP_1)
	v_add3_u32 v88, v8, v9, 0x7fff
                                        ; implicit-def: $vgpr8
; %bb.1871:                             ;   in Loop: Header=BB4_1420 Depth=2
	s_and_not1_saveexec_b32 s14, s14
; %bb.1872:                             ;   in Loop: Header=BB4_1420 Depth=2
	v_and_b32_e32 v9, 0xffff, v8
	v_or_b32_e32 v47, 0x10000, v8
	s_delay_alu instid0(VALU_DEP_2) | instskip(NEXT) | instid1(VALU_DEP_2)
	v_cmp_eq_u32_e32 vcc_lo, 0, v9
	v_cndmask_b32_e32 v88, v47, v8, vcc_lo
; %bb.1873:                             ;   in Loop: Header=BB4_1420 Depth=2
	s_or_b32 exec_lo, exec_lo, s14
	v_lshlrev_b32_e32 v8, 16, v10
	s_mov_b32 s14, exec_lo
                                        ; implicit-def: $vgpr89
	s_delay_alu instid0(VALU_DEP_1) | instskip(NEXT) | instid1(VALU_DEP_1)
	v_mul_f32_e32 v8, v46, v8
	v_and_b32_e32 v9, 0x7f800000, v8
	s_delay_alu instid0(VALU_DEP_1)
	v_cmpx_ne_u32_e32 0x7f800000, v9
	s_xor_b32 s14, exec_lo, s14
; %bb.1874:                             ;   in Loop: Header=BB4_1420 Depth=2
	v_bfe_u32 v9, v8, 16, 1
	s_delay_alu instid0(VALU_DEP_1)
	v_add3_u32 v89, v8, v9, 0x7fff
                                        ; implicit-def: $vgpr8
; %bb.1875:                             ;   in Loop: Header=BB4_1420 Depth=2
	s_and_not1_saveexec_b32 s14, s14
; %bb.1876:                             ;   in Loop: Header=BB4_1420 Depth=2
	v_and_b32_e32 v9, 0xffff, v8
	v_or_b32_e32 v47, 0x10000, v8
	s_delay_alu instid0(VALU_DEP_2) | instskip(NEXT) | instid1(VALU_DEP_2)
	v_cmp_eq_u32_e32 vcc_lo, 0, v9
	v_cndmask_b32_e32 v89, v47, v8, vcc_lo
; %bb.1877:                             ;   in Loop: Header=BB4_1420 Depth=2
	s_or_b32 exec_lo, exec_lo, s14
	v_and_b32_e32 v8, 0xffff0000, v10
	s_mov_b32 s14, exec_lo
                                        ; implicit-def: $vgpr56
	s_delay_alu instid0(VALU_DEP_1) | instskip(NEXT) | instid1(VALU_DEP_1)
	v_mul_f32_e32 v8, v46, v8
	v_and_b32_e32 v9, 0x7f800000, v8
	s_delay_alu instid0(VALU_DEP_1)
	v_cmpx_ne_u32_e32 0x7f800000, v9
	s_xor_b32 s14, exec_lo, s14
; %bb.1878:                             ;   in Loop: Header=BB4_1420 Depth=2
	v_bfe_u32 v9, v8, 16, 1
	s_delay_alu instid0(VALU_DEP_1)
	v_add3_u32 v56, v8, v9, 0x7fff
                                        ; implicit-def: $vgpr8
; %bb.1879:                             ;   in Loop: Header=BB4_1420 Depth=2
	s_and_not1_saveexec_b32 s14, s14
; %bb.1880:                             ;   in Loop: Header=BB4_1420 Depth=2
	v_and_b32_e32 v9, 0xffff, v8
	v_or_b32_e32 v10, 0x10000, v8
	s_delay_alu instid0(VALU_DEP_2) | instskip(NEXT) | instid1(VALU_DEP_2)
	v_cmp_eq_u32_e32 vcc_lo, 0, v9
	v_cndmask_b32_e32 v56, v10, v8, vcc_lo
; %bb.1881:                             ;   in Loop: Header=BB4_1420 Depth=2
	s_or_b32 exec_lo, exec_lo, s14
	v_lshlrev_b32_e32 v8, 16, v11
	s_mov_b32 s14, exec_lo
                                        ; implicit-def: $vgpr57
	s_delay_alu instid0(VALU_DEP_1) | instskip(NEXT) | instid1(VALU_DEP_1)
	v_mul_f32_e32 v8, v46, v8
	v_and_b32_e32 v9, 0x7f800000, v8
	s_delay_alu instid0(VALU_DEP_1)
	v_cmpx_ne_u32_e32 0x7f800000, v9
	s_xor_b32 s14, exec_lo, s14
; %bb.1882:                             ;   in Loop: Header=BB4_1420 Depth=2
	v_bfe_u32 v9, v8, 16, 1
	s_delay_alu instid0(VALU_DEP_1)
	v_add3_u32 v57, v8, v9, 0x7fff
                                        ; implicit-def: $vgpr8
; %bb.1883:                             ;   in Loop: Header=BB4_1420 Depth=2
	s_and_not1_saveexec_b32 s14, s14
; %bb.1884:                             ;   in Loop: Header=BB4_1420 Depth=2
	v_and_b32_e32 v9, 0xffff, v8
	v_or_b32_e32 v10, 0x10000, v8
	s_delay_alu instid0(VALU_DEP_2) | instskip(NEXT) | instid1(VALU_DEP_2)
	v_cmp_eq_u32_e32 vcc_lo, 0, v9
	v_cndmask_b32_e32 v57, v10, v8, vcc_lo
; %bb.1885:                             ;   in Loop: Header=BB4_1420 Depth=2
	s_or_b32 exec_lo, exec_lo, s14
	v_and_b32_e32 v8, 0xffff0000, v11
	s_mov_b32 s14, exec_lo
	s_delay_alu instid0(VALU_DEP_1) | instskip(NEXT) | instid1(VALU_DEP_1)
	v_mul_f32_e32 v8, v46, v8
                                        ; implicit-def: $vgpr46
	v_and_b32_e32 v9, 0x7f800000, v8
	s_delay_alu instid0(VALU_DEP_1)
	v_cmpx_ne_u32_e32 0x7f800000, v9
	s_xor_b32 s14, exec_lo, s14
; %bb.1886:                             ;   in Loop: Header=BB4_1420 Depth=2
	v_bfe_u32 v9, v8, 16, 1
	s_delay_alu instid0(VALU_DEP_1)
	v_add3_u32 v46, v8, v9, 0x7fff
                                        ; implicit-def: $vgpr8
; %bb.1887:                             ;   in Loop: Header=BB4_1420 Depth=2
	s_and_not1_saveexec_b32 s14, s14
; %bb.1888:                             ;   in Loop: Header=BB4_1420 Depth=2
	v_and_b32_e32 v9, 0xffff, v8
	v_or_b32_e32 v10, 0x10000, v8
	s_delay_alu instid0(VALU_DEP_2) | instskip(NEXT) | instid1(VALU_DEP_2)
	v_cmp_eq_u32_e32 vcc_lo, 0, v9
	v_cndmask_b32_e32 v46, v10, v8, vcc_lo
; %bb.1889:                             ;   in Loop: Header=BB4_1420 Depth=2
	s_or_b32 exec_lo, exec_lo, s14
	scratch_load_b128 v[8:11], off, s33 offset:208
	v_and_b32_e32 v41, 0xffff0000, v41
	s_wait_loadcnt 0x0
	v_lshlrev_b32_e32 v47, 16, v8
	s_delay_alu instid0(VALU_DEP_1) | instskip(NEXT) | instid1(VALU_DEP_1)
	v_add_f32_e32 v41, v41, v47
	v_and_b32_e32 v47, 0x7f800000, v41
	s_delay_alu instid0(VALU_DEP_1) | instskip(SKIP_2) | instid1(SALU_CYCLE_1)
	v_cmp_ne_u32_e32 vcc_lo, 0x7f800000, v47
                                        ; implicit-def: $vgpr47
	s_wait_xcnt 0x0
	s_and_saveexec_b32 s14, vcc_lo
	s_xor_b32 s14, exec_lo, s14
; %bb.1890:                             ;   in Loop: Header=BB4_1420 Depth=2
	v_bfe_u32 v47, v41, 16, 1
	s_delay_alu instid0(VALU_DEP_1)
	v_add3_u32 v47, v41, v47, 0x7fff
                                        ; implicit-def: $vgpr41
; %bb.1891:                             ;   in Loop: Header=BB4_1420 Depth=2
	s_and_not1_saveexec_b32 s14, s14
; %bb.1892:                             ;   in Loop: Header=BB4_1420 Depth=2
	v_and_b32_e32 v47, 0xffff, v41
	v_or_b32_e32 v91, 0x10000, v41
	s_delay_alu instid0(VALU_DEP_2) | instskip(NEXT) | instid1(VALU_DEP_2)
	v_cmp_eq_u32_e32 vcc_lo, 0, v47
	v_cndmask_b32_e32 v47, v91, v41, vcc_lo
; %bb.1893:                             ;   in Loop: Header=BB4_1420 Depth=2
	s_or_b32 exec_lo, exec_lo, s14
	v_and_b32_e32 v41, 0xffff0000, v8
	v_and_b32_e32 v40, 0xffff0000, v40
	s_delay_alu instid0(VALU_DEP_2) | instskip(NEXT) | instid1(VALU_DEP_1)
	v_mov_b32_e32 v8, v41
	v_pk_add_f32 v[40:41], v[8:9], v[40:41]
	s_delay_alu instid0(VALU_DEP_1) | instskip(NEXT) | instid1(VALU_DEP_1)
	v_and_b32_e32 v8, 0x7f800000, v40
	v_cmp_ne_u32_e32 vcc_lo, 0x7f800000, v8
                                        ; implicit-def: $vgpr8
	s_and_saveexec_b32 s14, vcc_lo
	s_delay_alu instid0(SALU_CYCLE_1)
	s_xor_b32 s14, exec_lo, s14
; %bb.1894:                             ;   in Loop: Header=BB4_1420 Depth=2
	v_bfe_u32 v8, v40, 16, 1
	s_delay_alu instid0(VALU_DEP_1)
	v_add3_u32 v8, v40, v8, 0x7fff
                                        ; implicit-def: $vgpr40_vgpr41
; %bb.1895:                             ;   in Loop: Header=BB4_1420 Depth=2
	s_and_not1_saveexec_b32 s14, s14
; %bb.1896:                             ;   in Loop: Header=BB4_1420 Depth=2
	v_and_b32_e32 v8, 0xffff, v40
	v_or_b32_e32 v41, 0x10000, v40
	s_delay_alu instid0(VALU_DEP_2) | instskip(NEXT) | instid1(VALU_DEP_2)
	v_cmp_eq_u32_e32 vcc_lo, 0, v8
	v_cndmask_b32_e32 v8, v41, v40, vcc_lo
; %bb.1897:                             ;   in Loop: Header=BB4_1420 Depth=2
	s_or_b32 exec_lo, exec_lo, s14
	v_and_b32_e32 v40, 0xffff0000, v90
	v_lshlrev_b32_e32 v41, 16, v9
	s_delay_alu instid0(VALU_DEP_1) | instskip(NEXT) | instid1(VALU_DEP_1)
	v_add_f32_e32 v41, v40, v41
	v_and_b32_e32 v40, 0x7f800000, v41
	s_delay_alu instid0(VALU_DEP_1) | instskip(SKIP_1) | instid1(SALU_CYCLE_1)
	v_cmp_ne_u32_e32 vcc_lo, 0x7f800000, v40
                                        ; implicit-def: $vgpr40
	s_and_saveexec_b32 s14, vcc_lo
	s_xor_b32 s14, exec_lo, s14
; %bb.1898:                             ;   in Loop: Header=BB4_1420 Depth=2
	v_bfe_u32 v40, v41, 16, 1
	s_delay_alu instid0(VALU_DEP_1)
	v_add3_u32 v40, v41, v40, 0x7fff
                                        ; implicit-def: $vgpr41
; %bb.1899:                             ;   in Loop: Header=BB4_1420 Depth=2
	s_and_not1_saveexec_b32 s14, s14
; %bb.1900:                             ;   in Loop: Header=BB4_1420 Depth=2
	v_and_b32_e32 v40, 0xffff, v41
	v_or_b32_e32 v90, 0x10000, v41
	s_delay_alu instid0(VALU_DEP_2) | instskip(NEXT) | instid1(VALU_DEP_2)
	v_cmp_eq_u32_e32 vcc_lo, 0, v40
	v_cndmask_b32_e32 v40, v90, v41, vcc_lo
; %bb.1901:                             ;   in Loop: Header=BB4_1420 Depth=2
	s_or_b32 exec_lo, exec_lo, s14
	v_and_b32_e32 v9, 0xffff0000, v9
	v_and_b32_e32 v41, 0xffff0000, v88
	s_delay_alu instid0(VALU_DEP_1) | instskip(NEXT) | instid1(VALU_DEP_1)
	v_add_f32_e32 v41, v41, v9
	v_and_b32_e32 v9, 0x7f800000, v41
	s_delay_alu instid0(VALU_DEP_1) | instskip(SKIP_1) | instid1(SALU_CYCLE_1)
	v_cmp_ne_u32_e32 vcc_lo, 0x7f800000, v9
                                        ; implicit-def: $vgpr9
	s_and_saveexec_b32 s14, vcc_lo
	s_xor_b32 s14, exec_lo, s14
; %bb.1902:                             ;   in Loop: Header=BB4_1420 Depth=2
	v_bfe_u32 v9, v41, 16, 1
	s_delay_alu instid0(VALU_DEP_1)
	v_add3_u32 v9, v41, v9, 0x7fff
                                        ; implicit-def: $vgpr41
; %bb.1903:                             ;   in Loop: Header=BB4_1420 Depth=2
	s_and_not1_saveexec_b32 s14, s14
; %bb.1904:                             ;   in Loop: Header=BB4_1420 Depth=2
	v_and_b32_e32 v9, 0xffff, v41
	v_or_b32_e32 v88, 0x10000, v41
	s_delay_alu instid0(VALU_DEP_2) | instskip(NEXT) | instid1(VALU_DEP_2)
	v_cmp_eq_u32_e32 vcc_lo, 0, v9
	v_cndmask_b32_e32 v9, v88, v41, vcc_lo
; %bb.1905:                             ;   in Loop: Header=BB4_1420 Depth=2
	s_or_b32 exec_lo, exec_lo, s14
	v_and_b32_e32 v41, 0xffff0000, v89
	v_lshlrev_b32_e32 v88, 16, v10
	s_delay_alu instid0(VALU_DEP_1) | instskip(NEXT) | instid1(VALU_DEP_1)
	v_add_f32_e32 v88, v41, v88
	v_and_b32_e32 v41, 0x7f800000, v88
	s_delay_alu instid0(VALU_DEP_1) | instskip(SKIP_1) | instid1(SALU_CYCLE_1)
	v_cmp_ne_u32_e32 vcc_lo, 0x7f800000, v41
                                        ; implicit-def: $vgpr41
	s_and_saveexec_b32 s14, vcc_lo
	s_xor_b32 s14, exec_lo, s14
; %bb.1906:                             ;   in Loop: Header=BB4_1420 Depth=2
	v_bfe_u32 v41, v88, 16, 1
	s_delay_alu instid0(VALU_DEP_1)
	v_add3_u32 v41, v88, v41, 0x7fff
                                        ; implicit-def: $vgpr88
; %bb.1907:                             ;   in Loop: Header=BB4_1420 Depth=2
	s_and_not1_saveexec_b32 s14, s14
; %bb.1908:                             ;   in Loop: Header=BB4_1420 Depth=2
	v_and_b32_e32 v41, 0xffff, v88
	v_or_b32_e32 v89, 0x10000, v88
	s_delay_alu instid0(VALU_DEP_2) | instskip(NEXT) | instid1(VALU_DEP_2)
	v_cmp_eq_u32_e32 vcc_lo, 0, v41
	v_cndmask_b32_e32 v41, v89, v88, vcc_lo
; %bb.1909:                             ;   in Loop: Header=BB4_1420 Depth=2
	s_or_b32 exec_lo, exec_lo, s14
	v_and_b32_e32 v10, 0xffff0000, v10
	v_and_b32_e32 v56, 0xffff0000, v56
	s_delay_alu instid0(VALU_DEP_1) | instskip(NEXT) | instid1(VALU_DEP_1)
	v_add_f32_e32 v56, v56, v10
	v_and_b32_e32 v10, 0x7f800000, v56
	s_delay_alu instid0(VALU_DEP_1) | instskip(SKIP_1) | instid1(SALU_CYCLE_1)
	v_cmp_ne_u32_e32 vcc_lo, 0x7f800000, v10
                                        ; implicit-def: $vgpr10
	s_and_saveexec_b32 s14, vcc_lo
	s_xor_b32 s14, exec_lo, s14
; %bb.1910:                             ;   in Loop: Header=BB4_1420 Depth=2
	v_bfe_u32 v10, v56, 16, 1
	s_delay_alu instid0(VALU_DEP_1)
	v_add3_u32 v10, v56, v10, 0x7fff
                                        ; implicit-def: $vgpr56
; %bb.1911:                             ;   in Loop: Header=BB4_1420 Depth=2
	s_and_not1_saveexec_b32 s14, s14
; %bb.1912:                             ;   in Loop: Header=BB4_1420 Depth=2
	v_and_b32_e32 v10, 0xffff, v56
	v_or_b32_e32 v88, 0x10000, v56
	s_delay_alu instid0(VALU_DEP_2) | instskip(NEXT) | instid1(VALU_DEP_2)
	v_cmp_eq_u32_e32 vcc_lo, 0, v10
	v_cndmask_b32_e32 v10, v88, v56, vcc_lo
; %bb.1913:                             ;   in Loop: Header=BB4_1420 Depth=2
	s_or_b32 exec_lo, exec_lo, s14
	v_and_b32_e32 v56, 0xffff0000, v57
	v_lshlrev_b32_e32 v57, 16, v11
	s_delay_alu instid0(VALU_DEP_1) | instskip(NEXT) | instid1(VALU_DEP_1)
	v_add_f32_e32 v57, v56, v57
	v_and_b32_e32 v56, 0x7f800000, v57
	s_delay_alu instid0(VALU_DEP_1) | instskip(SKIP_1) | instid1(SALU_CYCLE_1)
	v_cmp_ne_u32_e32 vcc_lo, 0x7f800000, v56
                                        ; implicit-def: $vgpr56
	s_and_saveexec_b32 s14, vcc_lo
	s_xor_b32 s14, exec_lo, s14
; %bb.1914:                             ;   in Loop: Header=BB4_1420 Depth=2
	v_bfe_u32 v56, v57, 16, 1
	s_delay_alu instid0(VALU_DEP_1)
	v_add3_u32 v56, v57, v56, 0x7fff
                                        ; implicit-def: $vgpr57
; %bb.1915:                             ;   in Loop: Header=BB4_1420 Depth=2
	s_and_not1_saveexec_b32 s14, s14
; %bb.1916:                             ;   in Loop: Header=BB4_1420 Depth=2
	v_and_b32_e32 v56, 0xffff, v57
	v_or_b32_e32 v88, 0x10000, v57
	s_delay_alu instid0(VALU_DEP_2) | instskip(NEXT) | instid1(VALU_DEP_2)
	v_cmp_eq_u32_e32 vcc_lo, 0, v56
	v_cndmask_b32_e32 v56, v88, v57, vcc_lo
; %bb.1917:                             ;   in Loop: Header=BB4_1420 Depth=2
	s_or_b32 exec_lo, exec_lo, s14
	v_and_b32_e32 v11, 0xffff0000, v11
	v_and_b32_e32 v46, 0xffff0000, v46
	s_delay_alu instid0(VALU_DEP_1) | instskip(NEXT) | instid1(VALU_DEP_1)
	v_add_f32_e32 v46, v46, v11
	v_and_b32_e32 v11, 0x7f800000, v46
	s_delay_alu instid0(VALU_DEP_1) | instskip(SKIP_1) | instid1(SALU_CYCLE_1)
	v_cmp_ne_u32_e32 vcc_lo, 0x7f800000, v11
                                        ; implicit-def: $vgpr11
	s_and_saveexec_b32 s14, vcc_lo
	s_xor_b32 s14, exec_lo, s14
; %bb.1918:                             ;   in Loop: Header=BB4_1420 Depth=2
	v_bfe_u32 v11, v46, 16, 1
	s_delay_alu instid0(VALU_DEP_1)
	v_add3_u32 v11, v46, v11, 0x7fff
                                        ; implicit-def: $vgpr46
; %bb.1919:                             ;   in Loop: Header=BB4_1420 Depth=2
	s_and_not1_saveexec_b32 s14, s14
; %bb.1920:                             ;   in Loop: Header=BB4_1420 Depth=2
	v_and_b32_e32 v11, 0xffff, v46
	v_or_b32_e32 v57, 0x10000, v46
	s_delay_alu instid0(VALU_DEP_2) | instskip(NEXT) | instid1(VALU_DEP_2)
	v_cmp_eq_u32_e32 vcc_lo, 0, v11
	v_cndmask_b32_e32 v11, v57, v46, vcc_lo
; %bb.1921:                             ;   in Loop: Header=BB4_1420 Depth=2
	s_or_b32 exec_lo, exec_lo, s14
	v_dual_lshrrev_b32 v40, 16, v40 :: v_dual_lshrrev_b32 v46, 16, v47
	v_dual_lshrrev_b32 v41, 16, v41 :: v_dual_lshrrev_b32 v47, 16, v56
	s_mov_b64 s[40:41], 0
	s_delay_alu instid0(VALU_DEP_2) | instskip(NEXT) | instid1(VALU_DEP_3)
	v_and_or_b32 v9, 0xffff0000, v9, v40
	v_and_or_b32 v8, 0xffff0000, v8, v46
	s_delay_alu instid0(VALU_DEP_3)
	v_and_or_b32 v10, 0xffff0000, v10, v41
	v_and_or_b32 v11, 0xffff0000, v11, v47
	s_mov_b32 s93, -1
.LBB4_1922:                             ;   Parent Loop BB4_47 Depth=1
                                        ;     Parent Loop BB4_1420 Depth=2
                                        ; =>    This Inner Loop Header: Depth=3
	s_cmp_eq_u32 s40, 1
	s_cselect_b32 vcc_lo, -1, 0
	s_cmp_eq_u32 s40, 0
	s_wait_xcnt 0x0
	v_dual_cndmask_b32 v41, v43, v45 :: v_dual_cndmask_b32 v40, v42, v44
	s_cselect_b32 s14, -1, 0
	s_and_b32 s15, exec_lo, s93
	s_mov_b64 s[40:41], 1
	s_mov_b32 s93, 0
	v_add_nc_u64_e32 v[46:47], 0x200, v[40:41]
	global_store_b128 v[40:41], v[8:11], off th:TH_STORE_NT
	v_dual_cndmask_b32 v45, v45, v47 :: v_dual_cndmask_b32 v44, v44, v46
	v_dual_cndmask_b32 v43, v43, v47, s14 :: v_dual_cndmask_b32 v42, v42, v46, s14
	s_mov_b32 vcc_lo, s15
	s_cbranch_vccnz .LBB4_1922
.LBB4_1923:                             ;   in Loop: Header=BB4_1420 Depth=2
	s_wait_xcnt 0x0
	s_or_b32 exec_lo, exec_lo, s92
	v_and_b32_e32 v9, 14, v15
	s_mov_b32 s15, s90
	s_mov_b32 s14, exec_lo
                                        ; implicit-def: $vgpr57
                                        ; implicit-def: $vgpr8
                                        ; implicit-def: $vgpr88
	s_delay_alu instid0(VALU_DEP_1) | instskip(NEXT) | instid1(VALU_DEP_1)
	v_cndmask_b32_e64 v56, v62, v9, s13
	v_cmpx_ne_u32_e32 0, v56
	s_cbranch_execz .LBB4_1925
; %bb.1924:                             ;   in Loop: Header=BB4_1420 Depth=2
	v_cmp_lt_i32_e32 vcc_lo, 0, v63
	s_or_b32 s15, s90, exec_lo
	v_dual_cndmask_b32 v8, 0, v52 :: v_dual_sub_nc_u32 v9, v62, v9
	s_delay_alu instid0(VALU_DEP_1) | instskip(NEXT) | instid1(VALU_DEP_1)
	v_dual_cndmask_b32 v9, 0, v9, s13 :: v_dual_sub_nc_u32 v8, v8, v63
	v_add3_u32 v57, v61, v58, v9
	s_delay_alu instid0(VALU_DEP_2) | instskip(NEXT) | instid1(VALU_DEP_1)
	v_lshl_add_u32 v8, v8, 5, v59
	v_ashrrev_i32_e32 v10, 31, v8
	s_delay_alu instid0(VALU_DEP_1) | instskip(NEXT) | instid1(VALU_DEP_1)
	v_lshrrev_b32_e32 v10, 27, v10
	v_add_nc_u32_e32 v10, v8, v10
	s_delay_alu instid0(VALU_DEP_1) | instskip(NEXT) | instid1(VALU_DEP_1)
	v_and_b32_e32 v10, 0xffffffe0, v10
	v_sub_nc_u32_e32 v88, v8, v10
.LBB4_1925:                             ;   in Loop: Header=BB4_1420 Depth=2
	s_or_b32 exec_lo, exec_lo, s14
	s_delay_alu instid0(SALU_CYCLE_1) | instskip(SKIP_1) | instid1(SALU_CYCLE_1)
	s_and_not1_b32 s13, s90, exec_lo
	s_and_b32 s14, s15, exec_lo
	s_or_b32 s90, s13, s14
.LBB4_1926:                             ;   in Loop: Header=BB4_1420 Depth=2
	s_or_b32 exec_lo, exec_lo, s91
	s_and_saveexec_b32 s15, s90
	s_cbranch_execz .LBB4_2079
.LBB4_1927:                             ;   in Loop: Header=BB4_1420 Depth=2
	v_dual_mov_b32 v90, 0 :: v_dual_ashrrev_i32 v9, 31, v8
	v_dual_mov_b32 v89, 0 :: v_dual_mov_b32 v47, 0
	s_delay_alu instid0(VALU_DEP_2) | instskip(SKIP_3) | instid1(VALU_DEP_3)
	v_dual_mov_b32 v46, 0 :: v_dual_lshrrev_b32 v9, 27, v9
	v_dual_mov_b32 v45, 0 :: v_dual_ashrrev_i32 v10, 31, v56
	s_wait_dscnt 0x0
	v_dual_mov_b32 v44, 0 :: v_dual_mov_b32 v41, 0
	v_dual_mov_b32 v40, 0 :: v_dual_add_nc_u32 v8, v8, v9
	s_delay_alu instid0(VALU_DEP_3) | instskip(SKIP_2) | instid1(VALU_DEP_1)
	v_dual_lshrrev_b32 v9, 24, v10 :: v_dual_lshlrev_b32 v10, 1, v88
	s_mov_b32 s14, 0
	s_mov_b32 s13, exec_lo
	v_dual_ashrrev_i32 v8, 5, v8 :: v_dual_add_nc_u32 v9, v56, v9
	s_delay_alu instid0(VALU_DEP_1) | instskip(NEXT) | instid1(VALU_DEP_1)
	v_dual_lshlrev_b32 v11, 8, v8 :: v_dual_ashrrev_i32 v15, 8, v9
	v_add3_u32 v42, v57, v10, v11
	s_delay_alu instid0(VALU_DEP_1) | instskip(NEXT) | instid1(VALU_DEP_1)
	v_dual_sub_nc_u32 v58, v15, v8 :: v_dual_ashrrev_i32 v43, 31, v42
	v_add_nc_u64_e32 v[10:11], v[20:21], v[42:43]
	v_add_nc_u64_e32 v[8:9], v[22:23], v[42:43]
	s_delay_alu instid0(VALU_DEP_3)
	v_cmpx_lt_i32_e32 0, v58
	s_cbranch_execz .LBB4_2001
; %bb.1928:                             ;   in Loop: Header=BB4_1420 Depth=2
	s_trap 2
	ds_load_b64 v[44:45], v0
	v_add_nc_u64_e32 v[40:41], v[42:43], v[18:19]
	s_mov_b32 s41, 0
	s_mov_b32 s40, 0
                                        ; implicit-def: $sgpr14
                                        ; implicit-def: $vgpr105
                                        ; implicit-def: $vgpr95
                                        ; implicit-def: $vgpr93
                                        ; implicit-def: $vgpr91
                                        ; implicit-def: $vgpr59
                                        ; implicit-def: $vgpr61
                                        ; implicit-def: $vgpr62
                                        ; implicit-def: $vgpr63
	s_wait_dscnt 0x0
	v_add_nc_u64_e32 v[42:43], v[44:45], v[42:43]
	s_branch .LBB4_1930
.LBB4_1929:                             ;   in Loop: Header=BB4_1930 Depth=3
	s_or_b32 exec_lo, exec_lo, s90
	s_delay_alu instid0(VALU_DEP_1) | instskip(SKIP_3) | instid1(SALU_CYCLE_1)
	v_cmp_gt_i32_e32 vcc_lo, 1, v58
	s_or_b32 s40, vcc_lo, s40
	s_and_not1_b32 s14, s14, exec_lo
	s_and_b32 s90, s41, exec_lo
	s_or_b32 s14, s14, s90
	s_and_not1_b32 exec_lo, exec_lo, s40
	s_cbranch_execz .LBB4_2000
.LBB4_1930:                             ;   Parent Loop BB4_47 Depth=1
                                        ;     Parent Loop BB4_1420 Depth=2
                                        ; =>    This Inner Loop Header: Depth=3
	s_clause 0x3
	flat_load_u16 v108, v[40:41] th:TH_LOAD_NT
	flat_load_u16 v107, v[40:41] offset:64 th:TH_LOAD_NT
	flat_load_u16 v106, v[40:41] offset:128 th:TH_LOAD_NT
	;; [unrolled: 1-line block ×3, first 2 shown]
	s_clause 0x3
	flat_load_u16 v94, v[42:43] th:TH_LOAD_NT
	flat_load_u16 v92, v[42:43] offset:64 th:TH_LOAD_NT
	flat_load_u16 v90, v[42:43] offset:128 th:TH_LOAD_NT
	flat_load_u16 v89, v[42:43] offset:192 th:TH_LOAD_NT
	s_wait_xcnt 0x0
	s_and_saveexec_b32 s90, s41
	s_cbranch_execz .LBB4_1964
; %bb.1931:                             ;   in Loop: Header=BB4_1930 Depth=3
	s_trap 2
	ds_load_b32 v44, v0
	s_wait_dscnt 0x0
	v_dual_lshlrev_b32 v45, 16, v44 :: v_dual_lshlrev_b32 v44, 16, v105
	s_delay_alu instid0(VALU_DEP_1) | instskip(NEXT) | instid1(VALU_DEP_1)
	v_mov_b32_e32 v46, v45
	v_pk_mul_f32 v[46:47], v[46:47], v[44:45]
	s_delay_alu instid0(VALU_DEP_1) | instskip(NEXT) | instid1(VALU_DEP_1)
	v_and_b32_e32 v44, 0x7f800000, v46
	v_cmp_ne_u32_e32 vcc_lo, 0x7f800000, v44
                                        ; implicit-def: $vgpr44
	s_and_saveexec_b32 s41, vcc_lo
	s_delay_alu instid0(SALU_CYCLE_1)
	s_xor_b32 s41, exec_lo, s41
; %bb.1932:                             ;   in Loop: Header=BB4_1930 Depth=3
	v_bfe_u32 v44, v46, 16, 1
	s_delay_alu instid0(VALU_DEP_1)
	v_add3_u32 v44, v46, v44, 0x7fff
                                        ; implicit-def: $vgpr46_vgpr47
; %bb.1933:                             ;   in Loop: Header=BB4_1930 Depth=3
	s_and_not1_saveexec_b32 s41, s41
; %bb.1934:                             ;   in Loop: Header=BB4_1930 Depth=3
	v_and_b32_e32 v44, 0xffff, v46
	v_or_b32_e32 v47, 0x10000, v46
	s_delay_alu instid0(VALU_DEP_2) | instskip(NEXT) | instid1(VALU_DEP_2)
	v_cmp_eq_u32_e32 vcc_lo, 0, v44
	v_cndmask_b32_e32 v44, v47, v46, vcc_lo
; %bb.1935:                             ;   in Loop: Header=BB4_1930 Depth=3
	s_or_b32 exec_lo, exec_lo, s41
	v_lshlrev_b32_e32 v46, 16, v95
	s_delay_alu instid0(VALU_DEP_1) | instskip(NEXT) | instid1(VALU_DEP_1)
	v_mul_f32_e32 v46, v45, v46
	v_and_b32_e32 v47, 0x7f800000, v46
	s_delay_alu instid0(VALU_DEP_1) | instskip(SKIP_1) | instid1(SALU_CYCLE_1)
	v_cmp_ne_u32_e32 vcc_lo, 0x7f800000, v47
                                        ; implicit-def: $vgpr47
	s_and_saveexec_b32 s41, vcc_lo
	s_xor_b32 s41, exec_lo, s41
; %bb.1936:                             ;   in Loop: Header=BB4_1930 Depth=3
	v_bfe_u32 v47, v46, 16, 1
	s_delay_alu instid0(VALU_DEP_1)
	v_add3_u32 v47, v46, v47, 0x7fff
                                        ; implicit-def: $vgpr46
; %bb.1937:                             ;   in Loop: Header=BB4_1930 Depth=3
	s_and_not1_saveexec_b32 s41, s41
; %bb.1938:                             ;   in Loop: Header=BB4_1930 Depth=3
	v_and_b32_e32 v47, 0xffff, v46
	v_or_b32_e32 v95, 0x10000, v46
	s_delay_alu instid0(VALU_DEP_2) | instskip(NEXT) | instid1(VALU_DEP_2)
	v_cmp_eq_u32_e32 vcc_lo, 0, v47
	v_cndmask_b32_e32 v47, v95, v46, vcc_lo
; %bb.1939:                             ;   in Loop: Header=BB4_1930 Depth=3
	s_or_b32 exec_lo, exec_lo, s41
	v_lshlrev_b32_e32 v46, 16, v93
	s_delay_alu instid0(VALU_DEP_1) | instskip(NEXT) | instid1(VALU_DEP_1)
	v_mul_f32_e32 v93, v45, v46
	v_and_b32_e32 v46, 0x7f800000, v93
	s_delay_alu instid0(VALU_DEP_1) | instskip(SKIP_1) | instid1(SALU_CYCLE_1)
	v_cmp_ne_u32_e32 vcc_lo, 0x7f800000, v46
                                        ; implicit-def: $vgpr46
	s_and_saveexec_b32 s41, vcc_lo
	s_xor_b32 s41, exec_lo, s41
; %bb.1940:                             ;   in Loop: Header=BB4_1930 Depth=3
	v_bfe_u32 v46, v93, 16, 1
	s_delay_alu instid0(VALU_DEP_1)
	v_add3_u32 v46, v93, v46, 0x7fff
                                        ; implicit-def: $vgpr93
; %bb.1941:                             ;   in Loop: Header=BB4_1930 Depth=3
	s_and_not1_saveexec_b32 s41, s41
; %bb.1942:                             ;   in Loop: Header=BB4_1930 Depth=3
	v_and_b32_e32 v46, 0xffff, v93
	v_or_b32_e32 v95, 0x10000, v93
	s_delay_alu instid0(VALU_DEP_2) | instskip(NEXT) | instid1(VALU_DEP_2)
	v_cmp_eq_u32_e32 vcc_lo, 0, v46
	v_cndmask_b32_e32 v46, v95, v93, vcc_lo
; %bb.1943:                             ;   in Loop: Header=BB4_1930 Depth=3
	s_or_b32 exec_lo, exec_lo, s41
	v_lshlrev_b32_e32 v91, 16, v91
	s_delay_alu instid0(VALU_DEP_1) | instskip(NEXT) | instid1(VALU_DEP_1)
	v_mul_f32_e32 v91, v45, v91
	v_and_b32_e32 v45, 0x7f800000, v91
	s_delay_alu instid0(VALU_DEP_1) | instskip(SKIP_1) | instid1(SALU_CYCLE_1)
	v_cmp_ne_u32_e32 vcc_lo, 0x7f800000, v45
                                        ; implicit-def: $vgpr45
	s_and_saveexec_b32 s41, vcc_lo
	s_xor_b32 s41, exec_lo, s41
; %bb.1944:                             ;   in Loop: Header=BB4_1930 Depth=3
	v_bfe_u32 v45, v91, 16, 1
	s_delay_alu instid0(VALU_DEP_1)
	v_add3_u32 v45, v91, v45, 0x7fff
                                        ; implicit-def: $vgpr91
; %bb.1945:                             ;   in Loop: Header=BB4_1930 Depth=3
	s_and_not1_saveexec_b32 s41, s41
; %bb.1946:                             ;   in Loop: Header=BB4_1930 Depth=3
	v_and_b32_e32 v45, 0xffff, v91
	v_or_b32_e32 v93, 0x10000, v91
	s_delay_alu instid0(VALU_DEP_2) | instskip(NEXT) | instid1(VALU_DEP_2)
	v_cmp_eq_u32_e32 vcc_lo, 0, v45
	v_cndmask_b32_e32 v45, v93, v91, vcc_lo
; %bb.1947:                             ;   in Loop: Header=BB4_1930 Depth=3
	s_or_b32 exec_lo, exec_lo, s41
	v_and_b32_e32 v44, 0xffff0000, v44
	v_lshlrev_b32_e32 v91, 16, v59
	s_delay_alu instid0(VALU_DEP_1) | instskip(NEXT) | instid1(VALU_DEP_1)
	v_add_f32_e32 v91, v91, v44
	v_and_b32_e32 v44, 0x7f800000, v91
	s_delay_alu instid0(VALU_DEP_1) | instskip(SKIP_1) | instid1(SALU_CYCLE_1)
	v_cmp_ne_u32_e32 vcc_lo, 0x7f800000, v44
                                        ; implicit-def: $vgpr44
	s_and_saveexec_b32 s41, vcc_lo
	s_xor_b32 s41, exec_lo, s41
; %bb.1948:                             ;   in Loop: Header=BB4_1930 Depth=3
	v_bfe_u32 v44, v91, 16, 1
	s_delay_alu instid0(VALU_DEP_1)
	v_add3_u32 v44, v91, v44, 0x7fff
                                        ; implicit-def: $vgpr91
; %bb.1949:                             ;   in Loop: Header=BB4_1930 Depth=3
	s_and_not1_saveexec_b32 s41, s41
; %bb.1950:                             ;   in Loop: Header=BB4_1930 Depth=3
	v_and_b32_e32 v44, 0xffff, v91
	v_or_b32_e32 v93, 0x10000, v91
	s_delay_alu instid0(VALU_DEP_2) | instskip(NEXT) | instid1(VALU_DEP_2)
	v_cmp_eq_u32_e32 vcc_lo, 0, v44
	v_cndmask_b32_e32 v44, v93, v91, vcc_lo
; %bb.1951:                             ;   in Loop: Header=BB4_1930 Depth=3
	s_or_b32 exec_lo, exec_lo, s41
	v_and_b32_e32 v47, 0xffff0000, v47
	v_lshlrev_b32_e32 v91, 16, v61
	s_delay_alu instid0(VALU_DEP_1) | instskip(NEXT) | instid1(VALU_DEP_1)
	v_add_f32_e32 v91, v91, v47
	v_and_b32_e32 v47, 0x7f800000, v91
	s_delay_alu instid0(VALU_DEP_1) | instskip(SKIP_1) | instid1(SALU_CYCLE_1)
	v_cmp_ne_u32_e32 vcc_lo, 0x7f800000, v47
                                        ; implicit-def: $vgpr47
	s_and_saveexec_b32 s41, vcc_lo
	s_xor_b32 s41, exec_lo, s41
; %bb.1952:                             ;   in Loop: Header=BB4_1930 Depth=3
	v_bfe_u32 v47, v91, 16, 1
	s_delay_alu instid0(VALU_DEP_1)
	v_add3_u32 v47, v91, v47, 0x7fff
                                        ; implicit-def: $vgpr91
; %bb.1953:                             ;   in Loop: Header=BB4_1930 Depth=3
	s_and_not1_saveexec_b32 s41, s41
; %bb.1954:                             ;   in Loop: Header=BB4_1930 Depth=3
	v_and_b32_e32 v47, 0xffff, v91
	v_or_b32_e32 v93, 0x10000, v91
	s_delay_alu instid0(VALU_DEP_2) | instskip(NEXT) | instid1(VALU_DEP_2)
	v_cmp_eq_u32_e32 vcc_lo, 0, v47
	v_cndmask_b32_e32 v47, v93, v91, vcc_lo
; %bb.1955:                             ;   in Loop: Header=BB4_1930 Depth=3
	s_or_b32 exec_lo, exec_lo, s41
	v_and_b32_e32 v46, 0xffff0000, v46
	v_lshlrev_b32_e32 v91, 16, v62
	s_delay_alu instid0(VALU_DEP_1) | instskip(NEXT) | instid1(VALU_DEP_1)
	v_add_f32_e32 v91, v91, v46
	v_and_b32_e32 v46, 0x7f800000, v91
	s_delay_alu instid0(VALU_DEP_1) | instskip(SKIP_1) | instid1(SALU_CYCLE_1)
	v_cmp_ne_u32_e32 vcc_lo, 0x7f800000, v46
                                        ; implicit-def: $vgpr46
	s_and_saveexec_b32 s41, vcc_lo
	s_xor_b32 s41, exec_lo, s41
; %bb.1956:                             ;   in Loop: Header=BB4_1930 Depth=3
	v_bfe_u32 v46, v91, 16, 1
	s_delay_alu instid0(VALU_DEP_1)
	v_add3_u32 v46, v91, v46, 0x7fff
                                        ; implicit-def: $vgpr91
; %bb.1957:                             ;   in Loop: Header=BB4_1930 Depth=3
	s_and_not1_saveexec_b32 s41, s41
; %bb.1958:                             ;   in Loop: Header=BB4_1930 Depth=3
	v_and_b32_e32 v46, 0xffff, v91
	v_or_b32_e32 v93, 0x10000, v91
	s_delay_alu instid0(VALU_DEP_2) | instskip(NEXT) | instid1(VALU_DEP_2)
	v_cmp_eq_u32_e32 vcc_lo, 0, v46
	v_cndmask_b32_e32 v46, v93, v91, vcc_lo
; %bb.1959:                             ;   in Loop: Header=BB4_1930 Depth=3
	s_or_b32 exec_lo, exec_lo, s41
	v_and_b32_e32 v45, 0xffff0000, v45
	v_lshlrev_b32_e32 v91, 16, v63
	s_delay_alu instid0(VALU_DEP_1) | instskip(NEXT) | instid1(VALU_DEP_1)
	v_add_f32_e32 v91, v91, v45
	v_and_b32_e32 v45, 0x7f800000, v91
	s_delay_alu instid0(VALU_DEP_1) | instskip(SKIP_1) | instid1(SALU_CYCLE_1)
	v_cmp_ne_u32_e32 vcc_lo, 0x7f800000, v45
                                        ; implicit-def: $vgpr45
	s_and_saveexec_b32 s41, vcc_lo
	s_xor_b32 s41, exec_lo, s41
; %bb.1960:                             ;   in Loop: Header=BB4_1930 Depth=3
	v_bfe_u32 v45, v91, 16, 1
	s_delay_alu instid0(VALU_DEP_1)
	v_add3_u32 v45, v91, v45, 0x7fff
                                        ; implicit-def: $vgpr91
; %bb.1961:                             ;   in Loop: Header=BB4_1930 Depth=3
	s_and_not1_saveexec_b32 s41, s41
; %bb.1962:                             ;   in Loop: Header=BB4_1930 Depth=3
	v_and_b32_e32 v45, 0xffff, v91
	v_or_b32_e32 v93, 0x10000, v91
	s_delay_alu instid0(VALU_DEP_2) | instskip(NEXT) | instid1(VALU_DEP_2)
	v_cmp_eq_u32_e32 vcc_lo, 0, v45
	v_cndmask_b32_e32 v45, v93, v91, vcc_lo
; %bb.1963:                             ;   in Loop: Header=BB4_1930 Depth=3
	s_or_b32 exec_lo, exec_lo, s41
	v_dual_lshrrev_b32 v105, 16, v44 :: v_dual_lshrrev_b32 v95, 16, v47
	s_delay_alu instid0(VALU_DEP_2)
	v_dual_lshrrev_b32 v93, 16, v46 :: v_dual_lshrrev_b32 v91, 16, v45
	s_clause 0x3
	flat_store_b16 v[10:11], v105 th:TH_STORE_NT
	flat_store_b16 v[10:11], v95 offset:64 th:TH_STORE_NT
	flat_store_b16 v[10:11], v93 offset:128 th:TH_STORE_NT
	;; [unrolled: 1-line block ×3, first 2 shown]
	s_clause 0x3
	flat_store_b16 v[8:9], v105 th:TH_STORE_NT
	flat_store_b16 v[8:9], v95 offset:64 th:TH_STORE_NT
	flat_store_b16 v[8:9], v93 offset:128 th:TH_STORE_NT
	;; [unrolled: 1-line block ×3, first 2 shown]
	s_wait_xcnt 0x4
	v_add_nc_u64_e32 v[10:11], v[10:11], v[98:99]
	s_wait_xcnt 0x0
	v_add_nc_u64_e32 v[8:9], v[8:9], v[98:99]
.LBB4_1964:                             ;   in Loop: Header=BB4_1930 Depth=3
	s_or_b32 exec_lo, exec_lo, s90
	v_sub_nc_u32_e32 v58, v58, v52
	v_add_nc_u64_e32 v[40:41], v[40:41], v[98:99]
	v_add_nc_u64_e32 v[42:43], v[42:43], v[98:99]
	s_delay_alu instid0(VALU_DEP_3)
	v_cmp_lt_i32_e64 s41, 0, v58
	s_and_saveexec_b32 s90, s41
	s_cbranch_execz .LBB4_1966
; %bb.1965:                             ;   in Loop: Header=BB4_1930 Depth=3
	s_clause 0x3
	flat_load_u16 v105, v[40:41] th:TH_LOAD_NT
	flat_load_u16 v95, v[40:41] offset:64 th:TH_LOAD_NT
	flat_load_u16 v93, v[40:41] offset:128 th:TH_LOAD_NT
	;; [unrolled: 1-line block ×3, first 2 shown]
	s_clause 0x3
	flat_load_u16 v59, v[42:43] th:TH_LOAD_NT
	flat_load_u16 v61, v[42:43] offset:64 th:TH_LOAD_NT
	flat_load_u16 v62, v[42:43] offset:128 th:TH_LOAD_NT
	;; [unrolled: 1-line block ×3, first 2 shown]
	s_wait_xcnt 0x4
	v_add_nc_u64_e32 v[40:41], 0x100, v[40:41]
	s_wait_xcnt 0x0
	v_add_nc_u64_e32 v[42:43], 0x100, v[42:43]
.LBB4_1966:                             ;   in Loop: Header=BB4_1930 Depth=3
	s_or_b32 exec_lo, exec_lo, s90
	s_trap 2
	ds_load_b32 v44, v0
	s_wait_dscnt 0x0
	v_lshlrev_b32_e32 v45, 16, v44
	s_wait_loadcnt 0x7
	s_delay_alu instid0(VALU_DEP_1) | instskip(NEXT) | instid1(VALU_DEP_1)
	v_dual_lshlrev_b32 v44, 16, v108 :: v_dual_mov_b32 v46, v45
	v_pk_mul_f32 v[46:47], v[46:47], v[44:45]
	s_delay_alu instid0(VALU_DEP_1) | instskip(NEXT) | instid1(VALU_DEP_1)
	v_and_b32_e32 v44, 0x7f800000, v46
	v_cmp_ne_u32_e32 vcc_lo, 0x7f800000, v44
                                        ; implicit-def: $vgpr44
	s_and_saveexec_b32 s90, vcc_lo
	s_delay_alu instid0(SALU_CYCLE_1)
	s_xor_b32 s90, exec_lo, s90
; %bb.1967:                             ;   in Loop: Header=BB4_1930 Depth=3
	v_bfe_u32 v44, v46, 16, 1
	s_delay_alu instid0(VALU_DEP_1)
	v_add3_u32 v44, v46, v44, 0x7fff
                                        ; implicit-def: $vgpr46_vgpr47
; %bb.1968:                             ;   in Loop: Header=BB4_1930 Depth=3
	s_and_not1_saveexec_b32 s90, s90
; %bb.1969:                             ;   in Loop: Header=BB4_1930 Depth=3
	v_and_b32_e32 v44, 0xffff, v46
	v_or_b32_e32 v47, 0x10000, v46
	s_delay_alu instid0(VALU_DEP_2) | instskip(NEXT) | instid1(VALU_DEP_2)
	v_cmp_eq_u32_e32 vcc_lo, 0, v44
	v_cndmask_b32_e32 v44, v47, v46, vcc_lo
; %bb.1970:                             ;   in Loop: Header=BB4_1930 Depth=3
	s_or_b32 exec_lo, exec_lo, s90
	s_wait_loadcnt 0x6
	v_lshlrev_b32_e32 v46, 16, v107
	s_delay_alu instid0(VALU_DEP_1) | instskip(NEXT) | instid1(VALU_DEP_1)
	v_mul_f32_e32 v46, v45, v46
	v_and_b32_e32 v47, 0x7f800000, v46
	s_delay_alu instid0(VALU_DEP_1) | instskip(SKIP_1) | instid1(SALU_CYCLE_1)
	v_cmp_ne_u32_e32 vcc_lo, 0x7f800000, v47
                                        ; implicit-def: $vgpr47
	s_and_saveexec_b32 s90, vcc_lo
	s_xor_b32 s90, exec_lo, s90
; %bb.1971:                             ;   in Loop: Header=BB4_1930 Depth=3
	v_bfe_u32 v47, v46, 16, 1
	s_delay_alu instid0(VALU_DEP_1)
	v_add3_u32 v47, v46, v47, 0x7fff
                                        ; implicit-def: $vgpr46
; %bb.1972:                             ;   in Loop: Header=BB4_1930 Depth=3
	s_and_not1_saveexec_b32 s90, s90
; %bb.1973:                             ;   in Loop: Header=BB4_1930 Depth=3
	v_and_b32_e32 v47, 0xffff, v46
	v_or_b32_e32 v107, 0x10000, v46
	s_delay_alu instid0(VALU_DEP_2) | instskip(NEXT) | instid1(VALU_DEP_2)
	v_cmp_eq_u32_e32 vcc_lo, 0, v47
	v_cndmask_b32_e32 v47, v107, v46, vcc_lo
; %bb.1974:                             ;   in Loop: Header=BB4_1930 Depth=3
	s_or_b32 exec_lo, exec_lo, s90
	s_wait_loadcnt 0x5
	v_lshlrev_b32_e32 v46, 16, v106
	s_delay_alu instid0(VALU_DEP_1) | instskip(NEXT) | instid1(VALU_DEP_1)
	v_mul_f32_e32 v106, v45, v46
	v_and_b32_e32 v46, 0x7f800000, v106
	s_delay_alu instid0(VALU_DEP_1) | instskip(SKIP_1) | instid1(SALU_CYCLE_1)
	v_cmp_ne_u32_e32 vcc_lo, 0x7f800000, v46
                                        ; implicit-def: $vgpr46
	s_and_saveexec_b32 s90, vcc_lo
	s_xor_b32 s90, exec_lo, s90
; %bb.1975:                             ;   in Loop: Header=BB4_1930 Depth=3
	v_bfe_u32 v46, v106, 16, 1
	s_delay_alu instid0(VALU_DEP_1)
	v_add3_u32 v46, v106, v46, 0x7fff
                                        ; implicit-def: $vgpr106
; %bb.1976:                             ;   in Loop: Header=BB4_1930 Depth=3
	s_and_not1_saveexec_b32 s90, s90
; %bb.1977:                             ;   in Loop: Header=BB4_1930 Depth=3
	v_and_b32_e32 v46, 0xffff, v106
	v_or_b32_e32 v107, 0x10000, v106
	s_delay_alu instid0(VALU_DEP_2) | instskip(NEXT) | instid1(VALU_DEP_2)
	v_cmp_eq_u32_e32 vcc_lo, 0, v46
	v_cndmask_b32_e32 v46, v107, v106, vcc_lo
; %bb.1978:                             ;   in Loop: Header=BB4_1930 Depth=3
	s_or_b32 exec_lo, exec_lo, s90
	s_wait_loadcnt 0x4
	v_lshlrev_b32_e32 v104, 16, v104
	s_delay_alu instid0(VALU_DEP_1) | instskip(NEXT) | instid1(VALU_DEP_1)
	v_mul_f32_e32 v104, v45, v104
	v_and_b32_e32 v45, 0x7f800000, v104
	s_delay_alu instid0(VALU_DEP_1) | instskip(SKIP_1) | instid1(SALU_CYCLE_1)
	v_cmp_ne_u32_e32 vcc_lo, 0x7f800000, v45
                                        ; implicit-def: $vgpr45
	s_and_saveexec_b32 s90, vcc_lo
	s_xor_b32 s90, exec_lo, s90
; %bb.1979:                             ;   in Loop: Header=BB4_1930 Depth=3
	v_bfe_u32 v45, v104, 16, 1
	s_delay_alu instid0(VALU_DEP_1)
	v_add3_u32 v45, v104, v45, 0x7fff
                                        ; implicit-def: $vgpr104
; %bb.1980:                             ;   in Loop: Header=BB4_1930 Depth=3
	s_and_not1_saveexec_b32 s90, s90
; %bb.1981:                             ;   in Loop: Header=BB4_1930 Depth=3
	v_and_b32_e32 v45, 0xffff, v104
	v_or_b32_e32 v106, 0x10000, v104
	s_delay_alu instid0(VALU_DEP_2) | instskip(NEXT) | instid1(VALU_DEP_2)
	v_cmp_eq_u32_e32 vcc_lo, 0, v45
	v_cndmask_b32_e32 v45, v106, v104, vcc_lo
; %bb.1982:                             ;   in Loop: Header=BB4_1930 Depth=3
	s_or_b32 exec_lo, exec_lo, s90
	v_and_b32_e32 v44, 0xffff0000, v44
	s_wait_loadcnt 0x3
	v_lshlrev_b32_e32 v94, 16, v94
	s_delay_alu instid0(VALU_DEP_1) | instskip(NEXT) | instid1(VALU_DEP_1)
	v_add_f32_e32 v94, v94, v44
	v_and_b32_e32 v44, 0x7f800000, v94
	s_delay_alu instid0(VALU_DEP_1) | instskip(SKIP_1) | instid1(SALU_CYCLE_1)
	v_cmp_ne_u32_e32 vcc_lo, 0x7f800000, v44
                                        ; implicit-def: $vgpr44
	s_and_saveexec_b32 s90, vcc_lo
	s_xor_b32 s90, exec_lo, s90
; %bb.1983:                             ;   in Loop: Header=BB4_1930 Depth=3
	v_bfe_u32 v44, v94, 16, 1
	s_delay_alu instid0(VALU_DEP_1)
	v_add3_u32 v44, v94, v44, 0x7fff
                                        ; implicit-def: $vgpr94
; %bb.1984:                             ;   in Loop: Header=BB4_1930 Depth=3
	s_and_not1_saveexec_b32 s90, s90
; %bb.1985:                             ;   in Loop: Header=BB4_1930 Depth=3
	v_and_b32_e32 v44, 0xffff, v94
	v_or_b32_e32 v104, 0x10000, v94
	s_delay_alu instid0(VALU_DEP_2) | instskip(NEXT) | instid1(VALU_DEP_2)
	v_cmp_eq_u32_e32 vcc_lo, 0, v44
	v_cndmask_b32_e32 v44, v104, v94, vcc_lo
; %bb.1986:                             ;   in Loop: Header=BB4_1930 Depth=3
	s_or_b32 exec_lo, exec_lo, s90
	v_and_b32_e32 v47, 0xffff0000, v47
	s_wait_loadcnt 0x2
	v_lshlrev_b32_e32 v92, 16, v92
	s_delay_alu instid0(VALU_DEP_1) | instskip(NEXT) | instid1(VALU_DEP_1)
	v_add_f32_e32 v92, v92, v47
	v_and_b32_e32 v47, 0x7f800000, v92
	s_delay_alu instid0(VALU_DEP_1) | instskip(SKIP_1) | instid1(SALU_CYCLE_1)
	v_cmp_ne_u32_e32 vcc_lo, 0x7f800000, v47
                                        ; implicit-def: $vgpr47
	s_and_saveexec_b32 s90, vcc_lo
	s_xor_b32 s90, exec_lo, s90
; %bb.1987:                             ;   in Loop: Header=BB4_1930 Depth=3
	v_bfe_u32 v47, v92, 16, 1
	s_delay_alu instid0(VALU_DEP_1)
	v_add3_u32 v47, v92, v47, 0x7fff
                                        ; implicit-def: $vgpr92
; %bb.1988:                             ;   in Loop: Header=BB4_1930 Depth=3
	s_and_not1_saveexec_b32 s90, s90
; %bb.1989:                             ;   in Loop: Header=BB4_1930 Depth=3
	v_and_b32_e32 v47, 0xffff, v92
	v_or_b32_e32 v94, 0x10000, v92
	s_delay_alu instid0(VALU_DEP_2) | instskip(NEXT) | instid1(VALU_DEP_2)
	v_cmp_eq_u32_e32 vcc_lo, 0, v47
	v_cndmask_b32_e32 v47, v94, v92, vcc_lo
; %bb.1990:                             ;   in Loop: Header=BB4_1930 Depth=3
	s_or_b32 exec_lo, exec_lo, s90
	v_and_b32_e32 v46, 0xffff0000, v46
	s_wait_loadcnt 0x1
	v_lshlrev_b32_e32 v90, 16, v90
	s_delay_alu instid0(VALU_DEP_1) | instskip(NEXT) | instid1(VALU_DEP_1)
	v_add_f32_e32 v90, v90, v46
	v_and_b32_e32 v46, 0x7f800000, v90
	s_delay_alu instid0(VALU_DEP_1) | instskip(SKIP_1) | instid1(SALU_CYCLE_1)
	v_cmp_ne_u32_e32 vcc_lo, 0x7f800000, v46
                                        ; implicit-def: $vgpr46
	s_and_saveexec_b32 s90, vcc_lo
	s_xor_b32 s90, exec_lo, s90
; %bb.1991:                             ;   in Loop: Header=BB4_1930 Depth=3
	v_bfe_u32 v46, v90, 16, 1
	s_delay_alu instid0(VALU_DEP_1)
	v_add3_u32 v46, v90, v46, 0x7fff
                                        ; implicit-def: $vgpr90
; %bb.1992:                             ;   in Loop: Header=BB4_1930 Depth=3
	s_and_not1_saveexec_b32 s90, s90
; %bb.1993:                             ;   in Loop: Header=BB4_1930 Depth=3
	v_and_b32_e32 v46, 0xffff, v90
	v_or_b32_e32 v92, 0x10000, v90
	s_delay_alu instid0(VALU_DEP_2) | instskip(NEXT) | instid1(VALU_DEP_2)
	v_cmp_eq_u32_e32 vcc_lo, 0, v46
	v_cndmask_b32_e32 v46, v92, v90, vcc_lo
; %bb.1994:                             ;   in Loop: Header=BB4_1930 Depth=3
	s_or_b32 exec_lo, exec_lo, s90
	v_and_b32_e32 v45, 0xffff0000, v45
	s_wait_loadcnt 0x0
	v_lshlrev_b32_e32 v89, 16, v89
	s_delay_alu instid0(VALU_DEP_1) | instskip(NEXT) | instid1(VALU_DEP_1)
	v_add_f32_e32 v89, v89, v45
	v_and_b32_e32 v45, 0x7f800000, v89
	s_delay_alu instid0(VALU_DEP_1) | instskip(SKIP_1) | instid1(SALU_CYCLE_1)
	v_cmp_ne_u32_e32 vcc_lo, 0x7f800000, v45
                                        ; implicit-def: $vgpr45
	s_and_saveexec_b32 s90, vcc_lo
	s_xor_b32 s90, exec_lo, s90
; %bb.1995:                             ;   in Loop: Header=BB4_1930 Depth=3
	v_bfe_u32 v45, v89, 16, 1
	s_delay_alu instid0(VALU_DEP_1)
	v_add3_u32 v45, v89, v45, 0x7fff
                                        ; implicit-def: $vgpr89
; %bb.1996:                             ;   in Loop: Header=BB4_1930 Depth=3
	s_and_not1_saveexec_b32 s90, s90
; %bb.1997:                             ;   in Loop: Header=BB4_1930 Depth=3
	v_and_b32_e32 v45, 0xffff, v89
	v_or_b32_e32 v90, 0x10000, v89
	s_delay_alu instid0(VALU_DEP_2) | instskip(NEXT) | instid1(VALU_DEP_2)
	v_cmp_eq_u32_e32 vcc_lo, 0, v45
	v_cndmask_b32_e32 v45, v90, v89, vcc_lo
; %bb.1998:                             ;   in Loop: Header=BB4_1930 Depth=3
	s_or_b32 exec_lo, exec_lo, s90
	v_dual_lshrrev_b32 v44, 16, v44 :: v_dual_lshrrev_b32 v47, 16, v47
	s_delay_alu instid0(VALU_DEP_2)
	v_dual_lshrrev_b32 v46, 16, v46 :: v_dual_lshrrev_b32 v45, 16, v45
	s_clause 0x3
	flat_store_b16 v[10:11], v44 th:TH_STORE_NT
	flat_store_b16 v[10:11], v47 offset:64 th:TH_STORE_NT
	flat_store_b16 v[10:11], v46 offset:128 th:TH_STORE_NT
	;; [unrolled: 1-line block ×3, first 2 shown]
	s_wait_xcnt 0x0
	v_add_nc_u64_e32 v[10:11], 0x100, v[10:11]
	s_clause 0x3
	flat_store_b16 v[8:9], v44 th:TH_STORE_NT
	flat_store_b16 v[8:9], v47 offset:64 th:TH_STORE_NT
	flat_store_b16 v[8:9], v46 offset:128 th:TH_STORE_NT
	;; [unrolled: 1-line block ×3, first 2 shown]
	s_wait_xcnt 0x0
	v_add_nc_u64_e32 v[8:9], 0x100, v[8:9]
	s_and_saveexec_b32 s90, s41
	s_cbranch_execz .LBB4_1929
; %bb.1999:                             ;   in Loop: Header=BB4_1930 Depth=3
	v_add_nc_u64_e32 v[10:11], v[10:11], v[82:83]
	s_delay_alu instid0(VALU_DEP_2)
	v_add_nc_u64_e32 v[8:9], v[8:9], v[82:83]
	v_add_nc_u64_e32 v[40:41], v[40:41], v[82:83]
	;; [unrolled: 1-line block ×3, first 2 shown]
	v_sub_nc_u32_e32 v58, v58, v52
	s_branch .LBB4_1929
.LBB4_2000:                             ;   in Loop: Header=BB4_1420 Depth=2
	s_or_b32 exec_lo, exec_lo, s40
	v_dual_lshlrev_b32 v90, 16, v105 :: v_dual_lshlrev_b32 v89, 16, v95
	v_dual_lshlrev_b32 v47, 16, v93 :: v_dual_lshlrev_b32 v46, 16, v91
	;; [unrolled: 1-line block ×4, first 2 shown]
	s_and_b32 s14, s14, exec_lo
.LBB4_2001:                             ;   in Loop: Header=BB4_1420 Depth=2
	s_or_b32 exec_lo, exec_lo, s13
	s_and_saveexec_b32 s13, s14
	s_cbranch_execz .LBB4_2035
; %bb.2002:                             ;   in Loop: Header=BB4_1420 Depth=2
	s_trap 2
	ds_load_b32 v42, v0
	s_wait_dscnt 0x0
	v_lshlrev_b32_e32 v43, 16, v42
	s_delay_alu instid0(VALU_DEP_1) | instskip(NEXT) | instid1(VALU_DEP_1)
	v_mul_f32_e32 v59, v90, v43
	v_and_b32_e32 v42, 0x7f800000, v59
	s_delay_alu instid0(VALU_DEP_1) | instskip(SKIP_1) | instid1(SALU_CYCLE_1)
	v_cmp_ne_u32_e32 vcc_lo, 0x7f800000, v42
                                        ; implicit-def: $vgpr42
	s_and_saveexec_b32 s14, vcc_lo
	s_xor_b32 s14, exec_lo, s14
; %bb.2003:                             ;   in Loop: Header=BB4_1420 Depth=2
	v_bfe_u32 v42, v59, 16, 1
	s_delay_alu instid0(VALU_DEP_1)
	v_add3_u32 v42, v59, v42, 0x7fff
                                        ; implicit-def: $vgpr59
; %bb.2004:                             ;   in Loop: Header=BB4_1420 Depth=2
	s_and_not1_saveexec_b32 s14, s14
; %bb.2005:                             ;   in Loop: Header=BB4_1420 Depth=2
	v_and_b32_e32 v42, 0xffff, v59
	v_or_b32_e32 v61, 0x10000, v59
	s_delay_alu instid0(VALU_DEP_2) | instskip(NEXT) | instid1(VALU_DEP_2)
	v_cmp_eq_u32_e32 vcc_lo, 0, v42
	v_cndmask_b32_e32 v42, v61, v59, vcc_lo
; %bb.2006:                             ;   in Loop: Header=BB4_1420 Depth=2
	s_or_b32 exec_lo, exec_lo, s14
	v_mul_f32_e32 v61, v89, v43
	s_delay_alu instid0(VALU_DEP_1) | instskip(NEXT) | instid1(VALU_DEP_1)
	v_and_b32_e32 v59, 0x7f800000, v61
	v_cmp_ne_u32_e32 vcc_lo, 0x7f800000, v59
                                        ; implicit-def: $vgpr59
	s_and_saveexec_b32 s14, vcc_lo
	s_delay_alu instid0(SALU_CYCLE_1)
	s_xor_b32 s14, exec_lo, s14
; %bb.2007:                             ;   in Loop: Header=BB4_1420 Depth=2
	v_bfe_u32 v59, v61, 16, 1
	s_delay_alu instid0(VALU_DEP_1)
	v_add3_u32 v59, v61, v59, 0x7fff
                                        ; implicit-def: $vgpr61
; %bb.2008:                             ;   in Loop: Header=BB4_1420 Depth=2
	s_and_not1_saveexec_b32 s14, s14
; %bb.2009:                             ;   in Loop: Header=BB4_1420 Depth=2
	v_and_b32_e32 v59, 0xffff, v61
	v_or_b32_e32 v62, 0x10000, v61
	s_delay_alu instid0(VALU_DEP_2) | instskip(NEXT) | instid1(VALU_DEP_2)
	v_cmp_eq_u32_e32 vcc_lo, 0, v59
	v_cndmask_b32_e32 v59, v62, v61, vcc_lo
; %bb.2010:                             ;   in Loop: Header=BB4_1420 Depth=2
	s_or_b32 exec_lo, exec_lo, s14
	v_mul_f32_e32 v61, v47, v43
	s_delay_alu instid0(VALU_DEP_1) | instskip(NEXT) | instid1(VALU_DEP_1)
	v_and_b32_e32 v47, 0x7f800000, v61
	v_cmp_ne_u32_e32 vcc_lo, 0x7f800000, v47
                                        ; implicit-def: $vgpr47
	s_and_saveexec_b32 s14, vcc_lo
	s_delay_alu instid0(SALU_CYCLE_1)
	s_xor_b32 s14, exec_lo, s14
; %bb.2011:                             ;   in Loop: Header=BB4_1420 Depth=2
	v_bfe_u32 v47, v61, 16, 1
	s_delay_alu instid0(VALU_DEP_1)
	v_add3_u32 v47, v61, v47, 0x7fff
                                        ; implicit-def: $vgpr61
; %bb.2012:                             ;   in Loop: Header=BB4_1420 Depth=2
	s_and_not1_saveexec_b32 s14, s14
; %bb.2013:                             ;   in Loop: Header=BB4_1420 Depth=2
	v_and_b32_e32 v47, 0xffff, v61
	v_or_b32_e32 v62, 0x10000, v61
	s_delay_alu instid0(VALU_DEP_2) | instskip(NEXT) | instid1(VALU_DEP_2)
	v_cmp_eq_u32_e32 vcc_lo, 0, v47
	v_cndmask_b32_e32 v47, v62, v61, vcc_lo
; %bb.2014:                             ;   in Loop: Header=BB4_1420 Depth=2
	s_or_b32 exec_lo, exec_lo, s14
	v_mul_f32_e32 v46, v46, v43
	s_delay_alu instid0(VALU_DEP_1) | instskip(NEXT) | instid1(VALU_DEP_1)
	v_and_b32_e32 v43, 0x7f800000, v46
	v_cmp_ne_u32_e32 vcc_lo, 0x7f800000, v43
                                        ; implicit-def: $vgpr43
	s_and_saveexec_b32 s14, vcc_lo
	s_delay_alu instid0(SALU_CYCLE_1)
	s_xor_b32 s14, exec_lo, s14
; %bb.2015:                             ;   in Loop: Header=BB4_1420 Depth=2
	v_bfe_u32 v43, v46, 16, 1
	s_delay_alu instid0(VALU_DEP_1)
	v_add3_u32 v43, v46, v43, 0x7fff
                                        ; implicit-def: $vgpr46
; %bb.2016:                             ;   in Loop: Header=BB4_1420 Depth=2
	s_and_not1_saveexec_b32 s14, s14
; %bb.2017:                             ;   in Loop: Header=BB4_1420 Depth=2
	v_and_b32_e32 v43, 0xffff, v46
	v_or_b32_e32 v61, 0x10000, v46
	s_delay_alu instid0(VALU_DEP_2) | instskip(NEXT) | instid1(VALU_DEP_2)
	v_cmp_eq_u32_e32 vcc_lo, 0, v43
	v_cndmask_b32_e32 v43, v61, v46, vcc_lo
; %bb.2018:                             ;   in Loop: Header=BB4_1420 Depth=2
	s_or_b32 exec_lo, exec_lo, s14
	v_and_b32_e32 v42, 0xffff0000, v42
	s_delay_alu instid0(VALU_DEP_1) | instskip(NEXT) | instid1(VALU_DEP_1)
	v_add_f32_e32 v45, v45, v42
	v_and_b32_e32 v42, 0x7f800000, v45
	s_delay_alu instid0(VALU_DEP_1) | instskip(SKIP_1) | instid1(SALU_CYCLE_1)
	v_cmp_ne_u32_e32 vcc_lo, 0x7f800000, v42
                                        ; implicit-def: $vgpr42
	s_and_saveexec_b32 s14, vcc_lo
	s_xor_b32 s14, exec_lo, s14
; %bb.2019:                             ;   in Loop: Header=BB4_1420 Depth=2
	v_bfe_u32 v42, v45, 16, 1
	s_delay_alu instid0(VALU_DEP_1)
	v_add3_u32 v42, v45, v42, 0x7fff
                                        ; implicit-def: $vgpr45
; %bb.2020:                             ;   in Loop: Header=BB4_1420 Depth=2
	s_and_not1_saveexec_b32 s14, s14
; %bb.2021:                             ;   in Loop: Header=BB4_1420 Depth=2
	v_and_b32_e32 v42, 0xffff, v45
	v_or_b32_e32 v46, 0x10000, v45
	s_delay_alu instid0(VALU_DEP_2) | instskip(NEXT) | instid1(VALU_DEP_2)
	v_cmp_eq_u32_e32 vcc_lo, 0, v42
	v_cndmask_b32_e32 v42, v46, v45, vcc_lo
; %bb.2022:                             ;   in Loop: Header=BB4_1420 Depth=2
	s_or_b32 exec_lo, exec_lo, s14
	v_and_b32_e32 v45, 0xffff0000, v59
	s_delay_alu instid0(VALU_DEP_1) | instskip(NEXT) | instid1(VALU_DEP_1)
	v_add_f32_e32 v45, v44, v45
	v_and_b32_e32 v44, 0x7f800000, v45
	s_delay_alu instid0(VALU_DEP_1) | instskip(SKIP_1) | instid1(SALU_CYCLE_1)
	v_cmp_ne_u32_e32 vcc_lo, 0x7f800000, v44
                                        ; implicit-def: $vgpr44
	s_and_saveexec_b32 s14, vcc_lo
	s_xor_b32 s14, exec_lo, s14
; %bb.2023:                             ;   in Loop: Header=BB4_1420 Depth=2
	v_bfe_u32 v44, v45, 16, 1
	s_delay_alu instid0(VALU_DEP_1)
	v_add3_u32 v44, v45, v44, 0x7fff
                                        ; implicit-def: $vgpr45
; %bb.2024:                             ;   in Loop: Header=BB4_1420 Depth=2
	s_and_not1_saveexec_b32 s14, s14
; %bb.2025:                             ;   in Loop: Header=BB4_1420 Depth=2
	v_and_b32_e32 v44, 0xffff, v45
	v_or_b32_e32 v46, 0x10000, v45
	s_delay_alu instid0(VALU_DEP_2) | instskip(NEXT) | instid1(VALU_DEP_2)
	v_cmp_eq_u32_e32 vcc_lo, 0, v44
	v_cndmask_b32_e32 v44, v46, v45, vcc_lo
; %bb.2026:                             ;   in Loop: Header=BB4_1420 Depth=2
	s_or_b32 exec_lo, exec_lo, s14
	v_and_b32_e32 v45, 0xffff0000, v47
	s_delay_alu instid0(VALU_DEP_1) | instskip(NEXT) | instid1(VALU_DEP_1)
	v_add_f32_e32 v45, v41, v45
	v_and_b32_e32 v41, 0x7f800000, v45
	s_delay_alu instid0(VALU_DEP_1) | instskip(SKIP_1) | instid1(SALU_CYCLE_1)
	v_cmp_ne_u32_e32 vcc_lo, 0x7f800000, v41
                                        ; implicit-def: $vgpr41
	s_and_saveexec_b32 s14, vcc_lo
	s_xor_b32 s14, exec_lo, s14
; %bb.2027:                             ;   in Loop: Header=BB4_1420 Depth=2
	v_bfe_u32 v41, v45, 16, 1
	s_delay_alu instid0(VALU_DEP_1)
	v_add3_u32 v41, v45, v41, 0x7fff
                                        ; implicit-def: $vgpr45
; %bb.2028:                             ;   in Loop: Header=BB4_1420 Depth=2
	s_and_not1_saveexec_b32 s14, s14
; %bb.2029:                             ;   in Loop: Header=BB4_1420 Depth=2
	v_and_b32_e32 v41, 0xffff, v45
	v_or_b32_e32 v46, 0x10000, v45
	s_delay_alu instid0(VALU_DEP_2) | instskip(NEXT) | instid1(VALU_DEP_2)
	v_cmp_eq_u32_e32 vcc_lo, 0, v41
	v_cndmask_b32_e32 v41, v46, v45, vcc_lo
; %bb.2030:                             ;   in Loop: Header=BB4_1420 Depth=2
	s_or_b32 exec_lo, exec_lo, s14
	v_and_b32_e32 v43, 0xffff0000, v43
	s_delay_alu instid0(VALU_DEP_1) | instskip(NEXT) | instid1(VALU_DEP_1)
	v_add_f32_e32 v43, v40, v43
	v_and_b32_e32 v40, 0x7f800000, v43
	s_delay_alu instid0(VALU_DEP_1) | instskip(SKIP_1) | instid1(SALU_CYCLE_1)
	v_cmp_ne_u32_e32 vcc_lo, 0x7f800000, v40
                                        ; implicit-def: $vgpr40
	s_and_saveexec_b32 s14, vcc_lo
	s_xor_b32 s14, exec_lo, s14
; %bb.2031:                             ;   in Loop: Header=BB4_1420 Depth=2
	v_bfe_u32 v40, v43, 16, 1
	s_delay_alu instid0(VALU_DEP_1)
	v_add3_u32 v40, v43, v40, 0x7fff
                                        ; implicit-def: $vgpr43
; %bb.2032:                             ;   in Loop: Header=BB4_1420 Depth=2
	s_and_not1_saveexec_b32 s14, s14
; %bb.2033:                             ;   in Loop: Header=BB4_1420 Depth=2
	v_and_b32_e32 v40, 0xffff, v43
	v_or_b32_e32 v45, 0x10000, v43
	s_delay_alu instid0(VALU_DEP_2) | instskip(NEXT) | instid1(VALU_DEP_2)
	v_cmp_eq_u32_e32 vcc_lo, 0, v40
	v_cndmask_b32_e32 v40, v45, v43, vcc_lo
; %bb.2034:                             ;   in Loop: Header=BB4_1420 Depth=2
	s_or_b32 exec_lo, exec_lo, s14
	v_dual_lshrrev_b32 v42, 16, v42 :: v_dual_lshrrev_b32 v43, 16, v44
	s_delay_alu instid0(VALU_DEP_2)
	v_dual_lshrrev_b32 v41, 16, v41 :: v_dual_lshrrev_b32 v40, 16, v40
	s_clause 0x3
	flat_store_b16 v[10:11], v42 th:TH_STORE_NT
	flat_store_b16 v[10:11], v43 offset:64 th:TH_STORE_NT
	flat_store_b16 v[10:11], v41 offset:128 th:TH_STORE_NT
	flat_store_b16 v[10:11], v40 offset:192 th:TH_STORE_NT
	s_clause 0x3
	flat_store_b16 v[8:9], v42 th:TH_STORE_NT
	flat_store_b16 v[8:9], v43 offset:64 th:TH_STORE_NT
	flat_store_b16 v[8:9], v41 offset:128 th:TH_STORE_NT
	flat_store_b16 v[8:9], v40 offset:192 th:TH_STORE_NT
.LBB4_2035:                             ;   in Loop: Header=BB4_1420 Depth=2
	s_wait_xcnt 0x0
	s_or_b32 exec_lo, exec_lo, s13
	v_lshlrev_b32_e32 v8, 8, v15
	s_delay_alu instid0(VALU_DEP_1)
	v_cmp_ne_u32_e32 vcc_lo, v56, v8
	s_and_b32 exec_lo, exec_lo, vcc_lo
	s_cbranch_execz .LBB4_2079
; %bb.2036:                             ;   in Loop: Header=BB4_1420 Depth=2
	v_lshlrev_b32_e32 v9, 5, v58
	s_delay_alu instid0(VALU_DEP_1) | instskip(NEXT) | instid1(VALU_DEP_1)
	v_sub_nc_u32_e32 v9, v88, v9
	v_ashrrev_i32_e32 v10, 31, v9
	s_delay_alu instid0(VALU_DEP_1) | instskip(NEXT) | instid1(VALU_DEP_1)
	v_lshrrev_b32_e32 v10, 27, v10
	v_add_nc_u32_e32 v10, v9, v10
	s_delay_alu instid0(VALU_DEP_1) | instskip(NEXT) | instid1(VALU_DEP_1)
	v_and_b32_e32 v11, 0x7fffffe0, v10
	v_sub_nc_u32_e32 v9, v9, v11
	s_delay_alu instid0(VALU_DEP_1) | instskip(NEXT) | instid1(VALU_DEP_1)
	v_dual_lshlrev_b32 v9, 1, v9 :: v_dual_lshlrev_b32 v10, 1, v10
	v_and_b32_e32 v10, 0xffffffc0, v10
	s_delay_alu instid0(VALU_DEP_1) | instskip(NEXT) | instid1(VALU_DEP_1)
	v_add3_u32 v8, v10, v9, v8
	v_sub_nc_u32_e32 v15, v56, v8
	s_delay_alu instid0(VALU_DEP_1)
	v_cmp_lt_i32_e32 vcc_lo, 1, v15
	s_and_b32 exec_lo, exec_lo, vcc_lo
	s_cbranch_execz .LBB4_2079
; %bb.2037:                             ;   in Loop: Header=BB4_1420 Depth=2
	s_trap 2
	ds_load_b64 v[40:41], v0
	v_add_nc_u32_e32 v42, v8, v57
	s_mov_b32 s92, 0
	s_mov_b32 s90, 0
                                        ; implicit-def: $sgpr91
	s_delay_alu instid0(VALU_DEP_1) | instskip(NEXT) | instid1(VALU_DEP_1)
	v_ashrrev_i32_e32 v43, 31, v42
	v_add_nc_u64_e32 v[8:9], v[20:21], v[42:43]
	v_add_nc_u64_e32 v[10:11], v[22:23], v[42:43]
	;; [unrolled: 1-line block ×3, first 2 shown]
	s_wait_dscnt 0x0
	v_add_nc_u64_e32 v[40:41], v[40:41], v[42:43]
	s_branch .LBB4_2039
.LBB4_2038:                             ;   in Loop: Header=BB4_2039 Depth=3
	s_or_b32 exec_lo, exec_lo, s13
	s_delay_alu instid0(VALU_DEP_1) | instskip(SKIP_3) | instid1(SALU_CYCLE_1)
	v_cmp_gt_i32_e32 vcc_lo, 2, v15
	s_or_b32 s90, vcc_lo, s90
	s_and_not1_b32 s13, s91, exec_lo
	s_and_b32 s14, s92, exec_lo
	s_or_b32 s91, s13, s14
	s_and_not1_b32 exec_lo, exec_lo, s90
	s_cbranch_execz .LBB4_2068
.LBB4_2039:                             ;   Parent Loop BB4_47 Depth=1
                                        ;     Parent Loop BB4_1420 Depth=2
                                        ; =>    This Loop Header: Depth=3
                                        ;         Child Loop BB4_2040 Depth 4
                                        ;         Child Loop BB4_2051 Depth 4
	;; [unrolled: 1-line block ×4, first 2 shown]
	s_add_co_i32 s13, s33, 0xa0
	s_mov_b64 s[40:41], 0
	s_mov_b32 s93, s13
	s_mov_b32 s94, -1
.LBB4_2040:                             ;   Parent Loop BB4_47 Depth=1
                                        ;     Parent Loop BB4_1420 Depth=2
                                        ;       Parent Loop BB4_2039 Depth=3
                                        ; =>      This Inner Loop Header: Depth=4
	s_cmp_eq_u32 s40, 1
	s_cselect_b32 vcc_lo, -1, 0
	s_cmp_eq_u32 s40, 0
	v_dual_cndmask_b32 v43, v23, v41 :: v_dual_cndmask_b32 v42, v22, v40
	s_cselect_b32 s13, -1, 0
	s_and_b32 s14, exec_lo, s94
	s_mov_b64 s[40:41], 1
	s_mov_b32 s94, 0
	flat_load_u16 v44, v[42:43] th:TH_LOAD_NT
	s_wait_xcnt 0x0
	v_add_nc_u64_e32 v[42:43], 64, v[42:43]
	s_delay_alu instid0(VALU_DEP_1)
	v_dual_cndmask_b32 v23, v23, v43, s13 :: v_dual_cndmask_b32 v22, v22, v42, s13
	v_dual_cndmask_b32 v41, v41, v43 :: v_dual_cndmask_b32 v40, v40, v42
	s_add_co_i32 s13, s33, 0xc0
	s_mov_b32 vcc_lo, s14
	s_wait_loadcnt_dscnt 0x0
	scratch_store_b16 off, v44, s93
	s_wait_xcnt 0x0
	s_mov_b32 s93, s13
	s_cbranch_vccnz .LBB4_2040
; %bb.2041:                             ;   in Loop: Header=BB4_2039 Depth=3
	s_and_saveexec_b32 s93, s92
	s_cbranch_execz .LBB4_2053
; %bb.2042:                             ;   in Loop: Header=BB4_2039 Depth=3
	s_trap 2
	scratch_load_u16 v42, off, s33 offset:148
	ds_load_b32 v43, v0
	s_wait_loadcnt_dscnt 0x0
	v_dual_lshlrev_b32 v43, 16, v43 :: v_dual_lshlrev_b32 v42, 16, v42
	s_delay_alu instid0(VALU_DEP_1) | instskip(NEXT) | instid1(VALU_DEP_1)
	v_mul_f32_e32 v42, v43, v42
	v_and_b32_e32 v43, 0x7f800000, v42
	s_delay_alu instid0(VALU_DEP_1) | instskip(SKIP_2) | instid1(SALU_CYCLE_1)
	v_cmp_ne_u32_e32 vcc_lo, 0x7f800000, v43
                                        ; implicit-def: $vgpr43
	s_wait_xcnt 0x0
	s_and_saveexec_b32 s13, vcc_lo
	s_xor_b32 s13, exec_lo, s13
; %bb.2043:                             ;   in Loop: Header=BB4_2039 Depth=3
	v_bfe_u32 v43, v42, 16, 1
	s_delay_alu instid0(VALU_DEP_1)
	v_add3_u32 v43, v42, v43, 0x7fff
                                        ; implicit-def: $vgpr42
; %bb.2044:                             ;   in Loop: Header=BB4_2039 Depth=3
	s_and_not1_saveexec_b32 s13, s13
; %bb.2045:                             ;   in Loop: Header=BB4_2039 Depth=3
	v_and_b32_e32 v43, 0xffff, v42
	v_or_b32_e32 v44, 0x10000, v42
	s_delay_alu instid0(VALU_DEP_2) | instskip(NEXT) | instid1(VALU_DEP_2)
	v_cmp_eq_u32_e32 vcc_lo, 0, v43
	v_cndmask_b32_e32 v43, v44, v42, vcc_lo
; %bb.2046:                             ;   in Loop: Header=BB4_2039 Depth=3
	s_or_b32 exec_lo, exec_lo, s13
	scratch_load_u16 v42, off, s33 offset:150
	v_and_b32_e32 v43, 0xffff0000, v43
	s_wait_loadcnt 0x0
	v_lshlrev_b32_e32 v42, 16, v42
	s_delay_alu instid0(VALU_DEP_1) | instskip(NEXT) | instid1(VALU_DEP_1)
	v_add_f32_e32 v42, v43, v42
	v_and_b32_e32 v43, 0x7f800000, v42
	s_delay_alu instid0(VALU_DEP_1) | instskip(SKIP_2) | instid1(SALU_CYCLE_1)
	v_cmp_ne_u32_e32 vcc_lo, 0x7f800000, v43
                                        ; implicit-def: $vgpr43
	s_wait_xcnt 0x0
	s_and_saveexec_b32 s13, vcc_lo
	s_xor_b32 s13, exec_lo, s13
; %bb.2047:                             ;   in Loop: Header=BB4_2039 Depth=3
	v_bfe_u32 v43, v42, 16, 1
	s_delay_alu instid0(VALU_DEP_1)
	v_add3_u32 v43, v42, v43, 0x7fff
                                        ; implicit-def: $vgpr42
; %bb.2048:                             ;   in Loop: Header=BB4_2039 Depth=3
	s_and_not1_saveexec_b32 s13, s13
; %bb.2049:                             ;   in Loop: Header=BB4_2039 Depth=3
	v_and_b32_e32 v43, 0xffff, v42
	v_or_b32_e32 v44, 0x10000, v42
	s_delay_alu instid0(VALU_DEP_2) | instskip(NEXT) | instid1(VALU_DEP_2)
	v_cmp_eq_u32_e32 vcc_lo, 0, v43
	v_cndmask_b32_e32 v43, v44, v42, vcc_lo
; %bb.2050:                             ;   in Loop: Header=BB4_2039 Depth=3
	s_or_b32 exec_lo, exec_lo, s13
	s_delay_alu instid0(VALU_DEP_1)
	v_lshrrev_b32_e32 v42, 16, v43
	s_mov_b64 s[40:41], 0
	s_mov_b32 s92, -1
	scratch_store_b16 off, v42, s33 offset:148
.LBB4_2051:                             ;   Parent Loop BB4_47 Depth=1
                                        ;     Parent Loop BB4_1420 Depth=2
                                        ;       Parent Loop BB4_2039 Depth=3
                                        ; =>      This Inner Loop Header: Depth=4
	s_cmp_eq_u32 s40, 1
	s_cselect_b32 vcc_lo, -1, 0
	s_cmp_eq_u32 s40, 0
	s_wait_xcnt 0x0
	v_dual_cndmask_b32 v45, v9, v11 :: v_dual_cndmask_b32 v44, v8, v10
	s_cselect_b32 s13, -1, 0
	s_and_b32 s14, exec_lo, s92
	s_mov_b64 s[40:41], 1
	s_mov_b32 s92, 0
	v_add_nc_u64_e32 v[46:47], 64, v[44:45]
	flat_store_b16 v[44:45], v42 th:TH_STORE_NT
	v_dual_cndmask_b32 v11, v11, v47 :: v_dual_cndmask_b32 v10, v10, v46
	v_dual_cndmask_b32 v9, v9, v47, s13 :: v_dual_cndmask_b32 v8, v8, v46, s13
	s_mov_b32 vcc_lo, s14
	s_cbranch_vccnz .LBB4_2051
; %bb.2052:                             ;   in Loop: Header=BB4_2039 Depth=3
	s_delay_alu instid0(VALU_DEP_1)
	v_add_nc_u64_e32 v[8:9], v[8:9], v[86:87]
	v_add_nc_u64_e32 v[10:11], v[10:11], v[86:87]
.LBB4_2053:                             ;   in Loop: Header=BB4_2039 Depth=3
	s_wait_xcnt 0x0
	s_or_b32 exec_lo, exec_lo, s93
	v_sub_nc_u32_e32 v15, v15, v79
	v_add_nc_u64_e32 v[22:23], v[22:23], v[86:87]
	v_add_nc_u64_e32 v[40:41], v[40:41], v[86:87]
	s_delay_alu instid0(VALU_DEP_3)
	v_cmp_lt_i32_e64 s92, 1, v15
	s_and_saveexec_b32 s93, s92
	s_cbranch_execz .LBB4_2056
; %bb.2054:                             ;   in Loop: Header=BB4_2039 Depth=3
	s_add_co_i32 s13, s33, 0x94
	s_mov_b64 s[40:41], 0
	s_mov_b32 s94, s13
	s_mov_b32 s95, -1
.LBB4_2055:                             ;   Parent Loop BB4_47 Depth=1
                                        ;     Parent Loop BB4_1420 Depth=2
                                        ;       Parent Loop BB4_2039 Depth=3
                                        ; =>      This Inner Loop Header: Depth=4
	s_cmp_eq_u32 s40, 1
	s_cselect_b32 vcc_lo, -1, 0
	s_cmp_eq_u32 s40, 0
	v_dual_cndmask_b32 v43, v23, v41 :: v_dual_cndmask_b32 v42, v22, v40
	s_cselect_b32 s13, -1, 0
	s_and_b32 s14, exec_lo, s95
	s_mov_b64 s[40:41], 1
	s_mov_b32 s95, 0
	flat_load_u16 v44, v[42:43] th:TH_LOAD_NT
	s_wait_xcnt 0x0
	v_add_nc_u64_e32 v[42:43], 64, v[42:43]
	s_delay_alu instid0(VALU_DEP_1)
	v_dual_cndmask_b32 v23, v23, v43, s13 :: v_dual_cndmask_b32 v22, v22, v42, s13
	v_dual_cndmask_b32 v41, v41, v43 :: v_dual_cndmask_b32 v40, v40, v42
	s_add_co_i32 s13, s33, 0x96
	s_mov_b32 vcc_lo, s14
	s_wait_loadcnt_dscnt 0x0
	scratch_store_b16 off, v44, s94
	s_wait_xcnt 0x0
	s_mov_b32 s94, s13
	s_cbranch_vccnz .LBB4_2055
.LBB4_2056:                             ;   in Loop: Header=BB4_2039 Depth=3
	s_or_b32 exec_lo, exec_lo, s93
	s_trap 2
	scratch_load_u16 v42, off, s33 offset:160
	ds_load_b32 v43, v0
	s_wait_loadcnt_dscnt 0x0
	v_dual_lshlrev_b32 v43, 16, v43 :: v_dual_lshlrev_b32 v42, 16, v42
	s_delay_alu instid0(VALU_DEP_1) | instskip(NEXT) | instid1(VALU_DEP_1)
	v_mul_f32_e32 v42, v43, v42
	v_and_b32_e32 v43, 0x7f800000, v42
	s_delay_alu instid0(VALU_DEP_1) | instskip(SKIP_2) | instid1(SALU_CYCLE_1)
	v_cmp_ne_u32_e32 vcc_lo, 0x7f800000, v43
                                        ; implicit-def: $vgpr43
	s_wait_xcnt 0x0
	s_and_saveexec_b32 s13, vcc_lo
	s_xor_b32 s13, exec_lo, s13
; %bb.2057:                             ;   in Loop: Header=BB4_2039 Depth=3
	v_bfe_u32 v43, v42, 16, 1
	s_delay_alu instid0(VALU_DEP_1)
	v_add3_u32 v43, v42, v43, 0x7fff
                                        ; implicit-def: $vgpr42
; %bb.2058:                             ;   in Loop: Header=BB4_2039 Depth=3
	s_and_not1_saveexec_b32 s13, s13
; %bb.2059:                             ;   in Loop: Header=BB4_2039 Depth=3
	v_and_b32_e32 v43, 0xffff, v42
	v_or_b32_e32 v44, 0x10000, v42
	s_delay_alu instid0(VALU_DEP_2) | instskip(NEXT) | instid1(VALU_DEP_2)
	v_cmp_eq_u32_e32 vcc_lo, 0, v43
	v_cndmask_b32_e32 v43, v44, v42, vcc_lo
; %bb.2060:                             ;   in Loop: Header=BB4_2039 Depth=3
	s_or_b32 exec_lo, exec_lo, s13
	scratch_load_u16 v42, off, s33 offset:192
	v_and_b32_e32 v43, 0xffff0000, v43
	s_wait_loadcnt 0x0
	v_lshlrev_b32_e32 v42, 16, v42
	s_delay_alu instid0(VALU_DEP_1) | instskip(NEXT) | instid1(VALU_DEP_1)
	v_add_f32_e32 v42, v43, v42
	v_and_b32_e32 v43, 0x7f800000, v42
	s_delay_alu instid0(VALU_DEP_1) | instskip(SKIP_2) | instid1(SALU_CYCLE_1)
	v_cmp_ne_u32_e32 vcc_lo, 0x7f800000, v43
                                        ; implicit-def: $vgpr43
	s_wait_xcnt 0x0
	s_and_saveexec_b32 s13, vcc_lo
	s_xor_b32 s13, exec_lo, s13
; %bb.2061:                             ;   in Loop: Header=BB4_2039 Depth=3
	v_bfe_u32 v43, v42, 16, 1
	s_delay_alu instid0(VALU_DEP_1)
	v_add3_u32 v43, v42, v43, 0x7fff
                                        ; implicit-def: $vgpr42
; %bb.2062:                             ;   in Loop: Header=BB4_2039 Depth=3
	s_and_not1_saveexec_b32 s13, s13
; %bb.2063:                             ;   in Loop: Header=BB4_2039 Depth=3
	v_and_b32_e32 v43, 0xffff, v42
	v_or_b32_e32 v44, 0x10000, v42
	s_delay_alu instid0(VALU_DEP_2) | instskip(NEXT) | instid1(VALU_DEP_2)
	v_cmp_eq_u32_e32 vcc_lo, 0, v43
	v_cndmask_b32_e32 v43, v44, v42, vcc_lo
; %bb.2064:                             ;   in Loop: Header=BB4_2039 Depth=3
	s_or_b32 exec_lo, exec_lo, s13
	s_delay_alu instid0(VALU_DEP_1)
	v_lshrrev_b32_e32 v42, 16, v43
	s_mov_b64 s[40:41], 0
	s_mov_b32 s93, -1
	scratch_store_b16 off, v42, s33 offset:160
.LBB4_2065:                             ;   Parent Loop BB4_47 Depth=1
                                        ;     Parent Loop BB4_1420 Depth=2
                                        ;       Parent Loop BB4_2039 Depth=3
                                        ; =>      This Inner Loop Header: Depth=4
	s_cmp_eq_u32 s40, 1
	s_cselect_b32 vcc_lo, -1, 0
	s_cmp_eq_u32 s40, 0
	s_wait_xcnt 0x0
	v_dual_cndmask_b32 v45, v9, v11 :: v_dual_cndmask_b32 v44, v8, v10
	s_cselect_b32 s13, -1, 0
	s_and_b32 s14, exec_lo, s93
	s_mov_b64 s[40:41], 1
	s_mov_b32 s93, 0
	v_add_nc_u64_e32 v[46:47], 64, v[44:45]
	flat_store_b16 v[44:45], v42 th:TH_STORE_NT
	v_dual_cndmask_b32 v11, v11, v47 :: v_dual_cndmask_b32 v10, v10, v46
	v_dual_cndmask_b32 v9, v9, v47, s13 :: v_dual_cndmask_b32 v8, v8, v46, s13
	s_mov_b32 vcc_lo, s14
	s_cbranch_vccnz .LBB4_2065
; %bb.2066:                             ;   in Loop: Header=BB4_2039 Depth=3
	s_wait_xcnt 0x0
	s_and_saveexec_b32 s13, s92
	s_cbranch_execz .LBB4_2038
; %bb.2067:                             ;   in Loop: Header=BB4_2039 Depth=3
	v_add_nc_u64_e32 v[8:9], v[8:9], v[86:87]
	v_add_nc_u64_e32 v[10:11], v[10:11], v[86:87]
	;; [unrolled: 1-line block ×4, first 2 shown]
	v_sub_nc_u32_e32 v15, v15, v79
	s_branch .LBB4_2038
.LBB4_2068:                             ;   in Loop: Header=BB4_1420 Depth=2
	s_or_b32 exec_lo, exec_lo, s90
	s_delay_alu instid0(SALU_CYCLE_1)
	s_and_b32 exec_lo, exec_lo, s91
	s_cbranch_execz .LBB4_2079
; %bb.2069:                             ;   in Loop: Header=BB4_1420 Depth=2
	s_trap 2
	scratch_load_u16 v15, off, s33 offset:148
	ds_load_b32 v22, v0
	s_wait_loadcnt_dscnt 0x0
	v_dual_lshlrev_b32 v22, 16, v22 :: v_dual_lshlrev_b32 v15, 16, v15
	s_delay_alu instid0(VALU_DEP_1) | instskip(NEXT) | instid1(VALU_DEP_1)
	v_mul_f32_e32 v15, v22, v15
	v_and_b32_e32 v22, 0x7f800000, v15
	s_delay_alu instid0(VALU_DEP_1) | instskip(SKIP_2) | instid1(SALU_CYCLE_1)
	v_cmp_ne_u32_e32 vcc_lo, 0x7f800000, v22
                                        ; implicit-def: $vgpr22
	s_wait_xcnt 0x0
	s_and_saveexec_b32 s13, vcc_lo
	s_xor_b32 s13, exec_lo, s13
; %bb.2070:                             ;   in Loop: Header=BB4_1420 Depth=2
	v_bfe_u32 v22, v15, 16, 1
	s_delay_alu instid0(VALU_DEP_1)
	v_add3_u32 v22, v15, v22, 0x7fff
                                        ; implicit-def: $vgpr15
; %bb.2071:                             ;   in Loop: Header=BB4_1420 Depth=2
	s_and_not1_saveexec_b32 s13, s13
; %bb.2072:                             ;   in Loop: Header=BB4_1420 Depth=2
	v_and_b32_e32 v22, 0xffff, v15
	v_or_b32_e32 v23, 0x10000, v15
	s_delay_alu instid0(VALU_DEP_2) | instskip(NEXT) | instid1(VALU_DEP_2)
	v_cmp_eq_u32_e32 vcc_lo, 0, v22
	v_cndmask_b32_e32 v22, v23, v15, vcc_lo
; %bb.2073:                             ;   in Loop: Header=BB4_1420 Depth=2
	s_or_b32 exec_lo, exec_lo, s13
	scratch_load_u16 v15, off, s33 offset:150
	v_and_b32_e32 v22, 0xffff0000, v22
	s_wait_loadcnt 0x0
	v_lshlrev_b32_e32 v15, 16, v15
	s_delay_alu instid0(VALU_DEP_1) | instskip(NEXT) | instid1(VALU_DEP_1)
	v_add_f32_e32 v15, v22, v15
	v_and_b32_e32 v22, 0x7f800000, v15
	s_delay_alu instid0(VALU_DEP_1) | instskip(SKIP_2) | instid1(SALU_CYCLE_1)
	v_cmp_ne_u32_e32 vcc_lo, 0x7f800000, v22
                                        ; implicit-def: $vgpr22
	s_wait_xcnt 0x0
	s_and_saveexec_b32 s13, vcc_lo
	s_xor_b32 s13, exec_lo, s13
; %bb.2074:                             ;   in Loop: Header=BB4_1420 Depth=2
	v_bfe_u32 v22, v15, 16, 1
	s_delay_alu instid0(VALU_DEP_1)
	v_add3_u32 v22, v15, v22, 0x7fff
                                        ; implicit-def: $vgpr15
; %bb.2075:                             ;   in Loop: Header=BB4_1420 Depth=2
	s_and_not1_saveexec_b32 s13, s13
; %bb.2076:                             ;   in Loop: Header=BB4_1420 Depth=2
	v_and_b32_e32 v22, 0xffff, v15
	v_or_b32_e32 v23, 0x10000, v15
	s_delay_alu instid0(VALU_DEP_2) | instskip(NEXT) | instid1(VALU_DEP_2)
	v_cmp_eq_u32_e32 vcc_lo, 0, v22
	v_cndmask_b32_e32 v22, v23, v15, vcc_lo
; %bb.2077:                             ;   in Loop: Header=BB4_1420 Depth=2
	s_or_b32 exec_lo, exec_lo, s13
	s_delay_alu instid0(VALU_DEP_1)
	v_lshrrev_b32_e32 v15, 16, v22
	s_mov_b64 s[40:41], 0
	s_mov_b32 s90, -1
.LBB4_2078:                             ;   Parent Loop BB4_47 Depth=1
                                        ;     Parent Loop BB4_1420 Depth=2
                                        ; =>    This Inner Loop Header: Depth=3
	s_cmp_eq_u32 s40, 1
	s_cselect_b32 vcc_lo, -1, 0
	s_cmp_eq_u32 s40, 0
	s_wait_xcnt 0x0
	v_dual_cndmask_b32 v23, v9, v11 :: v_dual_cndmask_b32 v22, v8, v10
	s_cselect_b32 s13, -1, 0
	s_and_b32 s14, exec_lo, s90
	s_mov_b64 s[40:41], 1
	s_mov_b32 s90, 0
	v_add_nc_u64_e32 v[40:41], 64, v[22:23]
	flat_store_b16 v[22:23], v15 th:TH_STORE_NT
	v_dual_cndmask_b32 v11, v11, v41 :: v_dual_cndmask_b32 v10, v10, v40
	v_dual_cndmask_b32 v9, v9, v41, s13 :: v_dual_cndmask_b32 v8, v8, v40, s13
	s_mov_b32 vcc_lo, s14
	s_cbranch_vccnz .LBB4_2078
.LBB4_2079:                             ;   in Loop: Header=BB4_1420 Depth=2
	s_wait_xcnt 0x0
	s_or_b32 exec_lo, exec_lo, s15
	s_mov_b32 s13, 0
.LBB4_2080:                             ;   in Loop: Header=BB4_1420 Depth=2
	s_delay_alu instid0(SALU_CYCLE_1)
	s_and_b32 vcc_lo, exec_lo, s13
	s_cbranch_vccz .LBB4_2227
; %bb.2081:                             ;   in Loop: Header=BB4_1420 Depth=2
	s_mov_b32 s13, -1
	s_and_saveexec_b32 s14, s11
	s_cbranch_execz .LBB4_2083
; %bb.2082:                             ;   in Loop: Header=BB4_1420 Depth=2
	ds_load_b32 v8, v0 offset:720
	s_wait_dscnt 0x0
	v_and_b32_e32 v8, 15, v8
	s_delay_alu instid0(VALU_DEP_1)
	v_cmp_eq_u32_e32 vcc_lo, 0, v8
	s_or_not1_b32 s13, vcc_lo, exec_lo
.LBB4_2083:                             ;   in Loop: Header=BB4_1420 Depth=2
	s_or_b32 exec_lo, exec_lo, s14
	s_and_saveexec_b32 s14, s7
	s_cbranch_execz .LBB4_2085
; %bb.2084:                             ;   in Loop: Header=BB4_1420 Depth=2
	ds_load_b32 v8, v0 offset:784
	s_wait_dscnt 0x0
	v_and_b32_e32 v8, 15, v8
	s_delay_alu instid0(VALU_DEP_1) | instskip(SKIP_3) | instid1(SALU_CYCLE_1)
	v_cmp_eq_u32_e32 vcc_lo, 0, v8
	s_and_b32 s15, s13, vcc_lo
	s_and_not1_b32 s13, s13, exec_lo
	s_and_b32 s15, s15, exec_lo
	s_or_b32 s13, s13, s15
.LBB4_2085:                             ;   in Loop: Header=BB4_1420 Depth=2
	s_or_b32 exec_lo, exec_lo, s14
	s_xor_b32 s13, s13, -1
	s_delay_alu instid0(SALU_CYCLE_1) | instskip(SKIP_1) | instid1(VALU_DEP_1)
	v_cndmask_b32_e64 v8, 0, 1, s13
	s_mov_b32 s13, -1
	v_cmp_ne_u32_e32 vcc_lo, 0, v8
	s_cbranch_vccz .LBB4_2228
; %bb.2086:                             ;   in Loop: Header=BB4_1420 Depth=2
	s_mov_b32 s90, -1
	v_mov_b32_e32 v44, 0
	s_cbranch_execnz .LBB4_2229
.LBB4_2087:                             ;   in Loop: Header=BB4_1420 Depth=2
	v_ashrrev_i32_e32 v8, 31, v13
	s_trap 2
	ds_load_b64 v[22:23], v0
	s_wait_dscnt 0x1
	v_add_nc_u64_e32 v[40:41], v[20:21], v[64:65]
	s_mov_b32 s15, 0
	v_lshrrev_b32_e32 v8, 23, v8
	s_mov_b32 s91, exec_lo
	v_sub_nc_u32_e32 v15, v13, v64
	s_delay_alu instid0(VALU_DEP_2) | instskip(NEXT) | instid1(VALU_DEP_1)
	v_add_nc_u32_e32 v8, v13, v8
	v_and_b32_e32 v56, 0xfffffe00, v8
	v_ashrrev_i32_e32 v8, 9, v8
	s_delay_alu instid0(VALU_DEP_1) | instskip(NEXT) | instid1(VALU_DEP_1)
	v_dual_sub_nc_u32 v57, v13, v56 :: v_dual_sub_nc_u32 v8, v8, v74
	v_cmp_lt_i32_e64 s13, 15, v57
	s_delay_alu instid0(VALU_DEP_1)
	v_add_co_ci_u32_e64 v58, null, 0, v8, s13
	v_cmpx_lt_i32_e32 15, v15
	s_cbranch_execz .LBB4_2231
; %bb.2088:                             ;   in Loop: Header=BB4_1420 Depth=2
	s_trap 2
	ds_load_b32 v8, v0
	v_add_nc_u64_e32 v[42:43], v[18:19], v[64:65]
	s_wait_dscnt 0x1
	v_add_nc_u64_e32 v[44:45], v[22:23], v[64:65]
	s_mov_b32 s94, 0
	s_mov_b32 s92, 0
                                        ; implicit-def: $sgpr93
	s_wait_dscnt 0x0
	v_lshlrev_b32_e32 v59, 16, v8
	s_branch .LBB4_2090
.LBB4_2089:                             ;   in Loop: Header=BB4_2090 Depth=3
	s_or_b32 exec_lo, exec_lo, s14
	s_delay_alu instid0(VALU_DEP_1) | instskip(SKIP_3) | instid1(SALU_CYCLE_1)
	v_cmp_gt_i32_e32 vcc_lo, 16, v15
	s_or_b32 s92, vcc_lo, s92
	s_and_not1_b32 s14, s93, exec_lo
	s_and_b32 s15, s94, exec_lo
	s_or_b32 s93, s14, s15
	s_and_not1_b32 exec_lo, exec_lo, s92
	s_cbranch_execz .LBB4_2230
.LBB4_2090:                             ;   Parent Loop BB4_47 Depth=1
                                        ;     Parent Loop BB4_1420 Depth=2
                                        ; =>    This Loop Header: Depth=3
                                        ;         Child Loop BB4_2091 Depth 4
                                        ;         Child Loop BB4_2160 Depth 4
	s_add_co_i32 s14, s33, 0xa0
	s_mov_b64 s[40:41], 0
	s_mov_b32 s95, s14
	s_mov_b32 vcc_hi, -1
.LBB4_2091:                             ;   Parent Loop BB4_47 Depth=1
                                        ;     Parent Loop BB4_1420 Depth=2
                                        ;       Parent Loop BB4_2090 Depth=3
                                        ; =>      This Inner Loop Header: Depth=4
	s_cmp_eq_u32 s40, 1
	s_cselect_b32 vcc_lo, -1, 0
	s_cmp_eq_u32 s40, 0
	v_dual_cndmask_b32 v47, v43, v45 :: v_dual_cndmask_b32 v46, v42, v44
	s_cselect_b32 s14, -1, 0
	s_and_b32 s15, exec_lo, vcc_hi
	s_mov_b64 s[40:41], 1
	s_mov_b32 vcc_hi, 0
	global_load_b128 v[8:11], v[46:47], off th:TH_LOAD_NT
	s_wait_xcnt 0x0
	v_add_nc_u64_e32 v[46:47], 0x200, v[46:47]
	s_delay_alu instid0(VALU_DEP_1)
	v_dual_cndmask_b32 v43, v43, v47, s14 :: v_dual_cndmask_b32 v42, v42, v46, s14
	v_dual_cndmask_b32 v45, v45, v47 :: v_dual_cndmask_b32 v44, v44, v46
	s_mov_b32 vcc_lo, s15
	s_wait_loadcnt 0x0
	scratch_store_b128 off, v[8:11], s95
	s_wait_xcnt 0x0
	s_mov_b32 s95, s72
	s_cbranch_vccnz .LBB4_2091
; %bb.2092:                             ;   in Loop: Header=BB4_2090 Depth=3
	s_and_saveexec_b32 s14, s94
	s_cbranch_execz .LBB4_2158
; %bb.2093:                             ;   in Loop: Header=BB4_2090 Depth=3
	scratch_load_b128 v[8:11], off, s33 offset:192
	s_wait_loadcnt 0x0
	v_lshlrev_b32_e32 v46, 16, v8
	s_delay_alu instid0(VALU_DEP_1) | instskip(NEXT) | instid1(VALU_DEP_1)
	v_mul_f32_e32 v46, v59, v46
	v_and_b32_e32 v47, 0x7f800000, v46
	s_delay_alu instid0(VALU_DEP_1) | instskip(SKIP_2) | instid1(SALU_CYCLE_1)
	v_cmp_ne_u32_e32 vcc_lo, 0x7f800000, v47
                                        ; implicit-def: $vgpr47
	s_wait_xcnt 0x0
	s_and_saveexec_b32 s15, vcc_lo
	s_xor_b32 s15, exec_lo, s15
; %bb.2094:                             ;   in Loop: Header=BB4_2090 Depth=3
	v_bfe_u32 v47, v46, 16, 1
	s_delay_alu instid0(VALU_DEP_1)
	v_add3_u32 v47, v46, v47, 0x7fff
                                        ; implicit-def: $vgpr46
; %bb.2095:                             ;   in Loop: Header=BB4_2090 Depth=3
	s_and_not1_saveexec_b32 s15, s15
; %bb.2096:                             ;   in Loop: Header=BB4_2090 Depth=3
	v_and_b32_e32 v47, 0xffff, v46
	v_or_b32_e32 v61, 0x10000, v46
	s_delay_alu instid0(VALU_DEP_2) | instskip(NEXT) | instid1(VALU_DEP_2)
	v_cmp_eq_u32_e32 vcc_lo, 0, v47
	v_cndmask_b32_e32 v47, v61, v46, vcc_lo
; %bb.2097:                             ;   in Loop: Header=BB4_2090 Depth=3
	s_or_b32 exec_lo, exec_lo, s15
	v_and_b32_e32 v8, 0xffff0000, v8
	s_delay_alu instid0(VALU_DEP_1) | instskip(NEXT) | instid1(VALU_DEP_1)
	v_mul_f32_e32 v8, v59, v8
	v_and_b32_e32 v46, 0x7f800000, v8
	s_delay_alu instid0(VALU_DEP_1) | instskip(SKIP_1) | instid1(SALU_CYCLE_1)
	v_cmp_ne_u32_e32 vcc_lo, 0x7f800000, v46
                                        ; implicit-def: $vgpr46
	s_and_saveexec_b32 s15, vcc_lo
	s_xor_b32 s15, exec_lo, s15
; %bb.2098:                             ;   in Loop: Header=BB4_2090 Depth=3
	v_bfe_u32 v46, v8, 16, 1
	s_delay_alu instid0(VALU_DEP_1)
	v_add3_u32 v46, v8, v46, 0x7fff
                                        ; implicit-def: $vgpr8
; %bb.2099:                             ;   in Loop: Header=BB4_2090 Depth=3
	s_and_not1_saveexec_b32 s15, s15
; %bb.2100:                             ;   in Loop: Header=BB4_2090 Depth=3
	v_and_b32_e32 v46, 0xffff, v8
	v_or_b32_e32 v61, 0x10000, v8
	s_delay_alu instid0(VALU_DEP_2) | instskip(NEXT) | instid1(VALU_DEP_2)
	v_cmp_eq_u32_e32 vcc_lo, 0, v46
	v_cndmask_b32_e32 v46, v61, v8, vcc_lo
; %bb.2101:                             ;   in Loop: Header=BB4_2090 Depth=3
	s_or_b32 exec_lo, exec_lo, s15
	v_lshlrev_b32_e32 v8, 16, v9
	s_mov_b32 s15, exec_lo
                                        ; implicit-def: $vgpr91
	s_delay_alu instid0(VALU_DEP_1) | instskip(NEXT) | instid1(VALU_DEP_1)
	v_mul_f32_e32 v8, v59, v8
	v_and_b32_e32 v61, 0x7f800000, v8
	s_delay_alu instid0(VALU_DEP_1)
	v_cmpx_ne_u32_e32 0x7f800000, v61
	s_xor_b32 s15, exec_lo, s15
; %bb.2102:                             ;   in Loop: Header=BB4_2090 Depth=3
	v_bfe_u32 v61, v8, 16, 1
	s_delay_alu instid0(VALU_DEP_1)
	v_add3_u32 v91, v8, v61, 0x7fff
                                        ; implicit-def: $vgpr8
; %bb.2103:                             ;   in Loop: Header=BB4_2090 Depth=3
	s_and_not1_saveexec_b32 s15, s15
; %bb.2104:                             ;   in Loop: Header=BB4_2090 Depth=3
	v_and_b32_e32 v61, 0xffff, v8
	v_or_b32_e32 v62, 0x10000, v8
	s_delay_alu instid0(VALU_DEP_2) | instskip(NEXT) | instid1(VALU_DEP_2)
	v_cmp_eq_u32_e32 vcc_lo, 0, v61
	v_cndmask_b32_e32 v91, v62, v8, vcc_lo
; %bb.2105:                             ;   in Loop: Header=BB4_2090 Depth=3
	s_or_b32 exec_lo, exec_lo, s15
	v_and_b32_e32 v8, 0xffff0000, v9
	s_mov_b32 s15, exec_lo
                                        ; implicit-def: $vgpr89
	s_delay_alu instid0(VALU_DEP_1) | instskip(NEXT) | instid1(VALU_DEP_1)
	v_mul_f32_e32 v8, v59, v8
	v_and_b32_e32 v9, 0x7f800000, v8
	s_delay_alu instid0(VALU_DEP_1)
	v_cmpx_ne_u32_e32 0x7f800000, v9
	s_xor_b32 s15, exec_lo, s15
; %bb.2106:                             ;   in Loop: Header=BB4_2090 Depth=3
	v_bfe_u32 v9, v8, 16, 1
	s_delay_alu instid0(VALU_DEP_1)
	v_add3_u32 v89, v8, v9, 0x7fff
                                        ; implicit-def: $vgpr8
; %bb.2107:                             ;   in Loop: Header=BB4_2090 Depth=3
	s_and_not1_saveexec_b32 s15, s15
; %bb.2108:                             ;   in Loop: Header=BB4_2090 Depth=3
	v_and_b32_e32 v9, 0xffff, v8
	v_or_b32_e32 v61, 0x10000, v8
	s_delay_alu instid0(VALU_DEP_2) | instskip(NEXT) | instid1(VALU_DEP_2)
	v_cmp_eq_u32_e32 vcc_lo, 0, v9
	v_cndmask_b32_e32 v89, v61, v8, vcc_lo
; %bb.2109:                             ;   in Loop: Header=BB4_2090 Depth=3
	s_or_b32 exec_lo, exec_lo, s15
	v_lshlrev_b32_e32 v8, 16, v10
	s_mov_b32 s15, exec_lo
                                        ; implicit-def: $vgpr90
	s_delay_alu instid0(VALU_DEP_1) | instskip(NEXT) | instid1(VALU_DEP_1)
	v_mul_f32_e32 v8, v59, v8
	v_and_b32_e32 v9, 0x7f800000, v8
	s_delay_alu instid0(VALU_DEP_1)
	v_cmpx_ne_u32_e32 0x7f800000, v9
	s_xor_b32 s15, exec_lo, s15
; %bb.2110:                             ;   in Loop: Header=BB4_2090 Depth=3
	v_bfe_u32 v9, v8, 16, 1
	s_delay_alu instid0(VALU_DEP_1)
	v_add3_u32 v90, v8, v9, 0x7fff
                                        ; implicit-def: $vgpr8
; %bb.2111:                             ;   in Loop: Header=BB4_2090 Depth=3
	s_and_not1_saveexec_b32 s15, s15
; %bb.2112:                             ;   in Loop: Header=BB4_2090 Depth=3
	v_and_b32_e32 v9, 0xffff, v8
	v_or_b32_e32 v61, 0x10000, v8
	s_delay_alu instid0(VALU_DEP_2) | instskip(NEXT) | instid1(VALU_DEP_2)
	v_cmp_eq_u32_e32 vcc_lo, 0, v9
	v_cndmask_b32_e32 v90, v61, v8, vcc_lo
; %bb.2113:                             ;   in Loop: Header=BB4_2090 Depth=3
	s_or_b32 exec_lo, exec_lo, s15
	v_and_b32_e32 v8, 0xffff0000, v10
	s_mov_b32 s15, exec_lo
                                        ; implicit-def: $vgpr63
	s_delay_alu instid0(VALU_DEP_1) | instskip(NEXT) | instid1(VALU_DEP_1)
	v_mul_f32_e32 v8, v59, v8
	v_and_b32_e32 v9, 0x7f800000, v8
	s_delay_alu instid0(VALU_DEP_1)
	v_cmpx_ne_u32_e32 0x7f800000, v9
	s_xor_b32 s15, exec_lo, s15
; %bb.2114:                             ;   in Loop: Header=BB4_2090 Depth=3
	v_bfe_u32 v9, v8, 16, 1
	s_delay_alu instid0(VALU_DEP_1)
	v_add3_u32 v63, v8, v9, 0x7fff
                                        ; implicit-def: $vgpr8
; %bb.2115:                             ;   in Loop: Header=BB4_2090 Depth=3
	s_and_not1_saveexec_b32 s15, s15
; %bb.2116:                             ;   in Loop: Header=BB4_2090 Depth=3
	v_and_b32_e32 v9, 0xffff, v8
	v_or_b32_e32 v10, 0x10000, v8
	s_delay_alu instid0(VALU_DEP_2) | instskip(NEXT) | instid1(VALU_DEP_2)
	v_cmp_eq_u32_e32 vcc_lo, 0, v9
	v_cndmask_b32_e32 v63, v10, v8, vcc_lo
; %bb.2117:                             ;   in Loop: Header=BB4_2090 Depth=3
	s_or_b32 exec_lo, exec_lo, s15
	v_lshlrev_b32_e32 v8, 16, v11
	s_mov_b32 s15, exec_lo
                                        ; implicit-def: $vgpr88
	s_delay_alu instid0(VALU_DEP_1) | instskip(NEXT) | instid1(VALU_DEP_1)
	v_mul_f32_e32 v8, v59, v8
	v_and_b32_e32 v9, 0x7f800000, v8
	s_delay_alu instid0(VALU_DEP_1)
	v_cmpx_ne_u32_e32 0x7f800000, v9
	s_xor_b32 s15, exec_lo, s15
; %bb.2118:                             ;   in Loop: Header=BB4_2090 Depth=3
	v_bfe_u32 v9, v8, 16, 1
	s_delay_alu instid0(VALU_DEP_1)
	v_add3_u32 v88, v8, v9, 0x7fff
                                        ; implicit-def: $vgpr8
; %bb.2119:                             ;   in Loop: Header=BB4_2090 Depth=3
	s_and_not1_saveexec_b32 s15, s15
; %bb.2120:                             ;   in Loop: Header=BB4_2090 Depth=3
	v_and_b32_e32 v9, 0xffff, v8
	v_or_b32_e32 v10, 0x10000, v8
	s_delay_alu instid0(VALU_DEP_2) | instskip(NEXT) | instid1(VALU_DEP_2)
	v_cmp_eq_u32_e32 vcc_lo, 0, v9
	v_cndmask_b32_e32 v88, v10, v8, vcc_lo
; %bb.2121:                             ;   in Loop: Header=BB4_2090 Depth=3
	s_or_b32 exec_lo, exec_lo, s15
	v_and_b32_e32 v8, 0xffff0000, v11
	s_mov_b32 s15, exec_lo
                                        ; implicit-def: $vgpr61
	s_delay_alu instid0(VALU_DEP_1) | instskip(NEXT) | instid1(VALU_DEP_1)
	v_mul_f32_e32 v8, v59, v8
	v_and_b32_e32 v9, 0x7f800000, v8
	s_delay_alu instid0(VALU_DEP_1)
	v_cmpx_ne_u32_e32 0x7f800000, v9
	s_xor_b32 s15, exec_lo, s15
; %bb.2122:                             ;   in Loop: Header=BB4_2090 Depth=3
	v_bfe_u32 v9, v8, 16, 1
	s_delay_alu instid0(VALU_DEP_1)
	v_add3_u32 v61, v8, v9, 0x7fff
                                        ; implicit-def: $vgpr8
; %bb.2123:                             ;   in Loop: Header=BB4_2090 Depth=3
	s_and_not1_saveexec_b32 s15, s15
; %bb.2124:                             ;   in Loop: Header=BB4_2090 Depth=3
	v_and_b32_e32 v9, 0xffff, v8
	v_or_b32_e32 v10, 0x10000, v8
	s_delay_alu instid0(VALU_DEP_2) | instskip(NEXT) | instid1(VALU_DEP_2)
	v_cmp_eq_u32_e32 vcc_lo, 0, v9
	v_cndmask_b32_e32 v61, v10, v8, vcc_lo
; %bb.2125:                             ;   in Loop: Header=BB4_2090 Depth=3
	s_or_b32 exec_lo, exec_lo, s15
	scratch_load_b128 v[8:11], off, s33 offset:208
	v_and_b32_e32 v47, 0xffff0000, v47
	s_wait_loadcnt 0x0
	v_lshlrev_b32_e32 v62, 16, v8
	s_delay_alu instid0(VALU_DEP_1) | instskip(NEXT) | instid1(VALU_DEP_1)
	v_add_f32_e32 v47, v47, v62
	v_and_b32_e32 v62, 0x7f800000, v47
	s_delay_alu instid0(VALU_DEP_1) | instskip(SKIP_2) | instid1(SALU_CYCLE_1)
	v_cmp_ne_u32_e32 vcc_lo, 0x7f800000, v62
                                        ; implicit-def: $vgpr62
	s_wait_xcnt 0x0
	s_and_saveexec_b32 s15, vcc_lo
	s_xor_b32 s15, exec_lo, s15
; %bb.2126:                             ;   in Loop: Header=BB4_2090 Depth=3
	v_bfe_u32 v62, v47, 16, 1
	s_delay_alu instid0(VALU_DEP_1)
	v_add3_u32 v62, v47, v62, 0x7fff
                                        ; implicit-def: $vgpr47
; %bb.2127:                             ;   in Loop: Header=BB4_2090 Depth=3
	s_and_not1_saveexec_b32 s15, s15
; %bb.2128:                             ;   in Loop: Header=BB4_2090 Depth=3
	v_and_b32_e32 v62, 0xffff, v47
	v_or_b32_e32 v92, 0x10000, v47
	s_delay_alu instid0(VALU_DEP_2) | instskip(NEXT) | instid1(VALU_DEP_2)
	v_cmp_eq_u32_e32 vcc_lo, 0, v62
	v_cndmask_b32_e32 v62, v92, v47, vcc_lo
; %bb.2129:                             ;   in Loop: Header=BB4_2090 Depth=3
	s_or_b32 exec_lo, exec_lo, s15
	v_and_b32_e32 v47, 0xffff0000, v8
	v_and_b32_e32 v46, 0xffff0000, v46
	s_delay_alu instid0(VALU_DEP_2) | instskip(NEXT) | instid1(VALU_DEP_1)
	v_mov_b32_e32 v8, v47
	v_pk_add_f32 v[46:47], v[8:9], v[46:47]
	s_delay_alu instid0(VALU_DEP_1) | instskip(NEXT) | instid1(VALU_DEP_1)
	v_and_b32_e32 v8, 0x7f800000, v46
	v_cmp_ne_u32_e32 vcc_lo, 0x7f800000, v8
                                        ; implicit-def: $vgpr8
	s_and_saveexec_b32 s15, vcc_lo
	s_delay_alu instid0(SALU_CYCLE_1)
	s_xor_b32 s15, exec_lo, s15
; %bb.2130:                             ;   in Loop: Header=BB4_2090 Depth=3
	v_bfe_u32 v8, v46, 16, 1
	s_delay_alu instid0(VALU_DEP_1)
	v_add3_u32 v8, v46, v8, 0x7fff
                                        ; implicit-def: $vgpr46_vgpr47
; %bb.2131:                             ;   in Loop: Header=BB4_2090 Depth=3
	s_and_not1_saveexec_b32 s15, s15
; %bb.2132:                             ;   in Loop: Header=BB4_2090 Depth=3
	v_and_b32_e32 v8, 0xffff, v46
	v_or_b32_e32 v47, 0x10000, v46
	s_delay_alu instid0(VALU_DEP_2) | instskip(NEXT) | instid1(VALU_DEP_2)
	v_cmp_eq_u32_e32 vcc_lo, 0, v8
	v_cndmask_b32_e32 v8, v47, v46, vcc_lo
; %bb.2133:                             ;   in Loop: Header=BB4_2090 Depth=3
	s_or_b32 exec_lo, exec_lo, s15
	v_and_b32_e32 v46, 0xffff0000, v91
	v_lshlrev_b32_e32 v47, 16, v9
	s_delay_alu instid0(VALU_DEP_1) | instskip(NEXT) | instid1(VALU_DEP_1)
	v_add_f32_e32 v47, v46, v47
	v_and_b32_e32 v46, 0x7f800000, v47
	s_delay_alu instid0(VALU_DEP_1) | instskip(SKIP_1) | instid1(SALU_CYCLE_1)
	v_cmp_ne_u32_e32 vcc_lo, 0x7f800000, v46
                                        ; implicit-def: $vgpr46
	s_and_saveexec_b32 s15, vcc_lo
	s_xor_b32 s15, exec_lo, s15
; %bb.2134:                             ;   in Loop: Header=BB4_2090 Depth=3
	v_bfe_u32 v46, v47, 16, 1
	s_delay_alu instid0(VALU_DEP_1)
	v_add3_u32 v46, v47, v46, 0x7fff
                                        ; implicit-def: $vgpr47
; %bb.2135:                             ;   in Loop: Header=BB4_2090 Depth=3
	s_and_not1_saveexec_b32 s15, s15
; %bb.2136:                             ;   in Loop: Header=BB4_2090 Depth=3
	v_and_b32_e32 v46, 0xffff, v47
	v_or_b32_e32 v91, 0x10000, v47
	s_delay_alu instid0(VALU_DEP_2) | instskip(NEXT) | instid1(VALU_DEP_2)
	v_cmp_eq_u32_e32 vcc_lo, 0, v46
	v_cndmask_b32_e32 v46, v91, v47, vcc_lo
; %bb.2137:                             ;   in Loop: Header=BB4_2090 Depth=3
	s_or_b32 exec_lo, exec_lo, s15
	v_and_b32_e32 v9, 0xffff0000, v9
	v_and_b32_e32 v47, 0xffff0000, v89
	s_delay_alu instid0(VALU_DEP_1) | instskip(NEXT) | instid1(VALU_DEP_1)
	v_add_f32_e32 v47, v47, v9
	v_and_b32_e32 v9, 0x7f800000, v47
	s_delay_alu instid0(VALU_DEP_1) | instskip(SKIP_1) | instid1(SALU_CYCLE_1)
	v_cmp_ne_u32_e32 vcc_lo, 0x7f800000, v9
                                        ; implicit-def: $vgpr9
	s_and_saveexec_b32 s15, vcc_lo
	s_xor_b32 s15, exec_lo, s15
; %bb.2138:                             ;   in Loop: Header=BB4_2090 Depth=3
	v_bfe_u32 v9, v47, 16, 1
	s_delay_alu instid0(VALU_DEP_1)
	v_add3_u32 v9, v47, v9, 0x7fff
                                        ; implicit-def: $vgpr47
; %bb.2139:                             ;   in Loop: Header=BB4_2090 Depth=3
	s_and_not1_saveexec_b32 s15, s15
; %bb.2140:                             ;   in Loop: Header=BB4_2090 Depth=3
	v_and_b32_e32 v9, 0xffff, v47
	v_or_b32_e32 v89, 0x10000, v47
	s_delay_alu instid0(VALU_DEP_2) | instskip(NEXT) | instid1(VALU_DEP_2)
	v_cmp_eq_u32_e32 vcc_lo, 0, v9
	v_cndmask_b32_e32 v9, v89, v47, vcc_lo
; %bb.2141:                             ;   in Loop: Header=BB4_2090 Depth=3
	s_or_b32 exec_lo, exec_lo, s15
	v_and_b32_e32 v47, 0xffff0000, v90
	v_lshlrev_b32_e32 v89, 16, v10
	s_delay_alu instid0(VALU_DEP_1) | instskip(NEXT) | instid1(VALU_DEP_1)
	v_add_f32_e32 v89, v47, v89
	v_and_b32_e32 v47, 0x7f800000, v89
	s_delay_alu instid0(VALU_DEP_1) | instskip(SKIP_1) | instid1(SALU_CYCLE_1)
	v_cmp_ne_u32_e32 vcc_lo, 0x7f800000, v47
                                        ; implicit-def: $vgpr47
	s_and_saveexec_b32 s15, vcc_lo
	s_xor_b32 s15, exec_lo, s15
; %bb.2142:                             ;   in Loop: Header=BB4_2090 Depth=3
	v_bfe_u32 v47, v89, 16, 1
	s_delay_alu instid0(VALU_DEP_1)
	v_add3_u32 v47, v89, v47, 0x7fff
                                        ; implicit-def: $vgpr89
; %bb.2143:                             ;   in Loop: Header=BB4_2090 Depth=3
	s_and_not1_saveexec_b32 s15, s15
; %bb.2144:                             ;   in Loop: Header=BB4_2090 Depth=3
	v_and_b32_e32 v47, 0xffff, v89
	v_or_b32_e32 v90, 0x10000, v89
	s_delay_alu instid0(VALU_DEP_2) | instskip(NEXT) | instid1(VALU_DEP_2)
	v_cmp_eq_u32_e32 vcc_lo, 0, v47
	v_cndmask_b32_e32 v47, v90, v89, vcc_lo
; %bb.2145:                             ;   in Loop: Header=BB4_2090 Depth=3
	s_or_b32 exec_lo, exec_lo, s15
	v_and_b32_e32 v10, 0xffff0000, v10
	v_and_b32_e32 v63, 0xffff0000, v63
	s_delay_alu instid0(VALU_DEP_1) | instskip(NEXT) | instid1(VALU_DEP_1)
	v_add_f32_e32 v63, v63, v10
	v_and_b32_e32 v10, 0x7f800000, v63
	s_delay_alu instid0(VALU_DEP_1) | instskip(SKIP_1) | instid1(SALU_CYCLE_1)
	v_cmp_ne_u32_e32 vcc_lo, 0x7f800000, v10
                                        ; implicit-def: $vgpr10
	s_and_saveexec_b32 s15, vcc_lo
	s_xor_b32 s15, exec_lo, s15
; %bb.2146:                             ;   in Loop: Header=BB4_2090 Depth=3
	v_bfe_u32 v10, v63, 16, 1
	s_delay_alu instid0(VALU_DEP_1)
	v_add3_u32 v10, v63, v10, 0x7fff
                                        ; implicit-def: $vgpr63
; %bb.2147:                             ;   in Loop: Header=BB4_2090 Depth=3
	s_and_not1_saveexec_b32 s15, s15
; %bb.2148:                             ;   in Loop: Header=BB4_2090 Depth=3
	v_and_b32_e32 v10, 0xffff, v63
	v_or_b32_e32 v89, 0x10000, v63
	s_delay_alu instid0(VALU_DEP_2) | instskip(NEXT) | instid1(VALU_DEP_2)
	v_cmp_eq_u32_e32 vcc_lo, 0, v10
	v_cndmask_b32_e32 v10, v89, v63, vcc_lo
; %bb.2149:                             ;   in Loop: Header=BB4_2090 Depth=3
	s_or_b32 exec_lo, exec_lo, s15
	v_and_b32_e32 v63, 0xffff0000, v88
	v_lshlrev_b32_e32 v88, 16, v11
	s_delay_alu instid0(VALU_DEP_1) | instskip(NEXT) | instid1(VALU_DEP_1)
	v_add_f32_e32 v88, v63, v88
	v_and_b32_e32 v63, 0x7f800000, v88
	s_delay_alu instid0(VALU_DEP_1) | instskip(SKIP_1) | instid1(SALU_CYCLE_1)
	v_cmp_ne_u32_e32 vcc_lo, 0x7f800000, v63
                                        ; implicit-def: $vgpr63
	s_and_saveexec_b32 s15, vcc_lo
	s_xor_b32 s15, exec_lo, s15
; %bb.2150:                             ;   in Loop: Header=BB4_2090 Depth=3
	v_bfe_u32 v63, v88, 16, 1
	s_delay_alu instid0(VALU_DEP_1)
	v_add3_u32 v63, v88, v63, 0x7fff
                                        ; implicit-def: $vgpr88
; %bb.2151:                             ;   in Loop: Header=BB4_2090 Depth=3
	s_and_not1_saveexec_b32 s15, s15
; %bb.2152:                             ;   in Loop: Header=BB4_2090 Depth=3
	v_and_b32_e32 v63, 0xffff, v88
	v_or_b32_e32 v89, 0x10000, v88
	s_delay_alu instid0(VALU_DEP_2) | instskip(NEXT) | instid1(VALU_DEP_2)
	v_cmp_eq_u32_e32 vcc_lo, 0, v63
	v_cndmask_b32_e32 v63, v89, v88, vcc_lo
; %bb.2153:                             ;   in Loop: Header=BB4_2090 Depth=3
	s_or_b32 exec_lo, exec_lo, s15
	v_and_b32_e32 v11, 0xffff0000, v11
	v_and_b32_e32 v61, 0xffff0000, v61
	s_delay_alu instid0(VALU_DEP_1) | instskip(NEXT) | instid1(VALU_DEP_1)
	v_add_f32_e32 v61, v61, v11
	v_and_b32_e32 v11, 0x7f800000, v61
	s_delay_alu instid0(VALU_DEP_1) | instskip(SKIP_1) | instid1(SALU_CYCLE_1)
	v_cmp_ne_u32_e32 vcc_lo, 0x7f800000, v11
                                        ; implicit-def: $vgpr11
	s_and_saveexec_b32 s15, vcc_lo
	s_xor_b32 s15, exec_lo, s15
; %bb.2154:                             ;   in Loop: Header=BB4_2090 Depth=3
	v_bfe_u32 v11, v61, 16, 1
	s_delay_alu instid0(VALU_DEP_1)
	v_add3_u32 v11, v61, v11, 0x7fff
                                        ; implicit-def: $vgpr61
; %bb.2155:                             ;   in Loop: Header=BB4_2090 Depth=3
	s_and_not1_saveexec_b32 s15, s15
; %bb.2156:                             ;   in Loop: Header=BB4_2090 Depth=3
	v_and_b32_e32 v11, 0xffff, v61
	v_or_b32_e32 v88, 0x10000, v61
	s_delay_alu instid0(VALU_DEP_2) | instskip(NEXT) | instid1(VALU_DEP_2)
	v_cmp_eq_u32_e32 vcc_lo, 0, v11
	v_cndmask_b32_e32 v11, v88, v61, vcc_lo
; %bb.2157:                             ;   in Loop: Header=BB4_2090 Depth=3
	s_or_b32 exec_lo, exec_lo, s15
	v_dual_lshrrev_b32 v46, 16, v46 :: v_dual_lshrrev_b32 v47, 16, v47
	v_dual_lshrrev_b32 v61, 16, v62 :: v_dual_lshrrev_b32 v62, 16, v63
	s_delay_alu instid0(VALU_DEP_2) | instskip(NEXT) | instid1(VALU_DEP_3)
	v_and_or_b32 v9, 0xffff0000, v9, v46
	v_and_or_b32 v10, 0xffff0000, v10, v47
	s_delay_alu instid0(VALU_DEP_3) | instskip(NEXT) | instid1(VALU_DEP_4)
	v_and_or_b32 v8, 0xffff0000, v8, v61
	v_and_or_b32 v11, 0xffff0000, v11, v62
	global_store_b128 v[40:41], v[8:11], off th:TH_STORE_NT
	s_wait_xcnt 0x0
	v_add_nc_u64_e32 v[40:41], v[100:101], v[40:41]
	scratch_store_b128 off, v[8:11], s33 offset:192
.LBB4_2158:                             ;   in Loop: Header=BB4_2090 Depth=3
	s_wait_xcnt 0x0
	s_or_b32 exec_lo, exec_lo, s14
	v_sub_nc_u32_e32 v15, v15, v78
	v_add_nc_u64_e32 v[42:43], v[42:43], v[84:85]
	v_add_nc_u64_e32 v[44:45], v[44:45], v[84:85]
	s_delay_alu instid0(VALU_DEP_3)
	v_cmp_lt_i32_e64 s94, 15, v15
	s_and_saveexec_b32 s95, s94
	s_cbranch_execz .LBB4_2161
; %bb.2159:                             ;   in Loop: Header=BB4_2090 Depth=3
	s_add_co_i32 s14, s33, 0xc0
	s_mov_b64 s[40:41], 0
	s_mov_b32 vcc_hi, s14
	s_mov_b32 s30, -1
.LBB4_2160:                             ;   Parent Loop BB4_47 Depth=1
                                        ;     Parent Loop BB4_1420 Depth=2
                                        ;       Parent Loop BB4_2090 Depth=3
                                        ; =>      This Inner Loop Header: Depth=4
	s_cmp_eq_u32 s40, 1
	s_cselect_b32 vcc_lo, -1, 0
	s_cmp_eq_u32 s40, 0
	v_dual_cndmask_b32 v47, v43, v45 :: v_dual_cndmask_b32 v46, v42, v44
	s_cselect_b32 s14, -1, 0
	s_and_b32 s15, exec_lo, s30
	s_mov_b64 s[40:41], 1
	s_mov_b32 s30, 0
	global_load_b128 v[8:11], v[46:47], off th:TH_LOAD_NT
	s_wait_xcnt 0x0
	v_add_nc_u64_e32 v[46:47], 0x200, v[46:47]
	s_delay_alu instid0(VALU_DEP_1)
	v_dual_cndmask_b32 v43, v43, v47, s14 :: v_dual_cndmask_b32 v42, v42, v46, s14
	v_dual_cndmask_b32 v45, v45, v47 :: v_dual_cndmask_b32 v44, v44, v46
	s_mov_b32 vcc_lo, s15
	s_wait_loadcnt 0x0
	scratch_store_b128 off, v[8:11], vcc_hi
	s_wait_xcnt 0x0
	s_mov_b32 vcc_hi, s63
	s_cbranch_vccnz .LBB4_2160
.LBB4_2161:                             ;   in Loop: Header=BB4_2090 Depth=3
	s_or_b32 exec_lo, exec_lo, s95
	scratch_load_b128 v[8:11], off, s33 offset:160
	s_wait_loadcnt 0x0
	v_lshlrev_b32_e32 v46, 16, v8
	s_delay_alu instid0(VALU_DEP_1) | instskip(NEXT) | instid1(VALU_DEP_1)
	v_mul_f32_e32 v46, v59, v46
	v_and_b32_e32 v47, 0x7f800000, v46
	s_delay_alu instid0(VALU_DEP_1) | instskip(SKIP_2) | instid1(SALU_CYCLE_1)
	v_cmp_ne_u32_e32 vcc_lo, 0x7f800000, v47
                                        ; implicit-def: $vgpr47
	s_wait_xcnt 0x0
	s_and_saveexec_b32 s14, vcc_lo
	s_xor_b32 s14, exec_lo, s14
; %bb.2162:                             ;   in Loop: Header=BB4_2090 Depth=3
	v_bfe_u32 v47, v46, 16, 1
	s_delay_alu instid0(VALU_DEP_1)
	v_add3_u32 v47, v46, v47, 0x7fff
                                        ; implicit-def: $vgpr46
; %bb.2163:                             ;   in Loop: Header=BB4_2090 Depth=3
	s_and_not1_saveexec_b32 s14, s14
; %bb.2164:                             ;   in Loop: Header=BB4_2090 Depth=3
	v_and_b32_e32 v47, 0xffff, v46
	v_or_b32_e32 v61, 0x10000, v46
	s_delay_alu instid0(VALU_DEP_2) | instskip(NEXT) | instid1(VALU_DEP_2)
	v_cmp_eq_u32_e32 vcc_lo, 0, v47
	v_cndmask_b32_e32 v47, v61, v46, vcc_lo
; %bb.2165:                             ;   in Loop: Header=BB4_2090 Depth=3
	s_or_b32 exec_lo, exec_lo, s14
	v_and_b32_e32 v8, 0xffff0000, v8
	s_delay_alu instid0(VALU_DEP_1) | instskip(NEXT) | instid1(VALU_DEP_1)
	v_mul_f32_e32 v8, v59, v8
	v_and_b32_e32 v46, 0x7f800000, v8
	s_delay_alu instid0(VALU_DEP_1) | instskip(SKIP_1) | instid1(SALU_CYCLE_1)
	v_cmp_ne_u32_e32 vcc_lo, 0x7f800000, v46
                                        ; implicit-def: $vgpr46
	s_and_saveexec_b32 s14, vcc_lo
	s_xor_b32 s14, exec_lo, s14
; %bb.2166:                             ;   in Loop: Header=BB4_2090 Depth=3
	v_bfe_u32 v46, v8, 16, 1
	s_delay_alu instid0(VALU_DEP_1)
	v_add3_u32 v46, v8, v46, 0x7fff
                                        ; implicit-def: $vgpr8
; %bb.2167:                             ;   in Loop: Header=BB4_2090 Depth=3
	s_and_not1_saveexec_b32 s14, s14
; %bb.2168:                             ;   in Loop: Header=BB4_2090 Depth=3
	v_and_b32_e32 v46, 0xffff, v8
	v_or_b32_e32 v61, 0x10000, v8
	s_delay_alu instid0(VALU_DEP_2) | instskip(NEXT) | instid1(VALU_DEP_2)
	v_cmp_eq_u32_e32 vcc_lo, 0, v46
	v_cndmask_b32_e32 v46, v61, v8, vcc_lo
; %bb.2169:                             ;   in Loop: Header=BB4_2090 Depth=3
	s_or_b32 exec_lo, exec_lo, s14
	v_lshlrev_b32_e32 v8, 16, v9
	s_mov_b32 s14, exec_lo
                                        ; implicit-def: $vgpr91
	s_delay_alu instid0(VALU_DEP_1) | instskip(NEXT) | instid1(VALU_DEP_1)
	v_mul_f32_e32 v8, v59, v8
	v_and_b32_e32 v61, 0x7f800000, v8
	s_delay_alu instid0(VALU_DEP_1)
	v_cmpx_ne_u32_e32 0x7f800000, v61
	s_xor_b32 s14, exec_lo, s14
; %bb.2170:                             ;   in Loop: Header=BB4_2090 Depth=3
	v_bfe_u32 v61, v8, 16, 1
	s_delay_alu instid0(VALU_DEP_1)
	v_add3_u32 v91, v8, v61, 0x7fff
                                        ; implicit-def: $vgpr8
; %bb.2171:                             ;   in Loop: Header=BB4_2090 Depth=3
	s_and_not1_saveexec_b32 s14, s14
; %bb.2172:                             ;   in Loop: Header=BB4_2090 Depth=3
	v_and_b32_e32 v61, 0xffff, v8
	v_or_b32_e32 v62, 0x10000, v8
	s_delay_alu instid0(VALU_DEP_2) | instskip(NEXT) | instid1(VALU_DEP_2)
	v_cmp_eq_u32_e32 vcc_lo, 0, v61
	v_cndmask_b32_e32 v91, v62, v8, vcc_lo
; %bb.2173:                             ;   in Loop: Header=BB4_2090 Depth=3
	s_or_b32 exec_lo, exec_lo, s14
	v_and_b32_e32 v8, 0xffff0000, v9
	s_mov_b32 s14, exec_lo
                                        ; implicit-def: $vgpr89
	s_delay_alu instid0(VALU_DEP_1) | instskip(NEXT) | instid1(VALU_DEP_1)
	v_mul_f32_e32 v8, v59, v8
	v_and_b32_e32 v9, 0x7f800000, v8
	s_delay_alu instid0(VALU_DEP_1)
	v_cmpx_ne_u32_e32 0x7f800000, v9
	s_xor_b32 s14, exec_lo, s14
; %bb.2174:                             ;   in Loop: Header=BB4_2090 Depth=3
	v_bfe_u32 v9, v8, 16, 1
	s_delay_alu instid0(VALU_DEP_1)
	v_add3_u32 v89, v8, v9, 0x7fff
                                        ; implicit-def: $vgpr8
; %bb.2175:                             ;   in Loop: Header=BB4_2090 Depth=3
	s_and_not1_saveexec_b32 s14, s14
; %bb.2176:                             ;   in Loop: Header=BB4_2090 Depth=3
	v_and_b32_e32 v9, 0xffff, v8
	v_or_b32_e32 v61, 0x10000, v8
	s_delay_alu instid0(VALU_DEP_2) | instskip(NEXT) | instid1(VALU_DEP_2)
	v_cmp_eq_u32_e32 vcc_lo, 0, v9
	v_cndmask_b32_e32 v89, v61, v8, vcc_lo
; %bb.2177:                             ;   in Loop: Header=BB4_2090 Depth=3
	s_or_b32 exec_lo, exec_lo, s14
	v_lshlrev_b32_e32 v8, 16, v10
	s_mov_b32 s14, exec_lo
                                        ; implicit-def: $vgpr90
	s_delay_alu instid0(VALU_DEP_1) | instskip(NEXT) | instid1(VALU_DEP_1)
	v_mul_f32_e32 v8, v59, v8
	v_and_b32_e32 v9, 0x7f800000, v8
	s_delay_alu instid0(VALU_DEP_1)
	v_cmpx_ne_u32_e32 0x7f800000, v9
	s_xor_b32 s14, exec_lo, s14
; %bb.2178:                             ;   in Loop: Header=BB4_2090 Depth=3
	v_bfe_u32 v9, v8, 16, 1
	s_delay_alu instid0(VALU_DEP_1)
	v_add3_u32 v90, v8, v9, 0x7fff
                                        ; implicit-def: $vgpr8
; %bb.2179:                             ;   in Loop: Header=BB4_2090 Depth=3
	s_and_not1_saveexec_b32 s14, s14
; %bb.2180:                             ;   in Loop: Header=BB4_2090 Depth=3
	v_and_b32_e32 v9, 0xffff, v8
	v_or_b32_e32 v61, 0x10000, v8
	s_delay_alu instid0(VALU_DEP_2) | instskip(NEXT) | instid1(VALU_DEP_2)
	v_cmp_eq_u32_e32 vcc_lo, 0, v9
	v_cndmask_b32_e32 v90, v61, v8, vcc_lo
; %bb.2181:                             ;   in Loop: Header=BB4_2090 Depth=3
	s_or_b32 exec_lo, exec_lo, s14
	v_and_b32_e32 v8, 0xffff0000, v10
	s_mov_b32 s14, exec_lo
                                        ; implicit-def: $vgpr63
	s_delay_alu instid0(VALU_DEP_1) | instskip(NEXT) | instid1(VALU_DEP_1)
	v_mul_f32_e32 v8, v59, v8
	v_and_b32_e32 v9, 0x7f800000, v8
	s_delay_alu instid0(VALU_DEP_1)
	v_cmpx_ne_u32_e32 0x7f800000, v9
	s_xor_b32 s14, exec_lo, s14
; %bb.2182:                             ;   in Loop: Header=BB4_2090 Depth=3
	v_bfe_u32 v9, v8, 16, 1
	s_delay_alu instid0(VALU_DEP_1)
	v_add3_u32 v63, v8, v9, 0x7fff
                                        ; implicit-def: $vgpr8
; %bb.2183:                             ;   in Loop: Header=BB4_2090 Depth=3
	s_and_not1_saveexec_b32 s14, s14
; %bb.2184:                             ;   in Loop: Header=BB4_2090 Depth=3
	v_and_b32_e32 v9, 0xffff, v8
	v_or_b32_e32 v10, 0x10000, v8
	s_delay_alu instid0(VALU_DEP_2) | instskip(NEXT) | instid1(VALU_DEP_2)
	v_cmp_eq_u32_e32 vcc_lo, 0, v9
	v_cndmask_b32_e32 v63, v10, v8, vcc_lo
; %bb.2185:                             ;   in Loop: Header=BB4_2090 Depth=3
	s_or_b32 exec_lo, exec_lo, s14
	v_lshlrev_b32_e32 v8, 16, v11
	s_mov_b32 s14, exec_lo
                                        ; implicit-def: $vgpr88
	s_delay_alu instid0(VALU_DEP_1) | instskip(NEXT) | instid1(VALU_DEP_1)
	v_mul_f32_e32 v8, v59, v8
	v_and_b32_e32 v9, 0x7f800000, v8
	s_delay_alu instid0(VALU_DEP_1)
	v_cmpx_ne_u32_e32 0x7f800000, v9
	s_xor_b32 s14, exec_lo, s14
; %bb.2186:                             ;   in Loop: Header=BB4_2090 Depth=3
	v_bfe_u32 v9, v8, 16, 1
	s_delay_alu instid0(VALU_DEP_1)
	v_add3_u32 v88, v8, v9, 0x7fff
                                        ; implicit-def: $vgpr8
; %bb.2187:                             ;   in Loop: Header=BB4_2090 Depth=3
	s_and_not1_saveexec_b32 s14, s14
; %bb.2188:                             ;   in Loop: Header=BB4_2090 Depth=3
	v_and_b32_e32 v9, 0xffff, v8
	v_or_b32_e32 v10, 0x10000, v8
	s_delay_alu instid0(VALU_DEP_2) | instskip(NEXT) | instid1(VALU_DEP_2)
	v_cmp_eq_u32_e32 vcc_lo, 0, v9
	v_cndmask_b32_e32 v88, v10, v8, vcc_lo
; %bb.2189:                             ;   in Loop: Header=BB4_2090 Depth=3
	s_or_b32 exec_lo, exec_lo, s14
	v_and_b32_e32 v8, 0xffff0000, v11
	s_mov_b32 s14, exec_lo
                                        ; implicit-def: $vgpr62
	s_delay_alu instid0(VALU_DEP_1) | instskip(NEXT) | instid1(VALU_DEP_1)
	v_mul_f32_e32 v8, v59, v8
	v_and_b32_e32 v9, 0x7f800000, v8
	s_delay_alu instid0(VALU_DEP_1)
	v_cmpx_ne_u32_e32 0x7f800000, v9
	s_xor_b32 s14, exec_lo, s14
; %bb.2190:                             ;   in Loop: Header=BB4_2090 Depth=3
	v_bfe_u32 v9, v8, 16, 1
	s_delay_alu instid0(VALU_DEP_1)
	v_add3_u32 v62, v8, v9, 0x7fff
                                        ; implicit-def: $vgpr8
; %bb.2191:                             ;   in Loop: Header=BB4_2090 Depth=3
	s_and_not1_saveexec_b32 s14, s14
; %bb.2192:                             ;   in Loop: Header=BB4_2090 Depth=3
	v_and_b32_e32 v9, 0xffff, v8
	v_or_b32_e32 v10, 0x10000, v8
	s_delay_alu instid0(VALU_DEP_2) | instskip(NEXT) | instid1(VALU_DEP_2)
	v_cmp_eq_u32_e32 vcc_lo, 0, v9
	v_cndmask_b32_e32 v62, v10, v8, vcc_lo
; %bb.2193:                             ;   in Loop: Header=BB4_2090 Depth=3
	s_or_b32 exec_lo, exec_lo, s14
	scratch_load_b128 v[8:11], off, s33 offset:176
	v_and_b32_e32 v47, 0xffff0000, v47
	s_wait_loadcnt 0x0
	v_lshlrev_b32_e32 v61, 16, v8
	s_delay_alu instid0(VALU_DEP_1) | instskip(NEXT) | instid1(VALU_DEP_1)
	v_add_f32_e32 v47, v47, v61
	v_and_b32_e32 v61, 0x7f800000, v47
	s_delay_alu instid0(VALU_DEP_1) | instskip(SKIP_2) | instid1(SALU_CYCLE_1)
	v_cmp_ne_u32_e32 vcc_lo, 0x7f800000, v61
                                        ; implicit-def: $vgpr61
	s_wait_xcnt 0x0
	s_and_saveexec_b32 s14, vcc_lo
	s_xor_b32 s14, exec_lo, s14
; %bb.2194:                             ;   in Loop: Header=BB4_2090 Depth=3
	v_bfe_u32 v61, v47, 16, 1
	s_delay_alu instid0(VALU_DEP_1)
	v_add3_u32 v61, v47, v61, 0x7fff
                                        ; implicit-def: $vgpr47
; %bb.2195:                             ;   in Loop: Header=BB4_2090 Depth=3
	s_and_not1_saveexec_b32 s14, s14
; %bb.2196:                             ;   in Loop: Header=BB4_2090 Depth=3
	v_and_b32_e32 v61, 0xffff, v47
	v_or_b32_e32 v92, 0x10000, v47
	s_delay_alu instid0(VALU_DEP_2) | instskip(NEXT) | instid1(VALU_DEP_2)
	v_cmp_eq_u32_e32 vcc_lo, 0, v61
	v_cndmask_b32_e32 v61, v92, v47, vcc_lo
; %bb.2197:                             ;   in Loop: Header=BB4_2090 Depth=3
	s_or_b32 exec_lo, exec_lo, s14
	v_and_b32_e32 v47, 0xffff0000, v8
	v_and_b32_e32 v46, 0xffff0000, v46
	s_delay_alu instid0(VALU_DEP_2) | instskip(NEXT) | instid1(VALU_DEP_1)
	v_mov_b32_e32 v8, v47
	v_pk_add_f32 v[46:47], v[8:9], v[46:47]
	s_delay_alu instid0(VALU_DEP_1) | instskip(NEXT) | instid1(VALU_DEP_1)
	v_and_b32_e32 v8, 0x7f800000, v46
	v_cmp_ne_u32_e32 vcc_lo, 0x7f800000, v8
                                        ; implicit-def: $vgpr8
	s_and_saveexec_b32 s14, vcc_lo
	s_delay_alu instid0(SALU_CYCLE_1)
	s_xor_b32 s14, exec_lo, s14
; %bb.2198:                             ;   in Loop: Header=BB4_2090 Depth=3
	v_bfe_u32 v8, v46, 16, 1
	s_delay_alu instid0(VALU_DEP_1)
	v_add3_u32 v8, v46, v8, 0x7fff
                                        ; implicit-def: $vgpr46_vgpr47
; %bb.2199:                             ;   in Loop: Header=BB4_2090 Depth=3
	s_and_not1_saveexec_b32 s14, s14
; %bb.2200:                             ;   in Loop: Header=BB4_2090 Depth=3
	v_and_b32_e32 v8, 0xffff, v46
	v_or_b32_e32 v47, 0x10000, v46
	s_delay_alu instid0(VALU_DEP_2) | instskip(NEXT) | instid1(VALU_DEP_2)
	v_cmp_eq_u32_e32 vcc_lo, 0, v8
	v_cndmask_b32_e32 v8, v47, v46, vcc_lo
; %bb.2201:                             ;   in Loop: Header=BB4_2090 Depth=3
	s_or_b32 exec_lo, exec_lo, s14
	v_and_b32_e32 v46, 0xffff0000, v91
	v_lshlrev_b32_e32 v47, 16, v9
	s_delay_alu instid0(VALU_DEP_1) | instskip(NEXT) | instid1(VALU_DEP_1)
	v_add_f32_e32 v47, v46, v47
	v_and_b32_e32 v46, 0x7f800000, v47
	s_delay_alu instid0(VALU_DEP_1) | instskip(SKIP_1) | instid1(SALU_CYCLE_1)
	v_cmp_ne_u32_e32 vcc_lo, 0x7f800000, v46
                                        ; implicit-def: $vgpr46
	s_and_saveexec_b32 s14, vcc_lo
	s_xor_b32 s14, exec_lo, s14
; %bb.2202:                             ;   in Loop: Header=BB4_2090 Depth=3
	v_bfe_u32 v46, v47, 16, 1
	s_delay_alu instid0(VALU_DEP_1)
	v_add3_u32 v46, v47, v46, 0x7fff
                                        ; implicit-def: $vgpr47
; %bb.2203:                             ;   in Loop: Header=BB4_2090 Depth=3
	s_and_not1_saveexec_b32 s14, s14
; %bb.2204:                             ;   in Loop: Header=BB4_2090 Depth=3
	v_and_b32_e32 v46, 0xffff, v47
	v_or_b32_e32 v91, 0x10000, v47
	s_delay_alu instid0(VALU_DEP_2) | instskip(NEXT) | instid1(VALU_DEP_2)
	v_cmp_eq_u32_e32 vcc_lo, 0, v46
	v_cndmask_b32_e32 v46, v91, v47, vcc_lo
; %bb.2205:                             ;   in Loop: Header=BB4_2090 Depth=3
	s_or_b32 exec_lo, exec_lo, s14
	v_and_b32_e32 v9, 0xffff0000, v9
	v_and_b32_e32 v47, 0xffff0000, v89
	s_delay_alu instid0(VALU_DEP_1) | instskip(NEXT) | instid1(VALU_DEP_1)
	v_add_f32_e32 v47, v47, v9
	v_and_b32_e32 v9, 0x7f800000, v47
	s_delay_alu instid0(VALU_DEP_1) | instskip(SKIP_1) | instid1(SALU_CYCLE_1)
	v_cmp_ne_u32_e32 vcc_lo, 0x7f800000, v9
                                        ; implicit-def: $vgpr9
	s_and_saveexec_b32 s14, vcc_lo
	s_xor_b32 s14, exec_lo, s14
; %bb.2206:                             ;   in Loop: Header=BB4_2090 Depth=3
	v_bfe_u32 v9, v47, 16, 1
	s_delay_alu instid0(VALU_DEP_1)
	v_add3_u32 v9, v47, v9, 0x7fff
                                        ; implicit-def: $vgpr47
; %bb.2207:                             ;   in Loop: Header=BB4_2090 Depth=3
	s_and_not1_saveexec_b32 s14, s14
; %bb.2208:                             ;   in Loop: Header=BB4_2090 Depth=3
	v_and_b32_e32 v9, 0xffff, v47
	v_or_b32_e32 v89, 0x10000, v47
	s_delay_alu instid0(VALU_DEP_2) | instskip(NEXT) | instid1(VALU_DEP_2)
	v_cmp_eq_u32_e32 vcc_lo, 0, v9
	v_cndmask_b32_e32 v9, v89, v47, vcc_lo
; %bb.2209:                             ;   in Loop: Header=BB4_2090 Depth=3
	s_or_b32 exec_lo, exec_lo, s14
	v_and_b32_e32 v47, 0xffff0000, v90
	v_lshlrev_b32_e32 v89, 16, v10
	s_delay_alu instid0(VALU_DEP_1) | instskip(NEXT) | instid1(VALU_DEP_1)
	v_add_f32_e32 v89, v47, v89
	v_and_b32_e32 v47, 0x7f800000, v89
	s_delay_alu instid0(VALU_DEP_1) | instskip(SKIP_1) | instid1(SALU_CYCLE_1)
	v_cmp_ne_u32_e32 vcc_lo, 0x7f800000, v47
                                        ; implicit-def: $vgpr47
	s_and_saveexec_b32 s14, vcc_lo
	s_xor_b32 s14, exec_lo, s14
; %bb.2210:                             ;   in Loop: Header=BB4_2090 Depth=3
	v_bfe_u32 v47, v89, 16, 1
	s_delay_alu instid0(VALU_DEP_1)
	v_add3_u32 v47, v89, v47, 0x7fff
                                        ; implicit-def: $vgpr89
; %bb.2211:                             ;   in Loop: Header=BB4_2090 Depth=3
	s_and_not1_saveexec_b32 s14, s14
; %bb.2212:                             ;   in Loop: Header=BB4_2090 Depth=3
	v_and_b32_e32 v47, 0xffff, v89
	v_or_b32_e32 v90, 0x10000, v89
	s_delay_alu instid0(VALU_DEP_2) | instskip(NEXT) | instid1(VALU_DEP_2)
	v_cmp_eq_u32_e32 vcc_lo, 0, v47
	v_cndmask_b32_e32 v47, v90, v89, vcc_lo
; %bb.2213:                             ;   in Loop: Header=BB4_2090 Depth=3
	s_or_b32 exec_lo, exec_lo, s14
	v_and_b32_e32 v10, 0xffff0000, v10
	v_and_b32_e32 v63, 0xffff0000, v63
	s_delay_alu instid0(VALU_DEP_1) | instskip(NEXT) | instid1(VALU_DEP_1)
	v_add_f32_e32 v63, v63, v10
	v_and_b32_e32 v10, 0x7f800000, v63
	s_delay_alu instid0(VALU_DEP_1) | instskip(SKIP_1) | instid1(SALU_CYCLE_1)
	v_cmp_ne_u32_e32 vcc_lo, 0x7f800000, v10
                                        ; implicit-def: $vgpr10
	s_and_saveexec_b32 s14, vcc_lo
	s_xor_b32 s14, exec_lo, s14
; %bb.2214:                             ;   in Loop: Header=BB4_2090 Depth=3
	v_bfe_u32 v10, v63, 16, 1
	s_delay_alu instid0(VALU_DEP_1)
	v_add3_u32 v10, v63, v10, 0x7fff
                                        ; implicit-def: $vgpr63
; %bb.2215:                             ;   in Loop: Header=BB4_2090 Depth=3
	s_and_not1_saveexec_b32 s14, s14
; %bb.2216:                             ;   in Loop: Header=BB4_2090 Depth=3
	v_and_b32_e32 v10, 0xffff, v63
	v_or_b32_e32 v89, 0x10000, v63
	s_delay_alu instid0(VALU_DEP_2) | instskip(NEXT) | instid1(VALU_DEP_2)
	v_cmp_eq_u32_e32 vcc_lo, 0, v10
	v_cndmask_b32_e32 v10, v89, v63, vcc_lo
; %bb.2217:                             ;   in Loop: Header=BB4_2090 Depth=3
	s_or_b32 exec_lo, exec_lo, s14
	v_and_b32_e32 v63, 0xffff0000, v88
	v_lshlrev_b32_e32 v88, 16, v11
	s_delay_alu instid0(VALU_DEP_1) | instskip(NEXT) | instid1(VALU_DEP_1)
	v_add_f32_e32 v88, v63, v88
	v_and_b32_e32 v63, 0x7f800000, v88
	s_delay_alu instid0(VALU_DEP_1) | instskip(SKIP_1) | instid1(SALU_CYCLE_1)
	v_cmp_ne_u32_e32 vcc_lo, 0x7f800000, v63
                                        ; implicit-def: $vgpr63
	s_and_saveexec_b32 s14, vcc_lo
	s_xor_b32 s14, exec_lo, s14
; %bb.2218:                             ;   in Loop: Header=BB4_2090 Depth=3
	v_bfe_u32 v63, v88, 16, 1
	s_delay_alu instid0(VALU_DEP_1)
	v_add3_u32 v63, v88, v63, 0x7fff
                                        ; implicit-def: $vgpr88
; %bb.2219:                             ;   in Loop: Header=BB4_2090 Depth=3
	s_and_not1_saveexec_b32 s14, s14
; %bb.2220:                             ;   in Loop: Header=BB4_2090 Depth=3
	v_and_b32_e32 v63, 0xffff, v88
	v_or_b32_e32 v89, 0x10000, v88
	s_delay_alu instid0(VALU_DEP_2) | instskip(NEXT) | instid1(VALU_DEP_2)
	v_cmp_eq_u32_e32 vcc_lo, 0, v63
	v_cndmask_b32_e32 v63, v89, v88, vcc_lo
; %bb.2221:                             ;   in Loop: Header=BB4_2090 Depth=3
	s_or_b32 exec_lo, exec_lo, s14
	v_and_b32_e32 v11, 0xffff0000, v11
	v_and_b32_e32 v62, 0xffff0000, v62
	s_delay_alu instid0(VALU_DEP_1) | instskip(NEXT) | instid1(VALU_DEP_1)
	v_add_f32_e32 v62, v62, v11
	v_and_b32_e32 v11, 0x7f800000, v62
	s_delay_alu instid0(VALU_DEP_1) | instskip(SKIP_1) | instid1(SALU_CYCLE_1)
	v_cmp_ne_u32_e32 vcc_lo, 0x7f800000, v11
                                        ; implicit-def: $vgpr11
	s_and_saveexec_b32 s14, vcc_lo
	s_xor_b32 s14, exec_lo, s14
; %bb.2222:                             ;   in Loop: Header=BB4_2090 Depth=3
	v_bfe_u32 v11, v62, 16, 1
	s_delay_alu instid0(VALU_DEP_1)
	v_add3_u32 v11, v62, v11, 0x7fff
                                        ; implicit-def: $vgpr62
; %bb.2223:                             ;   in Loop: Header=BB4_2090 Depth=3
	s_and_not1_saveexec_b32 s14, s14
; %bb.2224:                             ;   in Loop: Header=BB4_2090 Depth=3
	v_and_b32_e32 v11, 0xffff, v62
	v_or_b32_e32 v88, 0x10000, v62
	s_delay_alu instid0(VALU_DEP_2) | instskip(NEXT) | instid1(VALU_DEP_2)
	v_cmp_eq_u32_e32 vcc_lo, 0, v11
	v_cndmask_b32_e32 v11, v88, v62, vcc_lo
; %bb.2225:                             ;   in Loop: Header=BB4_2090 Depth=3
	s_or_b32 exec_lo, exec_lo, s14
	v_dual_lshrrev_b32 v46, 16, v46 :: v_dual_lshrrev_b32 v61, 16, v61
	v_dual_lshrrev_b32 v47, 16, v47 :: v_dual_sub_nc_u32 v58, v58, v52
	v_lshrrev_b32_e32 v62, 16, v63
	s_delay_alu instid0(VALU_DEP_3) | instskip(NEXT) | instid1(VALU_DEP_4)
	v_and_or_b32 v9, 0xffff0000, v9, v46
	v_and_or_b32 v8, 0xffff0000, v8, v61
	s_delay_alu instid0(VALU_DEP_4) | instskip(NEXT) | instid1(VALU_DEP_4)
	v_and_or_b32 v10, 0xffff0000, v10, v47
	v_and_or_b32 v11, 0xffff0000, v11, v62
	global_store_b128 v[40:41], v[8:11], off th:TH_STORE_NT
	s_wait_xcnt 0x0
	v_add_nc_u64_e32 v[40:41], 0x200, v[40:41]
	scratch_store_b128 off, v[8:11], s33 offset:160
	s_wait_xcnt 0x0
	s_and_saveexec_b32 s14, s94
	s_cbranch_execz .LBB4_2089
; %bb.2226:                             ;   in Loop: Header=BB4_2090 Depth=3
	v_add_nc_u64_e32 v[42:43], v[42:43], v[84:85]
	v_add_nc_u64_e32 v[44:45], v[44:45], v[84:85]
	;; [unrolled: 1-line block ×3, first 2 shown]
	v_dual_sub_nc_u32 v15, v15, v78 :: v_dual_sub_nc_u32 v58, v58, v52
	s_branch .LBB4_2089
.LBB4_2227:                             ;   in Loop: Header=BB4_1420 Depth=2
	v_cmp_lt_i32_e64 s13, 0, v2
	s_and_saveexec_b32 s14, s2
	s_cbranch_execnz .LBB4_2653
	s_branch .LBB4_2671
.LBB4_2228:                             ;   in Loop: Header=BB4_1420 Depth=2
	s_mov_b32 s90, 0
	v_mov_b32_e32 v44, 0
	s_and_not1_b32 vcc_lo, exec_lo, s13
	s_cbranch_vccz .LBB4_2087
.LBB4_2229:                             ;   in Loop: Header=BB4_1420 Depth=2
	v_dual_mov_b32 v8, v0 :: v_dual_mov_b32 v45, v73
	s_and_saveexec_b32 s15, s90
	s_cbranch_execnz .LBB4_2509
	s_branch .LBB4_2652
.LBB4_2230:                             ;   in Loop: Header=BB4_1420 Depth=2
	s_or_b32 exec_lo, exec_lo, s92
	s_delay_alu instid0(SALU_CYCLE_1)
	s_and_b32 s15, s93, exec_lo
.LBB4_2231:                             ;   in Loop: Header=BB4_1420 Depth=2
	s_or_b32 exec_lo, exec_lo, s91
	s_and_saveexec_b32 s14, s15
	s_cbranch_execz .LBB4_2297
; %bb.2232:                             ;   in Loop: Header=BB4_1420 Depth=2
	s_trap 2
	scratch_load_b128 v[8:11], off, s33 offset:192
	ds_load_b32 v15, v0
	s_wait_loadcnt_dscnt 0x0
	v_dual_lshlrev_b32 v15, 16, v15 :: v_dual_lshlrev_b32 v42, 16, v8
	s_delay_alu instid0(VALU_DEP_1) | instskip(NEXT) | instid1(VALU_DEP_1)
	v_mul_f32_e32 v42, v15, v42
	v_and_b32_e32 v43, 0x7f800000, v42
	s_delay_alu instid0(VALU_DEP_1) | instskip(SKIP_2) | instid1(SALU_CYCLE_1)
	v_cmp_ne_u32_e32 vcc_lo, 0x7f800000, v43
                                        ; implicit-def: $vgpr43
	s_wait_xcnt 0x0
	s_and_saveexec_b32 s15, vcc_lo
	s_xor_b32 s15, exec_lo, s15
; %bb.2233:                             ;   in Loop: Header=BB4_1420 Depth=2
	v_bfe_u32 v43, v42, 16, 1
	s_delay_alu instid0(VALU_DEP_1)
	v_add3_u32 v43, v42, v43, 0x7fff
                                        ; implicit-def: $vgpr42
; %bb.2234:                             ;   in Loop: Header=BB4_1420 Depth=2
	s_and_not1_saveexec_b32 s15, s15
; %bb.2235:                             ;   in Loop: Header=BB4_1420 Depth=2
	v_and_b32_e32 v43, 0xffff, v42
	v_or_b32_e32 v44, 0x10000, v42
	s_delay_alu instid0(VALU_DEP_2) | instskip(NEXT) | instid1(VALU_DEP_2)
	v_cmp_eq_u32_e32 vcc_lo, 0, v43
	v_cndmask_b32_e32 v43, v44, v42, vcc_lo
; %bb.2236:                             ;   in Loop: Header=BB4_1420 Depth=2
	s_or_b32 exec_lo, exec_lo, s15
	v_and_b32_e32 v8, 0xffff0000, v8
	s_delay_alu instid0(VALU_DEP_1) | instskip(NEXT) | instid1(VALU_DEP_1)
	v_mul_f32_e32 v8, v15, v8
	v_and_b32_e32 v42, 0x7f800000, v8
	s_delay_alu instid0(VALU_DEP_1) | instskip(SKIP_1) | instid1(SALU_CYCLE_1)
	v_cmp_ne_u32_e32 vcc_lo, 0x7f800000, v42
                                        ; implicit-def: $vgpr42
	s_and_saveexec_b32 s15, vcc_lo
	s_xor_b32 s15, exec_lo, s15
; %bb.2237:                             ;   in Loop: Header=BB4_1420 Depth=2
	v_bfe_u32 v42, v8, 16, 1
	s_delay_alu instid0(VALU_DEP_1)
	v_add3_u32 v42, v8, v42, 0x7fff
                                        ; implicit-def: $vgpr8
; %bb.2238:                             ;   in Loop: Header=BB4_1420 Depth=2
	s_and_not1_saveexec_b32 s15, s15
; %bb.2239:                             ;   in Loop: Header=BB4_1420 Depth=2
	v_and_b32_e32 v42, 0xffff, v8
	v_or_b32_e32 v44, 0x10000, v8
	s_delay_alu instid0(VALU_DEP_2) | instskip(NEXT) | instid1(VALU_DEP_2)
	v_cmp_eq_u32_e32 vcc_lo, 0, v42
	v_cndmask_b32_e32 v42, v44, v8, vcc_lo
; %bb.2240:                             ;   in Loop: Header=BB4_1420 Depth=2
	s_or_b32 exec_lo, exec_lo, s15
	v_lshlrev_b32_e32 v8, 16, v9
	s_mov_b32 s15, exec_lo
                                        ; implicit-def: $vgpr61
	s_delay_alu instid0(VALU_DEP_1) | instskip(NEXT) | instid1(VALU_DEP_1)
	v_mul_f32_e32 v8, v15, v8
	v_and_b32_e32 v44, 0x7f800000, v8
	s_delay_alu instid0(VALU_DEP_1)
	v_cmpx_ne_u32_e32 0x7f800000, v44
	s_xor_b32 s15, exec_lo, s15
; %bb.2241:                             ;   in Loop: Header=BB4_1420 Depth=2
	v_bfe_u32 v44, v8, 16, 1
	s_delay_alu instid0(VALU_DEP_1)
	v_add3_u32 v61, v8, v44, 0x7fff
                                        ; implicit-def: $vgpr8
; %bb.2242:                             ;   in Loop: Header=BB4_1420 Depth=2
	s_and_not1_saveexec_b32 s15, s15
; %bb.2243:                             ;   in Loop: Header=BB4_1420 Depth=2
	v_and_b32_e32 v44, 0xffff, v8
	v_or_b32_e32 v45, 0x10000, v8
	s_delay_alu instid0(VALU_DEP_2) | instskip(NEXT) | instid1(VALU_DEP_2)
	v_cmp_eq_u32_e32 vcc_lo, 0, v44
	v_cndmask_b32_e32 v61, v45, v8, vcc_lo
; %bb.2244:                             ;   in Loop: Header=BB4_1420 Depth=2
	s_or_b32 exec_lo, exec_lo, s15
	v_and_b32_e32 v8, 0xffff0000, v9
	s_mov_b32 s15, exec_lo
                                        ; implicit-def: $vgpr47
	s_delay_alu instid0(VALU_DEP_1) | instskip(NEXT) | instid1(VALU_DEP_1)
	v_mul_f32_e32 v8, v15, v8
	v_and_b32_e32 v9, 0x7f800000, v8
	s_delay_alu instid0(VALU_DEP_1)
	v_cmpx_ne_u32_e32 0x7f800000, v9
	s_xor_b32 s15, exec_lo, s15
; %bb.2245:                             ;   in Loop: Header=BB4_1420 Depth=2
	v_bfe_u32 v9, v8, 16, 1
	s_delay_alu instid0(VALU_DEP_1)
	v_add3_u32 v47, v8, v9, 0x7fff
                                        ; implicit-def: $vgpr8
; %bb.2246:                             ;   in Loop: Header=BB4_1420 Depth=2
	s_and_not1_saveexec_b32 s15, s15
; %bb.2247:                             ;   in Loop: Header=BB4_1420 Depth=2
	v_and_b32_e32 v9, 0xffff, v8
	v_or_b32_e32 v44, 0x10000, v8
	s_delay_alu instid0(VALU_DEP_2) | instskip(NEXT) | instid1(VALU_DEP_2)
	v_cmp_eq_u32_e32 vcc_lo, 0, v9
	v_cndmask_b32_e32 v47, v44, v8, vcc_lo
; %bb.2248:                             ;   in Loop: Header=BB4_1420 Depth=2
	s_or_b32 exec_lo, exec_lo, s15
	v_lshlrev_b32_e32 v8, 16, v10
	s_mov_b32 s15, exec_lo
                                        ; implicit-def: $vgpr59
	s_delay_alu instid0(VALU_DEP_1) | instskip(NEXT) | instid1(VALU_DEP_1)
	v_mul_f32_e32 v8, v15, v8
	v_and_b32_e32 v9, 0x7f800000, v8
	s_delay_alu instid0(VALU_DEP_1)
	v_cmpx_ne_u32_e32 0x7f800000, v9
	s_xor_b32 s15, exec_lo, s15
; %bb.2249:                             ;   in Loop: Header=BB4_1420 Depth=2
	v_bfe_u32 v9, v8, 16, 1
	s_delay_alu instid0(VALU_DEP_1)
	v_add3_u32 v59, v8, v9, 0x7fff
                                        ; implicit-def: $vgpr8
; %bb.2250:                             ;   in Loop: Header=BB4_1420 Depth=2
	s_and_not1_saveexec_b32 s15, s15
; %bb.2251:                             ;   in Loop: Header=BB4_1420 Depth=2
	v_and_b32_e32 v9, 0xffff, v8
	v_or_b32_e32 v44, 0x10000, v8
	s_delay_alu instid0(VALU_DEP_2) | instskip(NEXT) | instid1(VALU_DEP_2)
	v_cmp_eq_u32_e32 vcc_lo, 0, v9
	v_cndmask_b32_e32 v59, v44, v8, vcc_lo
; %bb.2252:                             ;   in Loop: Header=BB4_1420 Depth=2
	s_or_b32 exec_lo, exec_lo, s15
	v_and_b32_e32 v8, 0xffff0000, v10
	s_mov_b32 s15, exec_lo
                                        ; implicit-def: $vgpr45
	s_delay_alu instid0(VALU_DEP_1) | instskip(NEXT) | instid1(VALU_DEP_1)
	v_mul_f32_e32 v8, v15, v8
	v_and_b32_e32 v9, 0x7f800000, v8
	s_delay_alu instid0(VALU_DEP_1)
	v_cmpx_ne_u32_e32 0x7f800000, v9
	s_xor_b32 s15, exec_lo, s15
; %bb.2253:                             ;   in Loop: Header=BB4_1420 Depth=2
	v_bfe_u32 v9, v8, 16, 1
	s_delay_alu instid0(VALU_DEP_1)
	v_add3_u32 v45, v8, v9, 0x7fff
                                        ; implicit-def: $vgpr8
; %bb.2254:                             ;   in Loop: Header=BB4_1420 Depth=2
	s_and_not1_saveexec_b32 s15, s15
; %bb.2255:                             ;   in Loop: Header=BB4_1420 Depth=2
	v_and_b32_e32 v9, 0xffff, v8
	v_or_b32_e32 v10, 0x10000, v8
	s_delay_alu instid0(VALU_DEP_2) | instskip(NEXT) | instid1(VALU_DEP_2)
	v_cmp_eq_u32_e32 vcc_lo, 0, v9
	v_cndmask_b32_e32 v45, v10, v8, vcc_lo
; %bb.2256:                             ;   in Loop: Header=BB4_1420 Depth=2
	s_or_b32 exec_lo, exec_lo, s15
	v_lshlrev_b32_e32 v8, 16, v11
	s_mov_b32 s15, exec_lo
                                        ; implicit-def: $vgpr46
	s_delay_alu instid0(VALU_DEP_1) | instskip(NEXT) | instid1(VALU_DEP_1)
	v_mul_f32_e32 v8, v15, v8
	v_and_b32_e32 v9, 0x7f800000, v8
	s_delay_alu instid0(VALU_DEP_1)
	v_cmpx_ne_u32_e32 0x7f800000, v9
	s_xor_b32 s15, exec_lo, s15
; %bb.2257:                             ;   in Loop: Header=BB4_1420 Depth=2
	v_bfe_u32 v9, v8, 16, 1
	s_delay_alu instid0(VALU_DEP_1)
	v_add3_u32 v46, v8, v9, 0x7fff
                                        ; implicit-def: $vgpr8
; %bb.2258:                             ;   in Loop: Header=BB4_1420 Depth=2
	s_and_not1_saveexec_b32 s15, s15
; %bb.2259:                             ;   in Loop: Header=BB4_1420 Depth=2
	v_and_b32_e32 v9, 0xffff, v8
	v_or_b32_e32 v10, 0x10000, v8
	s_delay_alu instid0(VALU_DEP_2) | instskip(NEXT) | instid1(VALU_DEP_2)
	v_cmp_eq_u32_e32 vcc_lo, 0, v9
	v_cndmask_b32_e32 v46, v10, v8, vcc_lo
; %bb.2260:                             ;   in Loop: Header=BB4_1420 Depth=2
	s_or_b32 exec_lo, exec_lo, s15
	v_and_b32_e32 v8, 0xffff0000, v11
	s_mov_b32 s15, exec_lo
	s_delay_alu instid0(VALU_DEP_1) | instskip(NEXT) | instid1(VALU_DEP_1)
	v_mul_f32_e32 v8, v15, v8
                                        ; implicit-def: $vgpr15
	v_and_b32_e32 v9, 0x7f800000, v8
	s_delay_alu instid0(VALU_DEP_1)
	v_cmpx_ne_u32_e32 0x7f800000, v9
	s_xor_b32 s15, exec_lo, s15
; %bb.2261:                             ;   in Loop: Header=BB4_1420 Depth=2
	v_bfe_u32 v9, v8, 16, 1
	s_delay_alu instid0(VALU_DEP_1)
	v_add3_u32 v15, v8, v9, 0x7fff
                                        ; implicit-def: $vgpr8
; %bb.2262:                             ;   in Loop: Header=BB4_1420 Depth=2
	s_and_not1_saveexec_b32 s15, s15
; %bb.2263:                             ;   in Loop: Header=BB4_1420 Depth=2
	v_and_b32_e32 v9, 0xffff, v8
	v_or_b32_e32 v10, 0x10000, v8
	s_delay_alu instid0(VALU_DEP_2) | instskip(NEXT) | instid1(VALU_DEP_2)
	v_cmp_eq_u32_e32 vcc_lo, 0, v9
	v_cndmask_b32_e32 v15, v10, v8, vcc_lo
; %bb.2264:                             ;   in Loop: Header=BB4_1420 Depth=2
	s_or_b32 exec_lo, exec_lo, s15
	scratch_load_b128 v[8:11], off, s33 offset:208
	v_and_b32_e32 v43, 0xffff0000, v43
	s_wait_loadcnt 0x0
	v_lshlrev_b32_e32 v44, 16, v8
	s_delay_alu instid0(VALU_DEP_1) | instskip(NEXT) | instid1(VALU_DEP_1)
	v_add_f32_e32 v43, v43, v44
	v_and_b32_e32 v44, 0x7f800000, v43
	s_delay_alu instid0(VALU_DEP_1) | instskip(SKIP_2) | instid1(SALU_CYCLE_1)
	v_cmp_ne_u32_e32 vcc_lo, 0x7f800000, v44
                                        ; implicit-def: $vgpr44
	s_wait_xcnt 0x0
	s_and_saveexec_b32 s15, vcc_lo
	s_xor_b32 s15, exec_lo, s15
; %bb.2265:                             ;   in Loop: Header=BB4_1420 Depth=2
	v_bfe_u32 v44, v43, 16, 1
	s_delay_alu instid0(VALU_DEP_1)
	v_add3_u32 v44, v43, v44, 0x7fff
                                        ; implicit-def: $vgpr43
; %bb.2266:                             ;   in Loop: Header=BB4_1420 Depth=2
	s_and_not1_saveexec_b32 s15, s15
; %bb.2267:                             ;   in Loop: Header=BB4_1420 Depth=2
	v_and_b32_e32 v44, 0xffff, v43
	v_or_b32_e32 v62, 0x10000, v43
	s_delay_alu instid0(VALU_DEP_2) | instskip(NEXT) | instid1(VALU_DEP_2)
	v_cmp_eq_u32_e32 vcc_lo, 0, v44
	v_cndmask_b32_e32 v44, v62, v43, vcc_lo
; %bb.2268:                             ;   in Loop: Header=BB4_1420 Depth=2
	s_or_b32 exec_lo, exec_lo, s15
	v_and_b32_e32 v43, 0xffff0000, v8
	v_and_b32_e32 v42, 0xffff0000, v42
	s_delay_alu instid0(VALU_DEP_2) | instskip(NEXT) | instid1(VALU_DEP_1)
	v_mov_b32_e32 v8, v43
	v_pk_add_f32 v[42:43], v[8:9], v[42:43]
	s_delay_alu instid0(VALU_DEP_1) | instskip(NEXT) | instid1(VALU_DEP_1)
	v_and_b32_e32 v8, 0x7f800000, v42
	v_cmp_ne_u32_e32 vcc_lo, 0x7f800000, v8
                                        ; implicit-def: $vgpr8
	s_and_saveexec_b32 s15, vcc_lo
	s_delay_alu instid0(SALU_CYCLE_1)
	s_xor_b32 s15, exec_lo, s15
; %bb.2269:                             ;   in Loop: Header=BB4_1420 Depth=2
	v_bfe_u32 v8, v42, 16, 1
	s_delay_alu instid0(VALU_DEP_1)
	v_add3_u32 v8, v42, v8, 0x7fff
                                        ; implicit-def: $vgpr42_vgpr43
; %bb.2270:                             ;   in Loop: Header=BB4_1420 Depth=2
	s_and_not1_saveexec_b32 s15, s15
; %bb.2271:                             ;   in Loop: Header=BB4_1420 Depth=2
	v_and_b32_e32 v8, 0xffff, v42
	v_or_b32_e32 v43, 0x10000, v42
	s_delay_alu instid0(VALU_DEP_2) | instskip(NEXT) | instid1(VALU_DEP_2)
	v_cmp_eq_u32_e32 vcc_lo, 0, v8
	v_cndmask_b32_e32 v8, v43, v42, vcc_lo
; %bb.2272:                             ;   in Loop: Header=BB4_1420 Depth=2
	s_or_b32 exec_lo, exec_lo, s15
	v_and_b32_e32 v42, 0xffff0000, v61
	v_lshlrev_b32_e32 v43, 16, v9
	s_delay_alu instid0(VALU_DEP_1) | instskip(NEXT) | instid1(VALU_DEP_1)
	v_add_f32_e32 v43, v42, v43
	v_and_b32_e32 v42, 0x7f800000, v43
	s_delay_alu instid0(VALU_DEP_1) | instskip(SKIP_1) | instid1(SALU_CYCLE_1)
	v_cmp_ne_u32_e32 vcc_lo, 0x7f800000, v42
                                        ; implicit-def: $vgpr42
	s_and_saveexec_b32 s15, vcc_lo
	s_xor_b32 s15, exec_lo, s15
; %bb.2273:                             ;   in Loop: Header=BB4_1420 Depth=2
	v_bfe_u32 v42, v43, 16, 1
	s_delay_alu instid0(VALU_DEP_1)
	v_add3_u32 v42, v43, v42, 0x7fff
                                        ; implicit-def: $vgpr43
; %bb.2274:                             ;   in Loop: Header=BB4_1420 Depth=2
	s_and_not1_saveexec_b32 s15, s15
; %bb.2275:                             ;   in Loop: Header=BB4_1420 Depth=2
	v_and_b32_e32 v42, 0xffff, v43
	v_or_b32_e32 v61, 0x10000, v43
	s_delay_alu instid0(VALU_DEP_2) | instskip(NEXT) | instid1(VALU_DEP_2)
	v_cmp_eq_u32_e32 vcc_lo, 0, v42
	v_cndmask_b32_e32 v42, v61, v43, vcc_lo
; %bb.2276:                             ;   in Loop: Header=BB4_1420 Depth=2
	s_or_b32 exec_lo, exec_lo, s15
	v_and_b32_e32 v9, 0xffff0000, v9
	v_and_b32_e32 v43, 0xffff0000, v47
	s_delay_alu instid0(VALU_DEP_1) | instskip(NEXT) | instid1(VALU_DEP_1)
	v_add_f32_e32 v43, v43, v9
	v_and_b32_e32 v9, 0x7f800000, v43
	s_delay_alu instid0(VALU_DEP_1) | instskip(SKIP_1) | instid1(SALU_CYCLE_1)
	v_cmp_ne_u32_e32 vcc_lo, 0x7f800000, v9
                                        ; implicit-def: $vgpr9
	s_and_saveexec_b32 s15, vcc_lo
	s_xor_b32 s15, exec_lo, s15
; %bb.2277:                             ;   in Loop: Header=BB4_1420 Depth=2
	v_bfe_u32 v9, v43, 16, 1
	s_delay_alu instid0(VALU_DEP_1)
	v_add3_u32 v9, v43, v9, 0x7fff
                                        ; implicit-def: $vgpr43
; %bb.2278:                             ;   in Loop: Header=BB4_1420 Depth=2
	s_and_not1_saveexec_b32 s15, s15
; %bb.2279:                             ;   in Loop: Header=BB4_1420 Depth=2
	v_and_b32_e32 v9, 0xffff, v43
	v_or_b32_e32 v47, 0x10000, v43
	s_delay_alu instid0(VALU_DEP_2) | instskip(NEXT) | instid1(VALU_DEP_2)
	v_cmp_eq_u32_e32 vcc_lo, 0, v9
	v_cndmask_b32_e32 v9, v47, v43, vcc_lo
; %bb.2280:                             ;   in Loop: Header=BB4_1420 Depth=2
	s_or_b32 exec_lo, exec_lo, s15
	v_and_b32_e32 v43, 0xffff0000, v59
	v_lshlrev_b32_e32 v47, 16, v10
	s_delay_alu instid0(VALU_DEP_1) | instskip(NEXT) | instid1(VALU_DEP_1)
	v_add_f32_e32 v47, v43, v47
	v_and_b32_e32 v43, 0x7f800000, v47
	s_delay_alu instid0(VALU_DEP_1) | instskip(SKIP_1) | instid1(SALU_CYCLE_1)
	v_cmp_ne_u32_e32 vcc_lo, 0x7f800000, v43
                                        ; implicit-def: $vgpr43
	s_and_saveexec_b32 s15, vcc_lo
	s_xor_b32 s15, exec_lo, s15
; %bb.2281:                             ;   in Loop: Header=BB4_1420 Depth=2
	v_bfe_u32 v43, v47, 16, 1
	s_delay_alu instid0(VALU_DEP_1)
	v_add3_u32 v43, v47, v43, 0x7fff
                                        ; implicit-def: $vgpr47
; %bb.2282:                             ;   in Loop: Header=BB4_1420 Depth=2
	s_and_not1_saveexec_b32 s15, s15
; %bb.2283:                             ;   in Loop: Header=BB4_1420 Depth=2
	v_and_b32_e32 v43, 0xffff, v47
	v_or_b32_e32 v59, 0x10000, v47
	s_delay_alu instid0(VALU_DEP_2) | instskip(NEXT) | instid1(VALU_DEP_2)
	v_cmp_eq_u32_e32 vcc_lo, 0, v43
	v_cndmask_b32_e32 v43, v59, v47, vcc_lo
; %bb.2284:                             ;   in Loop: Header=BB4_1420 Depth=2
	s_or_b32 exec_lo, exec_lo, s15
	v_and_b32_e32 v10, 0xffff0000, v10
	v_and_b32_e32 v45, 0xffff0000, v45
	s_delay_alu instid0(VALU_DEP_1) | instskip(NEXT) | instid1(VALU_DEP_1)
	v_add_f32_e32 v45, v45, v10
	v_and_b32_e32 v10, 0x7f800000, v45
	s_delay_alu instid0(VALU_DEP_1) | instskip(SKIP_1) | instid1(SALU_CYCLE_1)
	v_cmp_ne_u32_e32 vcc_lo, 0x7f800000, v10
                                        ; implicit-def: $vgpr10
	s_and_saveexec_b32 s15, vcc_lo
	s_xor_b32 s15, exec_lo, s15
; %bb.2285:                             ;   in Loop: Header=BB4_1420 Depth=2
	v_bfe_u32 v10, v45, 16, 1
	s_delay_alu instid0(VALU_DEP_1)
	v_add3_u32 v10, v45, v10, 0x7fff
                                        ; implicit-def: $vgpr45
; %bb.2286:                             ;   in Loop: Header=BB4_1420 Depth=2
	s_and_not1_saveexec_b32 s15, s15
; %bb.2287:                             ;   in Loop: Header=BB4_1420 Depth=2
	v_and_b32_e32 v10, 0xffff, v45
	v_or_b32_e32 v47, 0x10000, v45
	s_delay_alu instid0(VALU_DEP_2) | instskip(NEXT) | instid1(VALU_DEP_2)
	v_cmp_eq_u32_e32 vcc_lo, 0, v10
	v_cndmask_b32_e32 v10, v47, v45, vcc_lo
; %bb.2288:                             ;   in Loop: Header=BB4_1420 Depth=2
	s_or_b32 exec_lo, exec_lo, s15
	v_and_b32_e32 v45, 0xffff0000, v46
	v_lshlrev_b32_e32 v46, 16, v11
	s_delay_alu instid0(VALU_DEP_1) | instskip(NEXT) | instid1(VALU_DEP_1)
	v_add_f32_e32 v46, v45, v46
	v_and_b32_e32 v45, 0x7f800000, v46
	s_delay_alu instid0(VALU_DEP_1) | instskip(SKIP_1) | instid1(SALU_CYCLE_1)
	v_cmp_ne_u32_e32 vcc_lo, 0x7f800000, v45
                                        ; implicit-def: $vgpr45
	s_and_saveexec_b32 s15, vcc_lo
	s_xor_b32 s15, exec_lo, s15
; %bb.2289:                             ;   in Loop: Header=BB4_1420 Depth=2
	v_bfe_u32 v45, v46, 16, 1
	s_delay_alu instid0(VALU_DEP_1)
	v_add3_u32 v45, v46, v45, 0x7fff
                                        ; implicit-def: $vgpr46
; %bb.2290:                             ;   in Loop: Header=BB4_1420 Depth=2
	s_and_not1_saveexec_b32 s15, s15
; %bb.2291:                             ;   in Loop: Header=BB4_1420 Depth=2
	v_and_b32_e32 v45, 0xffff, v46
	v_or_b32_e32 v47, 0x10000, v46
	s_delay_alu instid0(VALU_DEP_2) | instskip(NEXT) | instid1(VALU_DEP_2)
	v_cmp_eq_u32_e32 vcc_lo, 0, v45
	v_cndmask_b32_e32 v45, v47, v46, vcc_lo
; %bb.2292:                             ;   in Loop: Header=BB4_1420 Depth=2
	s_or_b32 exec_lo, exec_lo, s15
	v_and_b32_e32 v11, 0xffff0000, v11
	v_and_b32_e32 v15, 0xffff0000, v15
	s_delay_alu instid0(VALU_DEP_1) | instskip(NEXT) | instid1(VALU_DEP_1)
	v_add_f32_e32 v15, v15, v11
	v_and_b32_e32 v11, 0x7f800000, v15
	s_delay_alu instid0(VALU_DEP_1) | instskip(SKIP_1) | instid1(SALU_CYCLE_1)
	v_cmp_ne_u32_e32 vcc_lo, 0x7f800000, v11
                                        ; implicit-def: $vgpr11
	s_and_saveexec_b32 s15, vcc_lo
	s_xor_b32 s15, exec_lo, s15
; %bb.2293:                             ;   in Loop: Header=BB4_1420 Depth=2
	v_bfe_u32 v11, v15, 16, 1
	s_delay_alu instid0(VALU_DEP_1)
	v_add3_u32 v11, v15, v11, 0x7fff
                                        ; implicit-def: $vgpr15
; %bb.2294:                             ;   in Loop: Header=BB4_1420 Depth=2
	s_and_not1_saveexec_b32 s15, s15
; %bb.2295:                             ;   in Loop: Header=BB4_1420 Depth=2
	v_and_b32_e32 v11, 0xffff, v15
	v_or_b32_e32 v46, 0x10000, v15
	s_delay_alu instid0(VALU_DEP_2) | instskip(NEXT) | instid1(VALU_DEP_2)
	v_cmp_eq_u32_e32 vcc_lo, 0, v11
	v_cndmask_b32_e32 v11, v46, v15, vcc_lo
; %bb.2296:                             ;   in Loop: Header=BB4_1420 Depth=2
	s_or_b32 exec_lo, exec_lo, s15
	v_dual_lshrrev_b32 v15, 16, v42 :: v_dual_lshrrev_b32 v42, 16, v44
	v_dual_lshrrev_b32 v43, 16, v43 :: v_dual_lshrrev_b32 v44, 16, v45
	s_delay_alu instid0(VALU_DEP_2) | instskip(NEXT) | instid1(VALU_DEP_3)
	v_and_or_b32 v9, 0xffff0000, v9, v15
	v_and_or_b32 v8, 0xffff0000, v8, v42
	s_delay_alu instid0(VALU_DEP_3) | instskip(NEXT) | instid1(VALU_DEP_4)
	v_and_or_b32 v10, 0xffff0000, v10, v43
	v_and_or_b32 v11, 0xffff0000, v11, v44
	global_store_b128 v[40:41], v[8:11], off th:TH_STORE_NT
.LBB4_2297:                             ;   in Loop: Header=BB4_1420 Depth=2
	s_wait_xcnt 0x0
	s_or_b32 exec_lo, exec_lo, s14
	v_and_b32_e32 v9, 14, v13
	s_mov_b32 s91, exec_lo
                                        ; implicit-def: $vgpr13
                                        ; implicit-def: $vgpr44
                                        ; implicit-def: $vgpr8
                                        ; implicit-def: $vgpr45
	s_delay_alu instid0(VALU_DEP_1) | instskip(NEXT) | instid1(VALU_DEP_1)
	v_cndmask_b32_e64 v15, v57, v9, s13
	v_cmpx_ne_u32_e32 0, v15
	s_cbranch_execz .LBB4_2508
; %bb.2298:                             ;   in Loop: Header=BB4_1420 Depth=2
	v_cmp_lt_i32_e32 vcc_lo, 0, v58
	s_mov_b32 s15, 0
	s_mov_b32 s92, exec_lo
	v_dual_ashrrev_i32 v13, 31, v15 :: v_dual_sub_nc_u32 v9, v57, v9
	v_cndmask_b32_e32 v8, 0, v52, vcc_lo
	s_delay_alu instid0(VALU_DEP_1) | instskip(NEXT) | instid1(VALU_DEP_1)
	v_sub_nc_u32_e32 v8, v8, v58
	v_lshl_or_b32 v8, v8, 5, v73
	s_delay_alu instid0(VALU_DEP_1) | instskip(NEXT) | instid1(VALU_DEP_1)
	v_ashrrev_i32_e32 v10, 31, v8
	v_lshrrev_b32_e32 v10, 27, v10
	s_delay_alu instid0(VALU_DEP_1) | instskip(NEXT) | instid1(VALU_DEP_1)
	v_add_nc_u32_e32 v10, v8, v10
	v_and_b32_e32 v11, 0xffffffe0, v10
	s_delay_alu instid0(VALU_DEP_1) | instskip(SKIP_1) | instid1(VALU_DEP_2)
	v_dual_sub_nc_u32 v47, v8, v11 :: v_dual_lshrrev_b32 v8, 23, v13
	v_dual_ashrrev_i32 v10, 5, v10 :: v_dual_cndmask_b32 v9, 0, v9, s13
	v_dual_lshlrev_b32 v11, 4, v47 :: v_dual_add_nc_u32 v13, v15, v8
	s_delay_alu instid0(VALU_DEP_2) | instskip(NEXT) | instid1(VALU_DEP_2)
	v_add_nc_u32_e32 v46, v9, v56
	v_lshl_add_u32 v11, v10, 9, v11
	s_delay_alu instid0(VALU_DEP_1) | instskip(NEXT) | instid1(VALU_DEP_1)
	v_add_nc_u32_e32 v8, v11, v46
	v_ashrrev_i32_e32 v9, 31, v8
	v_and_b32_e32 v56, 0xfffffe00, v13
	v_ashrrev_i32_e32 v13, 9, v13
	s_delay_alu instid0(VALU_DEP_3) | instskip(NEXT) | instid1(VALU_DEP_3)
	v_add_nc_u64_e32 v[40:41], v[8:9], v[20:21]
	v_sub_nc_u32_e32 v57, v15, v56
	s_delay_alu instid0(VALU_DEP_1) | instskip(NEXT) | instid1(VALU_DEP_1)
	v_cmp_lt_i32_e64 s13, 15, v57
	v_add_co_ci_u32_e64 v42, null, 0, v13, s13
	s_delay_alu instid0(VALU_DEP_1) | instskip(NEXT) | instid1(VALU_DEP_1)
	v_dual_sub_nc_u32 v13, v15, v11 :: v_dual_sub_nc_u32 v58, v42, v10
	v_cmpx_lt_i32_e32 15, v13
	s_cbranch_execz .LBB4_2439
; %bb.2299:                             ;   in Loop: Header=BB4_1420 Depth=2
	s_trap 2
	ds_load_b32 v10, v0
	v_add_nc_u64_e32 v[42:43], v[8:9], v[18:19]
	s_wait_dscnt 0x1
	v_add_nc_u64_e32 v[22:23], v[8:9], v[22:23]
	s_mov_b32 s95, 0
	s_mov_b32 s93, 0
                                        ; implicit-def: $sgpr94
	s_wait_dscnt 0x0
	v_lshlrev_b32_e32 v59, 16, v10
	s_branch .LBB4_2301
.LBB4_2300:                             ;   in Loop: Header=BB4_2301 Depth=3
	s_or_b32 exec_lo, exec_lo, s14
	s_delay_alu instid0(VALU_DEP_1) | instskip(SKIP_3) | instid1(SALU_CYCLE_1)
	v_cmp_gt_i32_e32 vcc_lo, 16, v13
	s_or_b32 s93, vcc_lo, s93
	s_and_not1_b32 s14, s94, exec_lo
	s_and_b32 s15, s95, exec_lo
	s_or_b32 s94, s14, s15
	s_and_not1_b32 exec_lo, exec_lo, s93
	s_cbranch_execz .LBB4_2438
.LBB4_2301:                             ;   Parent Loop BB4_47 Depth=1
                                        ;     Parent Loop BB4_1420 Depth=2
                                        ; =>    This Loop Header: Depth=3
                                        ;         Child Loop BB4_2302 Depth 4
                                        ;         Child Loop BB4_2371 Depth 4
	s_add_co_i32 s14, s33, 0xa0
	s_mov_b64 s[40:41], 0
	s_mov_b32 vcc_hi, s14
	s_mov_b32 s30, -1
.LBB4_2302:                             ;   Parent Loop BB4_47 Depth=1
                                        ;     Parent Loop BB4_1420 Depth=2
                                        ;       Parent Loop BB4_2301 Depth=3
                                        ; =>      This Inner Loop Header: Depth=4
	s_cmp_eq_u32 s40, 1
	s_cselect_b32 vcc_lo, -1, 0
	s_cmp_eq_u32 s40, 0
	v_dual_cndmask_b32 v45, v43, v23 :: v_dual_cndmask_b32 v44, v42, v22
	s_cselect_b32 s14, -1, 0
	s_and_b32 s15, exec_lo, s30
	s_mov_b64 s[40:41], 1
	s_mov_b32 s30, 0
	global_load_b128 v[8:11], v[44:45], off th:TH_LOAD_NT
	s_wait_xcnt 0x0
	v_add_nc_u64_e32 v[44:45], 0x200, v[44:45]
	s_delay_alu instid0(VALU_DEP_1)
	v_dual_cndmask_b32 v43, v43, v45, s14 :: v_dual_cndmask_b32 v42, v42, v44, s14
	v_dual_cndmask_b32 v23, v23, v45 :: v_dual_cndmask_b32 v22, v22, v44
	s_mov_b32 vcc_lo, s15
	s_wait_loadcnt 0x0
	scratch_store_b128 off, v[8:11], vcc_hi
	s_wait_xcnt 0x0
	s_mov_b32 vcc_hi, s74
	s_cbranch_vccnz .LBB4_2302
; %bb.2303:                             ;   in Loop: Header=BB4_2301 Depth=3
	s_and_saveexec_b32 s14, s95
	s_cbranch_execz .LBB4_2369
; %bb.2304:                             ;   in Loop: Header=BB4_2301 Depth=3
	scratch_load_b128 v[8:11], off, s33 offset:192
	s_wait_loadcnt 0x0
	v_lshlrev_b32_e32 v44, 16, v8
	s_delay_alu instid0(VALU_DEP_1) | instskip(NEXT) | instid1(VALU_DEP_1)
	v_mul_f32_e32 v44, v59, v44
	v_and_b32_e32 v45, 0x7f800000, v44
	s_delay_alu instid0(VALU_DEP_1) | instskip(SKIP_2) | instid1(SALU_CYCLE_1)
	v_cmp_ne_u32_e32 vcc_lo, 0x7f800000, v45
                                        ; implicit-def: $vgpr45
	s_wait_xcnt 0x0
	s_and_saveexec_b32 s15, vcc_lo
	s_xor_b32 s15, exec_lo, s15
; %bb.2305:                             ;   in Loop: Header=BB4_2301 Depth=3
	v_bfe_u32 v45, v44, 16, 1
	s_delay_alu instid0(VALU_DEP_1)
	v_add3_u32 v45, v44, v45, 0x7fff
                                        ; implicit-def: $vgpr44
; %bb.2306:                             ;   in Loop: Header=BB4_2301 Depth=3
	s_and_not1_saveexec_b32 s15, s15
; %bb.2307:                             ;   in Loop: Header=BB4_2301 Depth=3
	v_and_b32_e32 v45, 0xffff, v44
	v_or_b32_e32 v61, 0x10000, v44
	s_delay_alu instid0(VALU_DEP_2) | instskip(NEXT) | instid1(VALU_DEP_2)
	v_cmp_eq_u32_e32 vcc_lo, 0, v45
	v_cndmask_b32_e32 v45, v61, v44, vcc_lo
; %bb.2308:                             ;   in Loop: Header=BB4_2301 Depth=3
	s_or_b32 exec_lo, exec_lo, s15
	v_and_b32_e32 v8, 0xffff0000, v8
	s_delay_alu instid0(VALU_DEP_1) | instskip(NEXT) | instid1(VALU_DEP_1)
	v_mul_f32_e32 v8, v59, v8
	v_and_b32_e32 v44, 0x7f800000, v8
	s_delay_alu instid0(VALU_DEP_1) | instskip(SKIP_1) | instid1(SALU_CYCLE_1)
	v_cmp_ne_u32_e32 vcc_lo, 0x7f800000, v44
                                        ; implicit-def: $vgpr44
	s_and_saveexec_b32 s15, vcc_lo
	s_xor_b32 s15, exec_lo, s15
; %bb.2309:                             ;   in Loop: Header=BB4_2301 Depth=3
	v_bfe_u32 v44, v8, 16, 1
	s_delay_alu instid0(VALU_DEP_1)
	v_add3_u32 v44, v8, v44, 0x7fff
                                        ; implicit-def: $vgpr8
; %bb.2310:                             ;   in Loop: Header=BB4_2301 Depth=3
	s_and_not1_saveexec_b32 s15, s15
; %bb.2311:                             ;   in Loop: Header=BB4_2301 Depth=3
	v_and_b32_e32 v44, 0xffff, v8
	v_or_b32_e32 v61, 0x10000, v8
	s_delay_alu instid0(VALU_DEP_2) | instskip(NEXT) | instid1(VALU_DEP_2)
	v_cmp_eq_u32_e32 vcc_lo, 0, v44
	v_cndmask_b32_e32 v44, v61, v8, vcc_lo
; %bb.2312:                             ;   in Loop: Header=BB4_2301 Depth=3
	s_or_b32 exec_lo, exec_lo, s15
	v_lshlrev_b32_e32 v8, 16, v9
	s_mov_b32 s15, exec_lo
                                        ; implicit-def: $vgpr91
	s_delay_alu instid0(VALU_DEP_1) | instskip(NEXT) | instid1(VALU_DEP_1)
	v_mul_f32_e32 v8, v59, v8
	v_and_b32_e32 v61, 0x7f800000, v8
	s_delay_alu instid0(VALU_DEP_1)
	v_cmpx_ne_u32_e32 0x7f800000, v61
	s_xor_b32 s15, exec_lo, s15
; %bb.2313:                             ;   in Loop: Header=BB4_2301 Depth=3
	v_bfe_u32 v61, v8, 16, 1
	s_delay_alu instid0(VALU_DEP_1)
	v_add3_u32 v91, v8, v61, 0x7fff
                                        ; implicit-def: $vgpr8
; %bb.2314:                             ;   in Loop: Header=BB4_2301 Depth=3
	s_and_not1_saveexec_b32 s15, s15
; %bb.2315:                             ;   in Loop: Header=BB4_2301 Depth=3
	v_and_b32_e32 v61, 0xffff, v8
	v_or_b32_e32 v62, 0x10000, v8
	s_delay_alu instid0(VALU_DEP_2) | instskip(NEXT) | instid1(VALU_DEP_2)
	v_cmp_eq_u32_e32 vcc_lo, 0, v61
	v_cndmask_b32_e32 v91, v62, v8, vcc_lo
; %bb.2316:                             ;   in Loop: Header=BB4_2301 Depth=3
	s_or_b32 exec_lo, exec_lo, s15
	v_and_b32_e32 v8, 0xffff0000, v9
	s_mov_b32 s15, exec_lo
                                        ; implicit-def: $vgpr89
	s_delay_alu instid0(VALU_DEP_1) | instskip(NEXT) | instid1(VALU_DEP_1)
	v_mul_f32_e32 v8, v59, v8
	v_and_b32_e32 v9, 0x7f800000, v8
	s_delay_alu instid0(VALU_DEP_1)
	v_cmpx_ne_u32_e32 0x7f800000, v9
	s_xor_b32 s15, exec_lo, s15
; %bb.2317:                             ;   in Loop: Header=BB4_2301 Depth=3
	v_bfe_u32 v9, v8, 16, 1
	s_delay_alu instid0(VALU_DEP_1)
	v_add3_u32 v89, v8, v9, 0x7fff
                                        ; implicit-def: $vgpr8
; %bb.2318:                             ;   in Loop: Header=BB4_2301 Depth=3
	s_and_not1_saveexec_b32 s15, s15
; %bb.2319:                             ;   in Loop: Header=BB4_2301 Depth=3
	v_and_b32_e32 v9, 0xffff, v8
	v_or_b32_e32 v61, 0x10000, v8
	s_delay_alu instid0(VALU_DEP_2) | instskip(NEXT) | instid1(VALU_DEP_2)
	v_cmp_eq_u32_e32 vcc_lo, 0, v9
	v_cndmask_b32_e32 v89, v61, v8, vcc_lo
; %bb.2320:                             ;   in Loop: Header=BB4_2301 Depth=3
	s_or_b32 exec_lo, exec_lo, s15
	v_lshlrev_b32_e32 v8, 16, v10
	s_mov_b32 s15, exec_lo
                                        ; implicit-def: $vgpr90
	s_delay_alu instid0(VALU_DEP_1) | instskip(NEXT) | instid1(VALU_DEP_1)
	v_mul_f32_e32 v8, v59, v8
	v_and_b32_e32 v9, 0x7f800000, v8
	s_delay_alu instid0(VALU_DEP_1)
	v_cmpx_ne_u32_e32 0x7f800000, v9
	s_xor_b32 s15, exec_lo, s15
; %bb.2321:                             ;   in Loop: Header=BB4_2301 Depth=3
	v_bfe_u32 v9, v8, 16, 1
	s_delay_alu instid0(VALU_DEP_1)
	v_add3_u32 v90, v8, v9, 0x7fff
                                        ; implicit-def: $vgpr8
; %bb.2322:                             ;   in Loop: Header=BB4_2301 Depth=3
	s_and_not1_saveexec_b32 s15, s15
; %bb.2323:                             ;   in Loop: Header=BB4_2301 Depth=3
	v_and_b32_e32 v9, 0xffff, v8
	v_or_b32_e32 v61, 0x10000, v8
	s_delay_alu instid0(VALU_DEP_2) | instskip(NEXT) | instid1(VALU_DEP_2)
	v_cmp_eq_u32_e32 vcc_lo, 0, v9
	v_cndmask_b32_e32 v90, v61, v8, vcc_lo
; %bb.2324:                             ;   in Loop: Header=BB4_2301 Depth=3
	s_or_b32 exec_lo, exec_lo, s15
	v_and_b32_e32 v8, 0xffff0000, v10
	s_mov_b32 s15, exec_lo
                                        ; implicit-def: $vgpr63
	s_delay_alu instid0(VALU_DEP_1) | instskip(NEXT) | instid1(VALU_DEP_1)
	v_mul_f32_e32 v8, v59, v8
	v_and_b32_e32 v9, 0x7f800000, v8
	s_delay_alu instid0(VALU_DEP_1)
	v_cmpx_ne_u32_e32 0x7f800000, v9
	s_xor_b32 s15, exec_lo, s15
; %bb.2325:                             ;   in Loop: Header=BB4_2301 Depth=3
	v_bfe_u32 v9, v8, 16, 1
	s_delay_alu instid0(VALU_DEP_1)
	v_add3_u32 v63, v8, v9, 0x7fff
                                        ; implicit-def: $vgpr8
; %bb.2326:                             ;   in Loop: Header=BB4_2301 Depth=3
	s_and_not1_saveexec_b32 s15, s15
; %bb.2327:                             ;   in Loop: Header=BB4_2301 Depth=3
	v_and_b32_e32 v9, 0xffff, v8
	v_or_b32_e32 v10, 0x10000, v8
	s_delay_alu instid0(VALU_DEP_2) | instskip(NEXT) | instid1(VALU_DEP_2)
	v_cmp_eq_u32_e32 vcc_lo, 0, v9
	v_cndmask_b32_e32 v63, v10, v8, vcc_lo
; %bb.2328:                             ;   in Loop: Header=BB4_2301 Depth=3
	s_or_b32 exec_lo, exec_lo, s15
	v_lshlrev_b32_e32 v8, 16, v11
	s_mov_b32 s15, exec_lo
                                        ; implicit-def: $vgpr88
	s_delay_alu instid0(VALU_DEP_1) | instskip(NEXT) | instid1(VALU_DEP_1)
	v_mul_f32_e32 v8, v59, v8
	v_and_b32_e32 v9, 0x7f800000, v8
	s_delay_alu instid0(VALU_DEP_1)
	v_cmpx_ne_u32_e32 0x7f800000, v9
	s_xor_b32 s15, exec_lo, s15
; %bb.2329:                             ;   in Loop: Header=BB4_2301 Depth=3
	v_bfe_u32 v9, v8, 16, 1
	s_delay_alu instid0(VALU_DEP_1)
	v_add3_u32 v88, v8, v9, 0x7fff
                                        ; implicit-def: $vgpr8
; %bb.2330:                             ;   in Loop: Header=BB4_2301 Depth=3
	s_and_not1_saveexec_b32 s15, s15
; %bb.2331:                             ;   in Loop: Header=BB4_2301 Depth=3
	v_and_b32_e32 v9, 0xffff, v8
	v_or_b32_e32 v10, 0x10000, v8
	s_delay_alu instid0(VALU_DEP_2) | instskip(NEXT) | instid1(VALU_DEP_2)
	v_cmp_eq_u32_e32 vcc_lo, 0, v9
	v_cndmask_b32_e32 v88, v10, v8, vcc_lo
; %bb.2332:                             ;   in Loop: Header=BB4_2301 Depth=3
	s_or_b32 exec_lo, exec_lo, s15
	v_and_b32_e32 v8, 0xffff0000, v11
	s_mov_b32 s15, exec_lo
                                        ; implicit-def: $vgpr61
	s_delay_alu instid0(VALU_DEP_1) | instskip(NEXT) | instid1(VALU_DEP_1)
	v_mul_f32_e32 v8, v59, v8
	v_and_b32_e32 v9, 0x7f800000, v8
	s_delay_alu instid0(VALU_DEP_1)
	v_cmpx_ne_u32_e32 0x7f800000, v9
	s_xor_b32 s15, exec_lo, s15
; %bb.2333:                             ;   in Loop: Header=BB4_2301 Depth=3
	v_bfe_u32 v9, v8, 16, 1
	s_delay_alu instid0(VALU_DEP_1)
	v_add3_u32 v61, v8, v9, 0x7fff
                                        ; implicit-def: $vgpr8
; %bb.2334:                             ;   in Loop: Header=BB4_2301 Depth=3
	s_and_not1_saveexec_b32 s15, s15
; %bb.2335:                             ;   in Loop: Header=BB4_2301 Depth=3
	v_and_b32_e32 v9, 0xffff, v8
	v_or_b32_e32 v10, 0x10000, v8
	s_delay_alu instid0(VALU_DEP_2) | instskip(NEXT) | instid1(VALU_DEP_2)
	v_cmp_eq_u32_e32 vcc_lo, 0, v9
	v_cndmask_b32_e32 v61, v10, v8, vcc_lo
; %bb.2336:                             ;   in Loop: Header=BB4_2301 Depth=3
	s_or_b32 exec_lo, exec_lo, s15
	scratch_load_b128 v[8:11], off, s33 offset:208
	v_and_b32_e32 v45, 0xffff0000, v45
	s_wait_loadcnt 0x0
	v_lshlrev_b32_e32 v62, 16, v8
	s_delay_alu instid0(VALU_DEP_1) | instskip(NEXT) | instid1(VALU_DEP_1)
	v_add_f32_e32 v45, v45, v62
	v_and_b32_e32 v62, 0x7f800000, v45
	s_delay_alu instid0(VALU_DEP_1) | instskip(SKIP_2) | instid1(SALU_CYCLE_1)
	v_cmp_ne_u32_e32 vcc_lo, 0x7f800000, v62
                                        ; implicit-def: $vgpr62
	s_wait_xcnt 0x0
	s_and_saveexec_b32 s15, vcc_lo
	s_xor_b32 s15, exec_lo, s15
; %bb.2337:                             ;   in Loop: Header=BB4_2301 Depth=3
	v_bfe_u32 v62, v45, 16, 1
	s_delay_alu instid0(VALU_DEP_1)
	v_add3_u32 v62, v45, v62, 0x7fff
                                        ; implicit-def: $vgpr45
; %bb.2338:                             ;   in Loop: Header=BB4_2301 Depth=3
	s_and_not1_saveexec_b32 s15, s15
; %bb.2339:                             ;   in Loop: Header=BB4_2301 Depth=3
	v_and_b32_e32 v62, 0xffff, v45
	v_or_b32_e32 v92, 0x10000, v45
	s_delay_alu instid0(VALU_DEP_2) | instskip(NEXT) | instid1(VALU_DEP_2)
	v_cmp_eq_u32_e32 vcc_lo, 0, v62
	v_cndmask_b32_e32 v62, v92, v45, vcc_lo
; %bb.2340:                             ;   in Loop: Header=BB4_2301 Depth=3
	s_or_b32 exec_lo, exec_lo, s15
	v_and_b32_e32 v45, 0xffff0000, v8
	v_and_b32_e32 v44, 0xffff0000, v44
	s_delay_alu instid0(VALU_DEP_2) | instskip(NEXT) | instid1(VALU_DEP_1)
	v_mov_b32_e32 v8, v45
	v_pk_add_f32 v[44:45], v[8:9], v[44:45]
	s_delay_alu instid0(VALU_DEP_1) | instskip(NEXT) | instid1(VALU_DEP_1)
	v_and_b32_e32 v8, 0x7f800000, v44
	v_cmp_ne_u32_e32 vcc_lo, 0x7f800000, v8
                                        ; implicit-def: $vgpr8
	s_and_saveexec_b32 s15, vcc_lo
	s_delay_alu instid0(SALU_CYCLE_1)
	s_xor_b32 s15, exec_lo, s15
; %bb.2341:                             ;   in Loop: Header=BB4_2301 Depth=3
	v_bfe_u32 v8, v44, 16, 1
	s_delay_alu instid0(VALU_DEP_1)
	v_add3_u32 v8, v44, v8, 0x7fff
                                        ; implicit-def: $vgpr44_vgpr45
; %bb.2342:                             ;   in Loop: Header=BB4_2301 Depth=3
	s_and_not1_saveexec_b32 s15, s15
; %bb.2343:                             ;   in Loop: Header=BB4_2301 Depth=3
	v_and_b32_e32 v8, 0xffff, v44
	v_or_b32_e32 v45, 0x10000, v44
	s_delay_alu instid0(VALU_DEP_2) | instskip(NEXT) | instid1(VALU_DEP_2)
	v_cmp_eq_u32_e32 vcc_lo, 0, v8
	v_cndmask_b32_e32 v8, v45, v44, vcc_lo
; %bb.2344:                             ;   in Loop: Header=BB4_2301 Depth=3
	s_or_b32 exec_lo, exec_lo, s15
	v_and_b32_e32 v44, 0xffff0000, v91
	v_lshlrev_b32_e32 v45, 16, v9
	s_delay_alu instid0(VALU_DEP_1) | instskip(NEXT) | instid1(VALU_DEP_1)
	v_add_f32_e32 v45, v44, v45
	v_and_b32_e32 v44, 0x7f800000, v45
	s_delay_alu instid0(VALU_DEP_1) | instskip(SKIP_1) | instid1(SALU_CYCLE_1)
	v_cmp_ne_u32_e32 vcc_lo, 0x7f800000, v44
                                        ; implicit-def: $vgpr44
	s_and_saveexec_b32 s15, vcc_lo
	s_xor_b32 s15, exec_lo, s15
; %bb.2345:                             ;   in Loop: Header=BB4_2301 Depth=3
	v_bfe_u32 v44, v45, 16, 1
	s_delay_alu instid0(VALU_DEP_1)
	v_add3_u32 v44, v45, v44, 0x7fff
                                        ; implicit-def: $vgpr45
; %bb.2346:                             ;   in Loop: Header=BB4_2301 Depth=3
	s_and_not1_saveexec_b32 s15, s15
; %bb.2347:                             ;   in Loop: Header=BB4_2301 Depth=3
	v_and_b32_e32 v44, 0xffff, v45
	v_or_b32_e32 v91, 0x10000, v45
	s_delay_alu instid0(VALU_DEP_2) | instskip(NEXT) | instid1(VALU_DEP_2)
	v_cmp_eq_u32_e32 vcc_lo, 0, v44
	v_cndmask_b32_e32 v44, v91, v45, vcc_lo
; %bb.2348:                             ;   in Loop: Header=BB4_2301 Depth=3
	s_or_b32 exec_lo, exec_lo, s15
	v_and_b32_e32 v9, 0xffff0000, v9
	v_and_b32_e32 v45, 0xffff0000, v89
	s_delay_alu instid0(VALU_DEP_1) | instskip(NEXT) | instid1(VALU_DEP_1)
	v_add_f32_e32 v45, v45, v9
	v_and_b32_e32 v9, 0x7f800000, v45
	s_delay_alu instid0(VALU_DEP_1) | instskip(SKIP_1) | instid1(SALU_CYCLE_1)
	v_cmp_ne_u32_e32 vcc_lo, 0x7f800000, v9
                                        ; implicit-def: $vgpr9
	s_and_saveexec_b32 s15, vcc_lo
	s_xor_b32 s15, exec_lo, s15
; %bb.2349:                             ;   in Loop: Header=BB4_2301 Depth=3
	v_bfe_u32 v9, v45, 16, 1
	s_delay_alu instid0(VALU_DEP_1)
	v_add3_u32 v9, v45, v9, 0x7fff
                                        ; implicit-def: $vgpr45
; %bb.2350:                             ;   in Loop: Header=BB4_2301 Depth=3
	s_and_not1_saveexec_b32 s15, s15
; %bb.2351:                             ;   in Loop: Header=BB4_2301 Depth=3
	v_and_b32_e32 v9, 0xffff, v45
	v_or_b32_e32 v89, 0x10000, v45
	s_delay_alu instid0(VALU_DEP_2) | instskip(NEXT) | instid1(VALU_DEP_2)
	v_cmp_eq_u32_e32 vcc_lo, 0, v9
	v_cndmask_b32_e32 v9, v89, v45, vcc_lo
; %bb.2352:                             ;   in Loop: Header=BB4_2301 Depth=3
	s_or_b32 exec_lo, exec_lo, s15
	v_and_b32_e32 v45, 0xffff0000, v90
	v_lshlrev_b32_e32 v89, 16, v10
	s_delay_alu instid0(VALU_DEP_1) | instskip(NEXT) | instid1(VALU_DEP_1)
	v_add_f32_e32 v89, v45, v89
	v_and_b32_e32 v45, 0x7f800000, v89
	s_delay_alu instid0(VALU_DEP_1) | instskip(SKIP_1) | instid1(SALU_CYCLE_1)
	v_cmp_ne_u32_e32 vcc_lo, 0x7f800000, v45
                                        ; implicit-def: $vgpr45
	s_and_saveexec_b32 s15, vcc_lo
	s_xor_b32 s15, exec_lo, s15
; %bb.2353:                             ;   in Loop: Header=BB4_2301 Depth=3
	v_bfe_u32 v45, v89, 16, 1
	s_delay_alu instid0(VALU_DEP_1)
	v_add3_u32 v45, v89, v45, 0x7fff
                                        ; implicit-def: $vgpr89
; %bb.2354:                             ;   in Loop: Header=BB4_2301 Depth=3
	s_and_not1_saveexec_b32 s15, s15
; %bb.2355:                             ;   in Loop: Header=BB4_2301 Depth=3
	v_and_b32_e32 v45, 0xffff, v89
	v_or_b32_e32 v90, 0x10000, v89
	s_delay_alu instid0(VALU_DEP_2) | instskip(NEXT) | instid1(VALU_DEP_2)
	v_cmp_eq_u32_e32 vcc_lo, 0, v45
	v_cndmask_b32_e32 v45, v90, v89, vcc_lo
; %bb.2356:                             ;   in Loop: Header=BB4_2301 Depth=3
	s_or_b32 exec_lo, exec_lo, s15
	v_and_b32_e32 v10, 0xffff0000, v10
	v_and_b32_e32 v63, 0xffff0000, v63
	s_delay_alu instid0(VALU_DEP_1) | instskip(NEXT) | instid1(VALU_DEP_1)
	v_add_f32_e32 v63, v63, v10
	v_and_b32_e32 v10, 0x7f800000, v63
	s_delay_alu instid0(VALU_DEP_1) | instskip(SKIP_1) | instid1(SALU_CYCLE_1)
	v_cmp_ne_u32_e32 vcc_lo, 0x7f800000, v10
                                        ; implicit-def: $vgpr10
	s_and_saveexec_b32 s15, vcc_lo
	s_xor_b32 s15, exec_lo, s15
; %bb.2357:                             ;   in Loop: Header=BB4_2301 Depth=3
	v_bfe_u32 v10, v63, 16, 1
	s_delay_alu instid0(VALU_DEP_1)
	v_add3_u32 v10, v63, v10, 0x7fff
                                        ; implicit-def: $vgpr63
; %bb.2358:                             ;   in Loop: Header=BB4_2301 Depth=3
	s_and_not1_saveexec_b32 s15, s15
; %bb.2359:                             ;   in Loop: Header=BB4_2301 Depth=3
	v_and_b32_e32 v10, 0xffff, v63
	v_or_b32_e32 v89, 0x10000, v63
	s_delay_alu instid0(VALU_DEP_2) | instskip(NEXT) | instid1(VALU_DEP_2)
	v_cmp_eq_u32_e32 vcc_lo, 0, v10
	v_cndmask_b32_e32 v10, v89, v63, vcc_lo
; %bb.2360:                             ;   in Loop: Header=BB4_2301 Depth=3
	s_or_b32 exec_lo, exec_lo, s15
	v_and_b32_e32 v63, 0xffff0000, v88
	v_lshlrev_b32_e32 v88, 16, v11
	s_delay_alu instid0(VALU_DEP_1) | instskip(NEXT) | instid1(VALU_DEP_1)
	v_add_f32_e32 v88, v63, v88
	v_and_b32_e32 v63, 0x7f800000, v88
	s_delay_alu instid0(VALU_DEP_1) | instskip(SKIP_1) | instid1(SALU_CYCLE_1)
	v_cmp_ne_u32_e32 vcc_lo, 0x7f800000, v63
                                        ; implicit-def: $vgpr63
	s_and_saveexec_b32 s15, vcc_lo
	s_xor_b32 s15, exec_lo, s15
; %bb.2361:                             ;   in Loop: Header=BB4_2301 Depth=3
	v_bfe_u32 v63, v88, 16, 1
	s_delay_alu instid0(VALU_DEP_1)
	v_add3_u32 v63, v88, v63, 0x7fff
                                        ; implicit-def: $vgpr88
; %bb.2362:                             ;   in Loop: Header=BB4_2301 Depth=3
	s_and_not1_saveexec_b32 s15, s15
; %bb.2363:                             ;   in Loop: Header=BB4_2301 Depth=3
	v_and_b32_e32 v63, 0xffff, v88
	v_or_b32_e32 v89, 0x10000, v88
	s_delay_alu instid0(VALU_DEP_2) | instskip(NEXT) | instid1(VALU_DEP_2)
	v_cmp_eq_u32_e32 vcc_lo, 0, v63
	v_cndmask_b32_e32 v63, v89, v88, vcc_lo
; %bb.2364:                             ;   in Loop: Header=BB4_2301 Depth=3
	s_or_b32 exec_lo, exec_lo, s15
	v_and_b32_e32 v11, 0xffff0000, v11
	v_and_b32_e32 v61, 0xffff0000, v61
	s_delay_alu instid0(VALU_DEP_1) | instskip(NEXT) | instid1(VALU_DEP_1)
	v_add_f32_e32 v61, v61, v11
	v_and_b32_e32 v11, 0x7f800000, v61
	s_delay_alu instid0(VALU_DEP_1) | instskip(SKIP_1) | instid1(SALU_CYCLE_1)
	v_cmp_ne_u32_e32 vcc_lo, 0x7f800000, v11
                                        ; implicit-def: $vgpr11
	s_and_saveexec_b32 s15, vcc_lo
	s_xor_b32 s15, exec_lo, s15
; %bb.2365:                             ;   in Loop: Header=BB4_2301 Depth=3
	v_bfe_u32 v11, v61, 16, 1
	s_delay_alu instid0(VALU_DEP_1)
	v_add3_u32 v11, v61, v11, 0x7fff
                                        ; implicit-def: $vgpr61
; %bb.2366:                             ;   in Loop: Header=BB4_2301 Depth=3
	s_and_not1_saveexec_b32 s15, s15
; %bb.2367:                             ;   in Loop: Header=BB4_2301 Depth=3
	v_and_b32_e32 v11, 0xffff, v61
	v_or_b32_e32 v88, 0x10000, v61
	s_delay_alu instid0(VALU_DEP_2) | instskip(NEXT) | instid1(VALU_DEP_2)
	v_cmp_eq_u32_e32 vcc_lo, 0, v11
	v_cndmask_b32_e32 v11, v88, v61, vcc_lo
; %bb.2368:                             ;   in Loop: Header=BB4_2301 Depth=3
	s_or_b32 exec_lo, exec_lo, s15
	v_dual_lshrrev_b32 v44, 16, v44 :: v_dual_lshrrev_b32 v61, 16, v62
	v_dual_lshrrev_b32 v45, 16, v45 :: v_dual_lshrrev_b32 v62, 16, v63
	s_delay_alu instid0(VALU_DEP_2) | instskip(NEXT) | instid1(VALU_DEP_3)
	v_and_or_b32 v9, 0xffff0000, v9, v44
	v_and_or_b32 v8, 0xffff0000, v8, v61
	s_delay_alu instid0(VALU_DEP_3) | instskip(NEXT) | instid1(VALU_DEP_4)
	v_and_or_b32 v10, 0xffff0000, v10, v45
	v_and_or_b32 v11, 0xffff0000, v11, v62
	global_store_b128 v[40:41], v[8:11], off th:TH_STORE_NT
	s_wait_xcnt 0x0
	v_add_nc_u64_e32 v[40:41], v[100:101], v[40:41]
	scratch_store_b128 off, v[8:11], s33 offset:192
.LBB4_2369:                             ;   in Loop: Header=BB4_2301 Depth=3
	s_wait_xcnt 0x0
	s_or_b32 exec_lo, exec_lo, s14
	v_sub_nc_u32_e32 v13, v13, v78
	v_add_nc_u64_e32 v[42:43], v[42:43], v[84:85]
	v_add_nc_u64_e32 v[22:23], v[22:23], v[84:85]
	s_delay_alu instid0(VALU_DEP_3)
	v_cmp_lt_i32_e64 s95, 15, v13
	s_and_saveexec_b32 vcc_hi, s95
	s_cbranch_execz .LBB4_2372
; %bb.2370:                             ;   in Loop: Header=BB4_2301 Depth=3
	s_add_co_i32 s14, s33, 0xc0
	s_mov_b64 s[40:41], 0
	s_mov_b32 s30, s14
	s_mov_b32 s31, -1
.LBB4_2371:                             ;   Parent Loop BB4_47 Depth=1
                                        ;     Parent Loop BB4_1420 Depth=2
                                        ;       Parent Loop BB4_2301 Depth=3
                                        ; =>      This Inner Loop Header: Depth=4
	s_cmp_eq_u32 s40, 1
	s_cselect_b32 vcc_lo, -1, 0
	s_cmp_eq_u32 s40, 0
	v_dual_cndmask_b32 v45, v43, v23 :: v_dual_cndmask_b32 v44, v42, v22
	s_cselect_b32 s14, -1, 0
	s_and_b32 s15, exec_lo, s31
	s_mov_b64 s[40:41], 1
	s_mov_b32 s31, 0
	global_load_b128 v[8:11], v[44:45], off th:TH_LOAD_NT
	s_wait_xcnt 0x0
	v_add_nc_u64_e32 v[44:45], 0x200, v[44:45]
	s_delay_alu instid0(VALU_DEP_1)
	v_dual_cndmask_b32 v43, v43, v45, s14 :: v_dual_cndmask_b32 v42, v42, v44, s14
	v_dual_cndmask_b32 v23, v23, v45 :: v_dual_cndmask_b32 v22, v22, v44
	s_mov_b32 vcc_lo, s15
	s_wait_loadcnt 0x0
	scratch_store_b128 off, v[8:11], s30
	s_wait_xcnt 0x0
	s_mov_b32 s30, s73
	s_cbranch_vccnz .LBB4_2371
.LBB4_2372:                             ;   in Loop: Header=BB4_2301 Depth=3
	s_or_b32 exec_lo, exec_lo, vcc_hi
	scratch_load_b128 v[8:11], off, s33 offset:160
	s_wait_loadcnt 0x0
	v_lshlrev_b32_e32 v44, 16, v8
	s_delay_alu instid0(VALU_DEP_1) | instskip(NEXT) | instid1(VALU_DEP_1)
	v_mul_f32_e32 v44, v59, v44
	v_and_b32_e32 v45, 0x7f800000, v44
	s_delay_alu instid0(VALU_DEP_1) | instskip(SKIP_2) | instid1(SALU_CYCLE_1)
	v_cmp_ne_u32_e32 vcc_lo, 0x7f800000, v45
                                        ; implicit-def: $vgpr45
	s_wait_xcnt 0x0
	s_and_saveexec_b32 s14, vcc_lo
	s_xor_b32 s14, exec_lo, s14
; %bb.2373:                             ;   in Loop: Header=BB4_2301 Depth=3
	v_bfe_u32 v45, v44, 16, 1
	s_delay_alu instid0(VALU_DEP_1)
	v_add3_u32 v45, v44, v45, 0x7fff
                                        ; implicit-def: $vgpr44
; %bb.2374:                             ;   in Loop: Header=BB4_2301 Depth=3
	s_and_not1_saveexec_b32 s14, s14
; %bb.2375:                             ;   in Loop: Header=BB4_2301 Depth=3
	v_and_b32_e32 v45, 0xffff, v44
	v_or_b32_e32 v61, 0x10000, v44
	s_delay_alu instid0(VALU_DEP_2) | instskip(NEXT) | instid1(VALU_DEP_2)
	v_cmp_eq_u32_e32 vcc_lo, 0, v45
	v_cndmask_b32_e32 v45, v61, v44, vcc_lo
; %bb.2376:                             ;   in Loop: Header=BB4_2301 Depth=3
	s_or_b32 exec_lo, exec_lo, s14
	v_and_b32_e32 v8, 0xffff0000, v8
	s_delay_alu instid0(VALU_DEP_1) | instskip(NEXT) | instid1(VALU_DEP_1)
	v_mul_f32_e32 v8, v59, v8
	v_and_b32_e32 v44, 0x7f800000, v8
	s_delay_alu instid0(VALU_DEP_1) | instskip(SKIP_1) | instid1(SALU_CYCLE_1)
	v_cmp_ne_u32_e32 vcc_lo, 0x7f800000, v44
                                        ; implicit-def: $vgpr44
	s_and_saveexec_b32 s14, vcc_lo
	s_xor_b32 s14, exec_lo, s14
; %bb.2377:                             ;   in Loop: Header=BB4_2301 Depth=3
	v_bfe_u32 v44, v8, 16, 1
	s_delay_alu instid0(VALU_DEP_1)
	v_add3_u32 v44, v8, v44, 0x7fff
                                        ; implicit-def: $vgpr8
; %bb.2378:                             ;   in Loop: Header=BB4_2301 Depth=3
	s_and_not1_saveexec_b32 s14, s14
; %bb.2379:                             ;   in Loop: Header=BB4_2301 Depth=3
	v_and_b32_e32 v44, 0xffff, v8
	v_or_b32_e32 v61, 0x10000, v8
	s_delay_alu instid0(VALU_DEP_2) | instskip(NEXT) | instid1(VALU_DEP_2)
	v_cmp_eq_u32_e32 vcc_lo, 0, v44
	v_cndmask_b32_e32 v44, v61, v8, vcc_lo
; %bb.2380:                             ;   in Loop: Header=BB4_2301 Depth=3
	s_or_b32 exec_lo, exec_lo, s14
	v_lshlrev_b32_e32 v8, 16, v9
	s_mov_b32 s14, exec_lo
                                        ; implicit-def: $vgpr91
	s_delay_alu instid0(VALU_DEP_1) | instskip(NEXT) | instid1(VALU_DEP_1)
	v_mul_f32_e32 v8, v59, v8
	v_and_b32_e32 v61, 0x7f800000, v8
	s_delay_alu instid0(VALU_DEP_1)
	v_cmpx_ne_u32_e32 0x7f800000, v61
	s_xor_b32 s14, exec_lo, s14
; %bb.2381:                             ;   in Loop: Header=BB4_2301 Depth=3
	v_bfe_u32 v61, v8, 16, 1
	s_delay_alu instid0(VALU_DEP_1)
	v_add3_u32 v91, v8, v61, 0x7fff
                                        ; implicit-def: $vgpr8
; %bb.2382:                             ;   in Loop: Header=BB4_2301 Depth=3
	s_and_not1_saveexec_b32 s14, s14
; %bb.2383:                             ;   in Loop: Header=BB4_2301 Depth=3
	v_and_b32_e32 v61, 0xffff, v8
	v_or_b32_e32 v62, 0x10000, v8
	s_delay_alu instid0(VALU_DEP_2) | instskip(NEXT) | instid1(VALU_DEP_2)
	v_cmp_eq_u32_e32 vcc_lo, 0, v61
	v_cndmask_b32_e32 v91, v62, v8, vcc_lo
; %bb.2384:                             ;   in Loop: Header=BB4_2301 Depth=3
	s_or_b32 exec_lo, exec_lo, s14
	v_and_b32_e32 v8, 0xffff0000, v9
	s_mov_b32 s14, exec_lo
                                        ; implicit-def: $vgpr89
	s_delay_alu instid0(VALU_DEP_1) | instskip(NEXT) | instid1(VALU_DEP_1)
	v_mul_f32_e32 v8, v59, v8
	v_and_b32_e32 v9, 0x7f800000, v8
	s_delay_alu instid0(VALU_DEP_1)
	v_cmpx_ne_u32_e32 0x7f800000, v9
	s_xor_b32 s14, exec_lo, s14
; %bb.2385:                             ;   in Loop: Header=BB4_2301 Depth=3
	v_bfe_u32 v9, v8, 16, 1
	s_delay_alu instid0(VALU_DEP_1)
	v_add3_u32 v89, v8, v9, 0x7fff
                                        ; implicit-def: $vgpr8
; %bb.2386:                             ;   in Loop: Header=BB4_2301 Depth=3
	s_and_not1_saveexec_b32 s14, s14
; %bb.2387:                             ;   in Loop: Header=BB4_2301 Depth=3
	v_and_b32_e32 v9, 0xffff, v8
	v_or_b32_e32 v61, 0x10000, v8
	s_delay_alu instid0(VALU_DEP_2) | instskip(NEXT) | instid1(VALU_DEP_2)
	v_cmp_eq_u32_e32 vcc_lo, 0, v9
	v_cndmask_b32_e32 v89, v61, v8, vcc_lo
; %bb.2388:                             ;   in Loop: Header=BB4_2301 Depth=3
	s_or_b32 exec_lo, exec_lo, s14
	v_lshlrev_b32_e32 v8, 16, v10
	s_mov_b32 s14, exec_lo
                                        ; implicit-def: $vgpr90
	s_delay_alu instid0(VALU_DEP_1) | instskip(NEXT) | instid1(VALU_DEP_1)
	v_mul_f32_e32 v8, v59, v8
	v_and_b32_e32 v9, 0x7f800000, v8
	s_delay_alu instid0(VALU_DEP_1)
	v_cmpx_ne_u32_e32 0x7f800000, v9
	s_xor_b32 s14, exec_lo, s14
; %bb.2389:                             ;   in Loop: Header=BB4_2301 Depth=3
	v_bfe_u32 v9, v8, 16, 1
	s_delay_alu instid0(VALU_DEP_1)
	v_add3_u32 v90, v8, v9, 0x7fff
                                        ; implicit-def: $vgpr8
; %bb.2390:                             ;   in Loop: Header=BB4_2301 Depth=3
	s_and_not1_saveexec_b32 s14, s14
; %bb.2391:                             ;   in Loop: Header=BB4_2301 Depth=3
	v_and_b32_e32 v9, 0xffff, v8
	v_or_b32_e32 v61, 0x10000, v8
	s_delay_alu instid0(VALU_DEP_2) | instskip(NEXT) | instid1(VALU_DEP_2)
	v_cmp_eq_u32_e32 vcc_lo, 0, v9
	v_cndmask_b32_e32 v90, v61, v8, vcc_lo
; %bb.2392:                             ;   in Loop: Header=BB4_2301 Depth=3
	s_or_b32 exec_lo, exec_lo, s14
	v_and_b32_e32 v8, 0xffff0000, v10
	s_mov_b32 s14, exec_lo
                                        ; implicit-def: $vgpr63
	s_delay_alu instid0(VALU_DEP_1) | instskip(NEXT) | instid1(VALU_DEP_1)
	v_mul_f32_e32 v8, v59, v8
	v_and_b32_e32 v9, 0x7f800000, v8
	s_delay_alu instid0(VALU_DEP_1)
	v_cmpx_ne_u32_e32 0x7f800000, v9
	s_xor_b32 s14, exec_lo, s14
; %bb.2393:                             ;   in Loop: Header=BB4_2301 Depth=3
	v_bfe_u32 v9, v8, 16, 1
	s_delay_alu instid0(VALU_DEP_1)
	v_add3_u32 v63, v8, v9, 0x7fff
                                        ; implicit-def: $vgpr8
; %bb.2394:                             ;   in Loop: Header=BB4_2301 Depth=3
	s_and_not1_saveexec_b32 s14, s14
; %bb.2395:                             ;   in Loop: Header=BB4_2301 Depth=3
	v_and_b32_e32 v9, 0xffff, v8
	v_or_b32_e32 v10, 0x10000, v8
	s_delay_alu instid0(VALU_DEP_2) | instskip(NEXT) | instid1(VALU_DEP_2)
	v_cmp_eq_u32_e32 vcc_lo, 0, v9
	v_cndmask_b32_e32 v63, v10, v8, vcc_lo
; %bb.2396:                             ;   in Loop: Header=BB4_2301 Depth=3
	s_or_b32 exec_lo, exec_lo, s14
	v_lshlrev_b32_e32 v8, 16, v11
	s_mov_b32 s14, exec_lo
                                        ; implicit-def: $vgpr88
	s_delay_alu instid0(VALU_DEP_1) | instskip(NEXT) | instid1(VALU_DEP_1)
	v_mul_f32_e32 v8, v59, v8
	v_and_b32_e32 v9, 0x7f800000, v8
	s_delay_alu instid0(VALU_DEP_1)
	v_cmpx_ne_u32_e32 0x7f800000, v9
	s_xor_b32 s14, exec_lo, s14
; %bb.2397:                             ;   in Loop: Header=BB4_2301 Depth=3
	v_bfe_u32 v9, v8, 16, 1
	s_delay_alu instid0(VALU_DEP_1)
	v_add3_u32 v88, v8, v9, 0x7fff
                                        ; implicit-def: $vgpr8
; %bb.2398:                             ;   in Loop: Header=BB4_2301 Depth=3
	s_and_not1_saveexec_b32 s14, s14
; %bb.2399:                             ;   in Loop: Header=BB4_2301 Depth=3
	v_and_b32_e32 v9, 0xffff, v8
	v_or_b32_e32 v10, 0x10000, v8
	s_delay_alu instid0(VALU_DEP_2) | instskip(NEXT) | instid1(VALU_DEP_2)
	v_cmp_eq_u32_e32 vcc_lo, 0, v9
	v_cndmask_b32_e32 v88, v10, v8, vcc_lo
; %bb.2400:                             ;   in Loop: Header=BB4_2301 Depth=3
	s_or_b32 exec_lo, exec_lo, s14
	v_and_b32_e32 v8, 0xffff0000, v11
	s_mov_b32 s14, exec_lo
                                        ; implicit-def: $vgpr62
	s_delay_alu instid0(VALU_DEP_1) | instskip(NEXT) | instid1(VALU_DEP_1)
	v_mul_f32_e32 v8, v59, v8
	v_and_b32_e32 v9, 0x7f800000, v8
	s_delay_alu instid0(VALU_DEP_1)
	v_cmpx_ne_u32_e32 0x7f800000, v9
	s_xor_b32 s14, exec_lo, s14
; %bb.2401:                             ;   in Loop: Header=BB4_2301 Depth=3
	v_bfe_u32 v9, v8, 16, 1
	s_delay_alu instid0(VALU_DEP_1)
	v_add3_u32 v62, v8, v9, 0x7fff
                                        ; implicit-def: $vgpr8
; %bb.2402:                             ;   in Loop: Header=BB4_2301 Depth=3
	s_and_not1_saveexec_b32 s14, s14
; %bb.2403:                             ;   in Loop: Header=BB4_2301 Depth=3
	v_and_b32_e32 v9, 0xffff, v8
	v_or_b32_e32 v10, 0x10000, v8
	s_delay_alu instid0(VALU_DEP_2) | instskip(NEXT) | instid1(VALU_DEP_2)
	v_cmp_eq_u32_e32 vcc_lo, 0, v9
	v_cndmask_b32_e32 v62, v10, v8, vcc_lo
; %bb.2404:                             ;   in Loop: Header=BB4_2301 Depth=3
	s_or_b32 exec_lo, exec_lo, s14
	scratch_load_b128 v[8:11], off, s33 offset:176
	v_and_b32_e32 v45, 0xffff0000, v45
	s_wait_loadcnt 0x0
	v_lshlrev_b32_e32 v61, 16, v8
	s_delay_alu instid0(VALU_DEP_1) | instskip(NEXT) | instid1(VALU_DEP_1)
	v_add_f32_e32 v45, v45, v61
	v_and_b32_e32 v61, 0x7f800000, v45
	s_delay_alu instid0(VALU_DEP_1) | instskip(SKIP_2) | instid1(SALU_CYCLE_1)
	v_cmp_ne_u32_e32 vcc_lo, 0x7f800000, v61
                                        ; implicit-def: $vgpr61
	s_wait_xcnt 0x0
	s_and_saveexec_b32 s14, vcc_lo
	s_xor_b32 s14, exec_lo, s14
; %bb.2405:                             ;   in Loop: Header=BB4_2301 Depth=3
	v_bfe_u32 v61, v45, 16, 1
	s_delay_alu instid0(VALU_DEP_1)
	v_add3_u32 v61, v45, v61, 0x7fff
                                        ; implicit-def: $vgpr45
; %bb.2406:                             ;   in Loop: Header=BB4_2301 Depth=3
	s_and_not1_saveexec_b32 s14, s14
; %bb.2407:                             ;   in Loop: Header=BB4_2301 Depth=3
	v_and_b32_e32 v61, 0xffff, v45
	v_or_b32_e32 v92, 0x10000, v45
	s_delay_alu instid0(VALU_DEP_2) | instskip(NEXT) | instid1(VALU_DEP_2)
	v_cmp_eq_u32_e32 vcc_lo, 0, v61
	v_cndmask_b32_e32 v61, v92, v45, vcc_lo
; %bb.2408:                             ;   in Loop: Header=BB4_2301 Depth=3
	s_or_b32 exec_lo, exec_lo, s14
	v_and_b32_e32 v45, 0xffff0000, v8
	v_and_b32_e32 v44, 0xffff0000, v44
	s_delay_alu instid0(VALU_DEP_2) | instskip(NEXT) | instid1(VALU_DEP_1)
	v_mov_b32_e32 v8, v45
	v_pk_add_f32 v[44:45], v[8:9], v[44:45]
	s_delay_alu instid0(VALU_DEP_1) | instskip(NEXT) | instid1(VALU_DEP_1)
	v_and_b32_e32 v8, 0x7f800000, v44
	v_cmp_ne_u32_e32 vcc_lo, 0x7f800000, v8
                                        ; implicit-def: $vgpr8
	s_and_saveexec_b32 s14, vcc_lo
	s_delay_alu instid0(SALU_CYCLE_1)
	s_xor_b32 s14, exec_lo, s14
; %bb.2409:                             ;   in Loop: Header=BB4_2301 Depth=3
	v_bfe_u32 v8, v44, 16, 1
	s_delay_alu instid0(VALU_DEP_1)
	v_add3_u32 v8, v44, v8, 0x7fff
                                        ; implicit-def: $vgpr44_vgpr45
; %bb.2410:                             ;   in Loop: Header=BB4_2301 Depth=3
	s_and_not1_saveexec_b32 s14, s14
; %bb.2411:                             ;   in Loop: Header=BB4_2301 Depth=3
	v_and_b32_e32 v8, 0xffff, v44
	v_or_b32_e32 v45, 0x10000, v44
	s_delay_alu instid0(VALU_DEP_2) | instskip(NEXT) | instid1(VALU_DEP_2)
	v_cmp_eq_u32_e32 vcc_lo, 0, v8
	v_cndmask_b32_e32 v8, v45, v44, vcc_lo
; %bb.2412:                             ;   in Loop: Header=BB4_2301 Depth=3
	s_or_b32 exec_lo, exec_lo, s14
	v_and_b32_e32 v44, 0xffff0000, v91
	v_lshlrev_b32_e32 v45, 16, v9
	s_delay_alu instid0(VALU_DEP_1) | instskip(NEXT) | instid1(VALU_DEP_1)
	v_add_f32_e32 v45, v44, v45
	v_and_b32_e32 v44, 0x7f800000, v45
	s_delay_alu instid0(VALU_DEP_1) | instskip(SKIP_1) | instid1(SALU_CYCLE_1)
	v_cmp_ne_u32_e32 vcc_lo, 0x7f800000, v44
                                        ; implicit-def: $vgpr44
	s_and_saveexec_b32 s14, vcc_lo
	s_xor_b32 s14, exec_lo, s14
; %bb.2413:                             ;   in Loop: Header=BB4_2301 Depth=3
	v_bfe_u32 v44, v45, 16, 1
	s_delay_alu instid0(VALU_DEP_1)
	v_add3_u32 v44, v45, v44, 0x7fff
                                        ; implicit-def: $vgpr45
; %bb.2414:                             ;   in Loop: Header=BB4_2301 Depth=3
	s_and_not1_saveexec_b32 s14, s14
; %bb.2415:                             ;   in Loop: Header=BB4_2301 Depth=3
	v_and_b32_e32 v44, 0xffff, v45
	v_or_b32_e32 v91, 0x10000, v45
	s_delay_alu instid0(VALU_DEP_2) | instskip(NEXT) | instid1(VALU_DEP_2)
	v_cmp_eq_u32_e32 vcc_lo, 0, v44
	v_cndmask_b32_e32 v44, v91, v45, vcc_lo
; %bb.2416:                             ;   in Loop: Header=BB4_2301 Depth=3
	s_or_b32 exec_lo, exec_lo, s14
	v_and_b32_e32 v9, 0xffff0000, v9
	v_and_b32_e32 v45, 0xffff0000, v89
	s_delay_alu instid0(VALU_DEP_1) | instskip(NEXT) | instid1(VALU_DEP_1)
	v_add_f32_e32 v45, v45, v9
	v_and_b32_e32 v9, 0x7f800000, v45
	s_delay_alu instid0(VALU_DEP_1) | instskip(SKIP_1) | instid1(SALU_CYCLE_1)
	v_cmp_ne_u32_e32 vcc_lo, 0x7f800000, v9
                                        ; implicit-def: $vgpr9
	s_and_saveexec_b32 s14, vcc_lo
	s_xor_b32 s14, exec_lo, s14
; %bb.2417:                             ;   in Loop: Header=BB4_2301 Depth=3
	v_bfe_u32 v9, v45, 16, 1
	s_delay_alu instid0(VALU_DEP_1)
	v_add3_u32 v9, v45, v9, 0x7fff
                                        ; implicit-def: $vgpr45
; %bb.2418:                             ;   in Loop: Header=BB4_2301 Depth=3
	s_and_not1_saveexec_b32 s14, s14
; %bb.2419:                             ;   in Loop: Header=BB4_2301 Depth=3
	v_and_b32_e32 v9, 0xffff, v45
	v_or_b32_e32 v89, 0x10000, v45
	s_delay_alu instid0(VALU_DEP_2) | instskip(NEXT) | instid1(VALU_DEP_2)
	v_cmp_eq_u32_e32 vcc_lo, 0, v9
	v_cndmask_b32_e32 v9, v89, v45, vcc_lo
; %bb.2420:                             ;   in Loop: Header=BB4_2301 Depth=3
	s_or_b32 exec_lo, exec_lo, s14
	v_and_b32_e32 v45, 0xffff0000, v90
	v_lshlrev_b32_e32 v89, 16, v10
	s_delay_alu instid0(VALU_DEP_1) | instskip(NEXT) | instid1(VALU_DEP_1)
	v_add_f32_e32 v89, v45, v89
	v_and_b32_e32 v45, 0x7f800000, v89
	s_delay_alu instid0(VALU_DEP_1) | instskip(SKIP_1) | instid1(SALU_CYCLE_1)
	v_cmp_ne_u32_e32 vcc_lo, 0x7f800000, v45
                                        ; implicit-def: $vgpr45
	s_and_saveexec_b32 s14, vcc_lo
	s_xor_b32 s14, exec_lo, s14
; %bb.2421:                             ;   in Loop: Header=BB4_2301 Depth=3
	v_bfe_u32 v45, v89, 16, 1
	s_delay_alu instid0(VALU_DEP_1)
	v_add3_u32 v45, v89, v45, 0x7fff
                                        ; implicit-def: $vgpr89
; %bb.2422:                             ;   in Loop: Header=BB4_2301 Depth=3
	s_and_not1_saveexec_b32 s14, s14
; %bb.2423:                             ;   in Loop: Header=BB4_2301 Depth=3
	v_and_b32_e32 v45, 0xffff, v89
	v_or_b32_e32 v90, 0x10000, v89
	s_delay_alu instid0(VALU_DEP_2) | instskip(NEXT) | instid1(VALU_DEP_2)
	v_cmp_eq_u32_e32 vcc_lo, 0, v45
	v_cndmask_b32_e32 v45, v90, v89, vcc_lo
; %bb.2424:                             ;   in Loop: Header=BB4_2301 Depth=3
	s_or_b32 exec_lo, exec_lo, s14
	v_and_b32_e32 v10, 0xffff0000, v10
	v_and_b32_e32 v63, 0xffff0000, v63
	s_delay_alu instid0(VALU_DEP_1) | instskip(NEXT) | instid1(VALU_DEP_1)
	v_add_f32_e32 v63, v63, v10
	v_and_b32_e32 v10, 0x7f800000, v63
	s_delay_alu instid0(VALU_DEP_1) | instskip(SKIP_1) | instid1(SALU_CYCLE_1)
	v_cmp_ne_u32_e32 vcc_lo, 0x7f800000, v10
                                        ; implicit-def: $vgpr10
	s_and_saveexec_b32 s14, vcc_lo
	s_xor_b32 s14, exec_lo, s14
; %bb.2425:                             ;   in Loop: Header=BB4_2301 Depth=3
	v_bfe_u32 v10, v63, 16, 1
	s_delay_alu instid0(VALU_DEP_1)
	v_add3_u32 v10, v63, v10, 0x7fff
                                        ; implicit-def: $vgpr63
; %bb.2426:                             ;   in Loop: Header=BB4_2301 Depth=3
	s_and_not1_saveexec_b32 s14, s14
; %bb.2427:                             ;   in Loop: Header=BB4_2301 Depth=3
	v_and_b32_e32 v10, 0xffff, v63
	v_or_b32_e32 v89, 0x10000, v63
	s_delay_alu instid0(VALU_DEP_2) | instskip(NEXT) | instid1(VALU_DEP_2)
	v_cmp_eq_u32_e32 vcc_lo, 0, v10
	v_cndmask_b32_e32 v10, v89, v63, vcc_lo
; %bb.2428:                             ;   in Loop: Header=BB4_2301 Depth=3
	s_or_b32 exec_lo, exec_lo, s14
	v_and_b32_e32 v63, 0xffff0000, v88
	v_lshlrev_b32_e32 v88, 16, v11
	s_delay_alu instid0(VALU_DEP_1) | instskip(NEXT) | instid1(VALU_DEP_1)
	v_add_f32_e32 v88, v63, v88
	v_and_b32_e32 v63, 0x7f800000, v88
	s_delay_alu instid0(VALU_DEP_1) | instskip(SKIP_1) | instid1(SALU_CYCLE_1)
	v_cmp_ne_u32_e32 vcc_lo, 0x7f800000, v63
                                        ; implicit-def: $vgpr63
	s_and_saveexec_b32 s14, vcc_lo
	s_xor_b32 s14, exec_lo, s14
; %bb.2429:                             ;   in Loop: Header=BB4_2301 Depth=3
	v_bfe_u32 v63, v88, 16, 1
	s_delay_alu instid0(VALU_DEP_1)
	v_add3_u32 v63, v88, v63, 0x7fff
                                        ; implicit-def: $vgpr88
; %bb.2430:                             ;   in Loop: Header=BB4_2301 Depth=3
	s_and_not1_saveexec_b32 s14, s14
; %bb.2431:                             ;   in Loop: Header=BB4_2301 Depth=3
	v_and_b32_e32 v63, 0xffff, v88
	v_or_b32_e32 v89, 0x10000, v88
	s_delay_alu instid0(VALU_DEP_2) | instskip(NEXT) | instid1(VALU_DEP_2)
	v_cmp_eq_u32_e32 vcc_lo, 0, v63
	v_cndmask_b32_e32 v63, v89, v88, vcc_lo
; %bb.2432:                             ;   in Loop: Header=BB4_2301 Depth=3
	s_or_b32 exec_lo, exec_lo, s14
	v_and_b32_e32 v11, 0xffff0000, v11
	v_and_b32_e32 v62, 0xffff0000, v62
	s_delay_alu instid0(VALU_DEP_1) | instskip(NEXT) | instid1(VALU_DEP_1)
	v_add_f32_e32 v62, v62, v11
	v_and_b32_e32 v11, 0x7f800000, v62
	s_delay_alu instid0(VALU_DEP_1) | instskip(SKIP_1) | instid1(SALU_CYCLE_1)
	v_cmp_ne_u32_e32 vcc_lo, 0x7f800000, v11
                                        ; implicit-def: $vgpr11
	s_and_saveexec_b32 s14, vcc_lo
	s_xor_b32 s14, exec_lo, s14
; %bb.2433:                             ;   in Loop: Header=BB4_2301 Depth=3
	v_bfe_u32 v11, v62, 16, 1
	s_delay_alu instid0(VALU_DEP_1)
	v_add3_u32 v11, v62, v11, 0x7fff
                                        ; implicit-def: $vgpr62
; %bb.2434:                             ;   in Loop: Header=BB4_2301 Depth=3
	s_and_not1_saveexec_b32 s14, s14
; %bb.2435:                             ;   in Loop: Header=BB4_2301 Depth=3
	v_and_b32_e32 v11, 0xffff, v62
	v_or_b32_e32 v88, 0x10000, v62
	s_delay_alu instid0(VALU_DEP_2) | instskip(NEXT) | instid1(VALU_DEP_2)
	v_cmp_eq_u32_e32 vcc_lo, 0, v11
	v_cndmask_b32_e32 v11, v88, v62, vcc_lo
; %bb.2436:                             ;   in Loop: Header=BB4_2301 Depth=3
	s_or_b32 exec_lo, exec_lo, s14
	v_dual_lshrrev_b32 v44, 16, v44 :: v_dual_lshrrev_b32 v61, 16, v61
	v_dual_lshrrev_b32 v45, 16, v45 :: v_dual_lshrrev_b32 v62, 16, v63
	v_sub_nc_u32_e32 v58, v58, v52
	s_delay_alu instid0(VALU_DEP_3) | instskip(NEXT) | instid1(VALU_DEP_4)
	v_and_or_b32 v9, 0xffff0000, v9, v44
	v_and_or_b32 v8, 0xffff0000, v8, v61
	s_delay_alu instid0(VALU_DEP_4)
	v_and_or_b32 v10, 0xffff0000, v10, v45
	v_and_or_b32 v11, 0xffff0000, v11, v62
	global_store_b128 v[40:41], v[8:11], off th:TH_STORE_NT
	s_wait_xcnt 0x0
	v_add_nc_u64_e32 v[40:41], 0x200, v[40:41]
	scratch_store_b128 off, v[8:11], s33 offset:160
	s_wait_xcnt 0x0
	s_and_saveexec_b32 s14, s95
	s_cbranch_execz .LBB4_2300
; %bb.2437:                             ;   in Loop: Header=BB4_2301 Depth=3
	v_add_nc_u64_e32 v[42:43], v[42:43], v[84:85]
	v_add_nc_u64_e32 v[22:23], v[22:23], v[84:85]
	;; [unrolled: 1-line block ×3, first 2 shown]
	v_dual_sub_nc_u32 v13, v13, v78 :: v_dual_sub_nc_u32 v58, v58, v52
	s_branch .LBB4_2300
.LBB4_2438:                             ;   in Loop: Header=BB4_1420 Depth=2
	s_or_b32 exec_lo, exec_lo, s93
	s_delay_alu instid0(SALU_CYCLE_1)
	s_and_b32 s15, s94, exec_lo
.LBB4_2439:                             ;   in Loop: Header=BB4_1420 Depth=2
	s_or_b32 exec_lo, exec_lo, s92
	s_and_saveexec_b32 s14, s15
	s_cbranch_execz .LBB4_2505
; %bb.2440:                             ;   in Loop: Header=BB4_1420 Depth=2
	s_trap 2
	scratch_load_b128 v[8:11], off, s33 offset:192
	ds_load_b32 v13, v0
	s_wait_loadcnt_dscnt 0x0
	v_dual_lshlrev_b32 v13, 16, v13 :: v_dual_lshlrev_b32 v22, 16, v8
	s_delay_alu instid0(VALU_DEP_1) | instskip(NEXT) | instid1(VALU_DEP_1)
	v_mul_f32_e32 v22, v13, v22
	v_and_b32_e32 v23, 0x7f800000, v22
	s_delay_alu instid0(VALU_DEP_1) | instskip(SKIP_2) | instid1(SALU_CYCLE_1)
	v_cmp_ne_u32_e32 vcc_lo, 0x7f800000, v23
                                        ; implicit-def: $vgpr23
	s_wait_xcnt 0x0
	s_and_saveexec_b32 s15, vcc_lo
	s_xor_b32 s15, exec_lo, s15
; %bb.2441:                             ;   in Loop: Header=BB4_1420 Depth=2
	v_bfe_u32 v23, v22, 16, 1
	s_delay_alu instid0(VALU_DEP_1)
	v_add3_u32 v23, v22, v23, 0x7fff
                                        ; implicit-def: $vgpr22
; %bb.2442:                             ;   in Loop: Header=BB4_1420 Depth=2
	s_and_not1_saveexec_b32 s15, s15
; %bb.2443:                             ;   in Loop: Header=BB4_1420 Depth=2
	v_and_b32_e32 v23, 0xffff, v22
	v_or_b32_e32 v42, 0x10000, v22
	s_delay_alu instid0(VALU_DEP_2) | instskip(NEXT) | instid1(VALU_DEP_2)
	v_cmp_eq_u32_e32 vcc_lo, 0, v23
	v_cndmask_b32_e32 v23, v42, v22, vcc_lo
; %bb.2444:                             ;   in Loop: Header=BB4_1420 Depth=2
	s_or_b32 exec_lo, exec_lo, s15
	v_and_b32_e32 v8, 0xffff0000, v8
	s_delay_alu instid0(VALU_DEP_1) | instskip(NEXT) | instid1(VALU_DEP_1)
	v_mul_f32_e32 v8, v13, v8
	v_and_b32_e32 v22, 0x7f800000, v8
	s_delay_alu instid0(VALU_DEP_1) | instskip(SKIP_1) | instid1(SALU_CYCLE_1)
	v_cmp_ne_u32_e32 vcc_lo, 0x7f800000, v22
                                        ; implicit-def: $vgpr22
	s_and_saveexec_b32 s15, vcc_lo
	s_xor_b32 s15, exec_lo, s15
; %bb.2445:                             ;   in Loop: Header=BB4_1420 Depth=2
	v_bfe_u32 v22, v8, 16, 1
	s_delay_alu instid0(VALU_DEP_1)
	v_add3_u32 v22, v8, v22, 0x7fff
                                        ; implicit-def: $vgpr8
; %bb.2446:                             ;   in Loop: Header=BB4_1420 Depth=2
	s_and_not1_saveexec_b32 s15, s15
; %bb.2447:                             ;   in Loop: Header=BB4_1420 Depth=2
	v_and_b32_e32 v22, 0xffff, v8
	v_or_b32_e32 v42, 0x10000, v8
	s_delay_alu instid0(VALU_DEP_2) | instskip(NEXT) | instid1(VALU_DEP_2)
	v_cmp_eq_u32_e32 vcc_lo, 0, v22
	v_cndmask_b32_e32 v22, v42, v8, vcc_lo
; %bb.2448:                             ;   in Loop: Header=BB4_1420 Depth=2
	s_or_b32 exec_lo, exec_lo, s15
	v_lshlrev_b32_e32 v8, 16, v9
	s_mov_b32 s15, exec_lo
                                        ; implicit-def: $vgpr61
	s_delay_alu instid0(VALU_DEP_1) | instskip(NEXT) | instid1(VALU_DEP_1)
	v_mul_f32_e32 v8, v13, v8
	v_and_b32_e32 v42, 0x7f800000, v8
	s_delay_alu instid0(VALU_DEP_1)
	v_cmpx_ne_u32_e32 0x7f800000, v42
	s_xor_b32 s15, exec_lo, s15
; %bb.2449:                             ;   in Loop: Header=BB4_1420 Depth=2
	v_bfe_u32 v42, v8, 16, 1
	s_delay_alu instid0(VALU_DEP_1)
	v_add3_u32 v61, v8, v42, 0x7fff
                                        ; implicit-def: $vgpr8
; %bb.2450:                             ;   in Loop: Header=BB4_1420 Depth=2
	s_and_not1_saveexec_b32 s15, s15
; %bb.2451:                             ;   in Loop: Header=BB4_1420 Depth=2
	v_and_b32_e32 v42, 0xffff, v8
	v_or_b32_e32 v43, 0x10000, v8
	s_delay_alu instid0(VALU_DEP_2) | instskip(NEXT) | instid1(VALU_DEP_2)
	v_cmp_eq_u32_e32 vcc_lo, 0, v42
	v_cndmask_b32_e32 v61, v43, v8, vcc_lo
; %bb.2452:                             ;   in Loop: Header=BB4_1420 Depth=2
	s_or_b32 exec_lo, exec_lo, s15
	v_and_b32_e32 v8, 0xffff0000, v9
	s_mov_b32 s15, exec_lo
                                        ; implicit-def: $vgpr45
	s_delay_alu instid0(VALU_DEP_1) | instskip(NEXT) | instid1(VALU_DEP_1)
	v_mul_f32_e32 v8, v13, v8
	v_and_b32_e32 v9, 0x7f800000, v8
	s_delay_alu instid0(VALU_DEP_1)
	v_cmpx_ne_u32_e32 0x7f800000, v9
	s_xor_b32 s15, exec_lo, s15
; %bb.2453:                             ;   in Loop: Header=BB4_1420 Depth=2
	v_bfe_u32 v9, v8, 16, 1
	s_delay_alu instid0(VALU_DEP_1)
	v_add3_u32 v45, v8, v9, 0x7fff
                                        ; implicit-def: $vgpr8
; %bb.2454:                             ;   in Loop: Header=BB4_1420 Depth=2
	s_and_not1_saveexec_b32 s15, s15
; %bb.2455:                             ;   in Loop: Header=BB4_1420 Depth=2
	v_and_b32_e32 v9, 0xffff, v8
	v_or_b32_e32 v42, 0x10000, v8
	s_delay_alu instid0(VALU_DEP_2) | instskip(NEXT) | instid1(VALU_DEP_2)
	v_cmp_eq_u32_e32 vcc_lo, 0, v9
	v_cndmask_b32_e32 v45, v42, v8, vcc_lo
; %bb.2456:                             ;   in Loop: Header=BB4_1420 Depth=2
	s_or_b32 exec_lo, exec_lo, s15
	v_lshlrev_b32_e32 v8, 16, v10
	s_mov_b32 s15, exec_lo
                                        ; implicit-def: $vgpr59
	s_delay_alu instid0(VALU_DEP_1) | instskip(NEXT) | instid1(VALU_DEP_1)
	v_mul_f32_e32 v8, v13, v8
	v_and_b32_e32 v9, 0x7f800000, v8
	s_delay_alu instid0(VALU_DEP_1)
	v_cmpx_ne_u32_e32 0x7f800000, v9
	s_xor_b32 s15, exec_lo, s15
; %bb.2457:                             ;   in Loop: Header=BB4_1420 Depth=2
	v_bfe_u32 v9, v8, 16, 1
	s_delay_alu instid0(VALU_DEP_1)
	v_add3_u32 v59, v8, v9, 0x7fff
                                        ; implicit-def: $vgpr8
; %bb.2458:                             ;   in Loop: Header=BB4_1420 Depth=2
	s_and_not1_saveexec_b32 s15, s15
; %bb.2459:                             ;   in Loop: Header=BB4_1420 Depth=2
	v_and_b32_e32 v9, 0xffff, v8
	v_or_b32_e32 v42, 0x10000, v8
	s_delay_alu instid0(VALU_DEP_2) | instskip(NEXT) | instid1(VALU_DEP_2)
	v_cmp_eq_u32_e32 vcc_lo, 0, v9
	v_cndmask_b32_e32 v59, v42, v8, vcc_lo
; %bb.2460:                             ;   in Loop: Header=BB4_1420 Depth=2
	s_or_b32 exec_lo, exec_lo, s15
	v_and_b32_e32 v8, 0xffff0000, v10
	s_mov_b32 s15, exec_lo
                                        ; implicit-def: $vgpr43
	s_delay_alu instid0(VALU_DEP_1) | instskip(NEXT) | instid1(VALU_DEP_1)
	v_mul_f32_e32 v8, v13, v8
	v_and_b32_e32 v9, 0x7f800000, v8
	s_delay_alu instid0(VALU_DEP_1)
	v_cmpx_ne_u32_e32 0x7f800000, v9
	s_xor_b32 s15, exec_lo, s15
; %bb.2461:                             ;   in Loop: Header=BB4_1420 Depth=2
	v_bfe_u32 v9, v8, 16, 1
	s_delay_alu instid0(VALU_DEP_1)
	v_add3_u32 v43, v8, v9, 0x7fff
                                        ; implicit-def: $vgpr8
; %bb.2462:                             ;   in Loop: Header=BB4_1420 Depth=2
	s_and_not1_saveexec_b32 s15, s15
; %bb.2463:                             ;   in Loop: Header=BB4_1420 Depth=2
	v_and_b32_e32 v9, 0xffff, v8
	v_or_b32_e32 v10, 0x10000, v8
	s_delay_alu instid0(VALU_DEP_2) | instskip(NEXT) | instid1(VALU_DEP_2)
	v_cmp_eq_u32_e32 vcc_lo, 0, v9
	v_cndmask_b32_e32 v43, v10, v8, vcc_lo
; %bb.2464:                             ;   in Loop: Header=BB4_1420 Depth=2
	s_or_b32 exec_lo, exec_lo, s15
	v_lshlrev_b32_e32 v8, 16, v11
	s_mov_b32 s15, exec_lo
                                        ; implicit-def: $vgpr44
	s_delay_alu instid0(VALU_DEP_1) | instskip(NEXT) | instid1(VALU_DEP_1)
	v_mul_f32_e32 v8, v13, v8
	v_and_b32_e32 v9, 0x7f800000, v8
	s_delay_alu instid0(VALU_DEP_1)
	v_cmpx_ne_u32_e32 0x7f800000, v9
	s_xor_b32 s15, exec_lo, s15
; %bb.2465:                             ;   in Loop: Header=BB4_1420 Depth=2
	v_bfe_u32 v9, v8, 16, 1
	s_delay_alu instid0(VALU_DEP_1)
	v_add3_u32 v44, v8, v9, 0x7fff
                                        ; implicit-def: $vgpr8
; %bb.2466:                             ;   in Loop: Header=BB4_1420 Depth=2
	s_and_not1_saveexec_b32 s15, s15
; %bb.2467:                             ;   in Loop: Header=BB4_1420 Depth=2
	v_and_b32_e32 v9, 0xffff, v8
	v_or_b32_e32 v10, 0x10000, v8
	s_delay_alu instid0(VALU_DEP_2) | instskip(NEXT) | instid1(VALU_DEP_2)
	v_cmp_eq_u32_e32 vcc_lo, 0, v9
	v_cndmask_b32_e32 v44, v10, v8, vcc_lo
; %bb.2468:                             ;   in Loop: Header=BB4_1420 Depth=2
	s_or_b32 exec_lo, exec_lo, s15
	v_and_b32_e32 v8, 0xffff0000, v11
	s_mov_b32 s15, exec_lo
	s_delay_alu instid0(VALU_DEP_1) | instskip(NEXT) | instid1(VALU_DEP_1)
	v_mul_f32_e32 v8, v13, v8
                                        ; implicit-def: $vgpr13
	v_and_b32_e32 v9, 0x7f800000, v8
	s_delay_alu instid0(VALU_DEP_1)
	v_cmpx_ne_u32_e32 0x7f800000, v9
	s_xor_b32 s15, exec_lo, s15
; %bb.2469:                             ;   in Loop: Header=BB4_1420 Depth=2
	v_bfe_u32 v9, v8, 16, 1
	s_delay_alu instid0(VALU_DEP_1)
	v_add3_u32 v13, v8, v9, 0x7fff
                                        ; implicit-def: $vgpr8
; %bb.2470:                             ;   in Loop: Header=BB4_1420 Depth=2
	s_and_not1_saveexec_b32 s15, s15
; %bb.2471:                             ;   in Loop: Header=BB4_1420 Depth=2
	v_and_b32_e32 v9, 0xffff, v8
	v_or_b32_e32 v10, 0x10000, v8
	s_delay_alu instid0(VALU_DEP_2) | instskip(NEXT) | instid1(VALU_DEP_2)
	v_cmp_eq_u32_e32 vcc_lo, 0, v9
	v_cndmask_b32_e32 v13, v10, v8, vcc_lo
; %bb.2472:                             ;   in Loop: Header=BB4_1420 Depth=2
	s_or_b32 exec_lo, exec_lo, s15
	scratch_load_b128 v[8:11], off, s33 offset:208
	v_and_b32_e32 v23, 0xffff0000, v23
	s_wait_loadcnt 0x0
	v_lshlrev_b32_e32 v42, 16, v8
	s_delay_alu instid0(VALU_DEP_1) | instskip(NEXT) | instid1(VALU_DEP_1)
	v_add_f32_e32 v23, v23, v42
	v_and_b32_e32 v42, 0x7f800000, v23
	s_delay_alu instid0(VALU_DEP_1) | instskip(SKIP_2) | instid1(SALU_CYCLE_1)
	v_cmp_ne_u32_e32 vcc_lo, 0x7f800000, v42
                                        ; implicit-def: $vgpr42
	s_wait_xcnt 0x0
	s_and_saveexec_b32 s15, vcc_lo
	s_xor_b32 s15, exec_lo, s15
; %bb.2473:                             ;   in Loop: Header=BB4_1420 Depth=2
	v_bfe_u32 v42, v23, 16, 1
	s_delay_alu instid0(VALU_DEP_1)
	v_add3_u32 v42, v23, v42, 0x7fff
                                        ; implicit-def: $vgpr23
; %bb.2474:                             ;   in Loop: Header=BB4_1420 Depth=2
	s_and_not1_saveexec_b32 s15, s15
; %bb.2475:                             ;   in Loop: Header=BB4_1420 Depth=2
	v_and_b32_e32 v42, 0xffff, v23
	v_or_b32_e32 v62, 0x10000, v23
	s_delay_alu instid0(VALU_DEP_2) | instskip(NEXT) | instid1(VALU_DEP_2)
	v_cmp_eq_u32_e32 vcc_lo, 0, v42
	v_cndmask_b32_e32 v42, v62, v23, vcc_lo
; %bb.2476:                             ;   in Loop: Header=BB4_1420 Depth=2
	s_or_b32 exec_lo, exec_lo, s15
	v_and_b32_e32 v23, 0xffff0000, v8
	v_and_b32_e32 v22, 0xffff0000, v22
	s_delay_alu instid0(VALU_DEP_2) | instskip(NEXT) | instid1(VALU_DEP_1)
	v_mov_b32_e32 v8, v23
	v_pk_add_f32 v[22:23], v[8:9], v[22:23]
	s_delay_alu instid0(VALU_DEP_1) | instskip(NEXT) | instid1(VALU_DEP_1)
	v_and_b32_e32 v8, 0x7f800000, v22
	v_cmp_ne_u32_e32 vcc_lo, 0x7f800000, v8
                                        ; implicit-def: $vgpr8
	s_and_saveexec_b32 s15, vcc_lo
	s_delay_alu instid0(SALU_CYCLE_1)
	s_xor_b32 s15, exec_lo, s15
; %bb.2477:                             ;   in Loop: Header=BB4_1420 Depth=2
	v_bfe_u32 v8, v22, 16, 1
	s_delay_alu instid0(VALU_DEP_1)
	v_add3_u32 v8, v22, v8, 0x7fff
                                        ; implicit-def: $vgpr22_vgpr23
; %bb.2478:                             ;   in Loop: Header=BB4_1420 Depth=2
	s_and_not1_saveexec_b32 s15, s15
; %bb.2479:                             ;   in Loop: Header=BB4_1420 Depth=2
	v_and_b32_e32 v8, 0xffff, v22
	v_or_b32_e32 v23, 0x10000, v22
	s_delay_alu instid0(VALU_DEP_2) | instskip(NEXT) | instid1(VALU_DEP_2)
	v_cmp_eq_u32_e32 vcc_lo, 0, v8
	v_cndmask_b32_e32 v8, v23, v22, vcc_lo
; %bb.2480:                             ;   in Loop: Header=BB4_1420 Depth=2
	s_or_b32 exec_lo, exec_lo, s15
	v_and_b32_e32 v22, 0xffff0000, v61
	v_lshlrev_b32_e32 v23, 16, v9
	s_delay_alu instid0(VALU_DEP_1) | instskip(NEXT) | instid1(VALU_DEP_1)
	v_add_f32_e32 v23, v22, v23
	v_and_b32_e32 v22, 0x7f800000, v23
	s_delay_alu instid0(VALU_DEP_1) | instskip(SKIP_1) | instid1(SALU_CYCLE_1)
	v_cmp_ne_u32_e32 vcc_lo, 0x7f800000, v22
                                        ; implicit-def: $vgpr22
	s_and_saveexec_b32 s15, vcc_lo
	s_xor_b32 s15, exec_lo, s15
; %bb.2481:                             ;   in Loop: Header=BB4_1420 Depth=2
	v_bfe_u32 v22, v23, 16, 1
	s_delay_alu instid0(VALU_DEP_1)
	v_add3_u32 v22, v23, v22, 0x7fff
                                        ; implicit-def: $vgpr23
; %bb.2482:                             ;   in Loop: Header=BB4_1420 Depth=2
	s_and_not1_saveexec_b32 s15, s15
; %bb.2483:                             ;   in Loop: Header=BB4_1420 Depth=2
	v_and_b32_e32 v22, 0xffff, v23
	v_or_b32_e32 v61, 0x10000, v23
	s_delay_alu instid0(VALU_DEP_2) | instskip(NEXT) | instid1(VALU_DEP_2)
	v_cmp_eq_u32_e32 vcc_lo, 0, v22
	v_cndmask_b32_e32 v22, v61, v23, vcc_lo
; %bb.2484:                             ;   in Loop: Header=BB4_1420 Depth=2
	s_or_b32 exec_lo, exec_lo, s15
	v_and_b32_e32 v9, 0xffff0000, v9
	v_and_b32_e32 v23, 0xffff0000, v45
	s_delay_alu instid0(VALU_DEP_1) | instskip(NEXT) | instid1(VALU_DEP_1)
	v_add_f32_e32 v23, v23, v9
	v_and_b32_e32 v9, 0x7f800000, v23
	s_delay_alu instid0(VALU_DEP_1) | instskip(SKIP_1) | instid1(SALU_CYCLE_1)
	v_cmp_ne_u32_e32 vcc_lo, 0x7f800000, v9
                                        ; implicit-def: $vgpr9
	s_and_saveexec_b32 s15, vcc_lo
	s_xor_b32 s15, exec_lo, s15
; %bb.2485:                             ;   in Loop: Header=BB4_1420 Depth=2
	v_bfe_u32 v9, v23, 16, 1
	s_delay_alu instid0(VALU_DEP_1)
	v_add3_u32 v9, v23, v9, 0x7fff
                                        ; implicit-def: $vgpr23
; %bb.2486:                             ;   in Loop: Header=BB4_1420 Depth=2
	s_and_not1_saveexec_b32 s15, s15
; %bb.2487:                             ;   in Loop: Header=BB4_1420 Depth=2
	v_and_b32_e32 v9, 0xffff, v23
	v_or_b32_e32 v45, 0x10000, v23
	s_delay_alu instid0(VALU_DEP_2) | instskip(NEXT) | instid1(VALU_DEP_2)
	v_cmp_eq_u32_e32 vcc_lo, 0, v9
	v_cndmask_b32_e32 v9, v45, v23, vcc_lo
; %bb.2488:                             ;   in Loop: Header=BB4_1420 Depth=2
	s_or_b32 exec_lo, exec_lo, s15
	v_and_b32_e32 v23, 0xffff0000, v59
	v_lshlrev_b32_e32 v45, 16, v10
	s_delay_alu instid0(VALU_DEP_1) | instskip(NEXT) | instid1(VALU_DEP_1)
	v_add_f32_e32 v45, v23, v45
	v_and_b32_e32 v23, 0x7f800000, v45
	s_delay_alu instid0(VALU_DEP_1) | instskip(SKIP_1) | instid1(SALU_CYCLE_1)
	v_cmp_ne_u32_e32 vcc_lo, 0x7f800000, v23
                                        ; implicit-def: $vgpr23
	s_and_saveexec_b32 s15, vcc_lo
	s_xor_b32 s15, exec_lo, s15
; %bb.2489:                             ;   in Loop: Header=BB4_1420 Depth=2
	v_bfe_u32 v23, v45, 16, 1
	s_delay_alu instid0(VALU_DEP_1)
	v_add3_u32 v23, v45, v23, 0x7fff
                                        ; implicit-def: $vgpr45
; %bb.2490:                             ;   in Loop: Header=BB4_1420 Depth=2
	s_and_not1_saveexec_b32 s15, s15
; %bb.2491:                             ;   in Loop: Header=BB4_1420 Depth=2
	v_and_b32_e32 v23, 0xffff, v45
	v_or_b32_e32 v59, 0x10000, v45
	s_delay_alu instid0(VALU_DEP_2) | instskip(NEXT) | instid1(VALU_DEP_2)
	v_cmp_eq_u32_e32 vcc_lo, 0, v23
	v_cndmask_b32_e32 v23, v59, v45, vcc_lo
; %bb.2492:                             ;   in Loop: Header=BB4_1420 Depth=2
	s_or_b32 exec_lo, exec_lo, s15
	v_and_b32_e32 v10, 0xffff0000, v10
	v_and_b32_e32 v43, 0xffff0000, v43
	s_delay_alu instid0(VALU_DEP_1) | instskip(NEXT) | instid1(VALU_DEP_1)
	v_add_f32_e32 v43, v43, v10
	v_and_b32_e32 v10, 0x7f800000, v43
	s_delay_alu instid0(VALU_DEP_1) | instskip(SKIP_1) | instid1(SALU_CYCLE_1)
	v_cmp_ne_u32_e32 vcc_lo, 0x7f800000, v10
                                        ; implicit-def: $vgpr10
	s_and_saveexec_b32 s15, vcc_lo
	s_xor_b32 s15, exec_lo, s15
; %bb.2493:                             ;   in Loop: Header=BB4_1420 Depth=2
	v_bfe_u32 v10, v43, 16, 1
	s_delay_alu instid0(VALU_DEP_1)
	v_add3_u32 v10, v43, v10, 0x7fff
                                        ; implicit-def: $vgpr43
; %bb.2494:                             ;   in Loop: Header=BB4_1420 Depth=2
	s_and_not1_saveexec_b32 s15, s15
; %bb.2495:                             ;   in Loop: Header=BB4_1420 Depth=2
	v_and_b32_e32 v10, 0xffff, v43
	v_or_b32_e32 v45, 0x10000, v43
	s_delay_alu instid0(VALU_DEP_2) | instskip(NEXT) | instid1(VALU_DEP_2)
	v_cmp_eq_u32_e32 vcc_lo, 0, v10
	v_cndmask_b32_e32 v10, v45, v43, vcc_lo
; %bb.2496:                             ;   in Loop: Header=BB4_1420 Depth=2
	s_or_b32 exec_lo, exec_lo, s15
	v_and_b32_e32 v43, 0xffff0000, v44
	v_lshlrev_b32_e32 v44, 16, v11
	s_delay_alu instid0(VALU_DEP_1) | instskip(NEXT) | instid1(VALU_DEP_1)
	v_add_f32_e32 v44, v43, v44
	v_and_b32_e32 v43, 0x7f800000, v44
	s_delay_alu instid0(VALU_DEP_1) | instskip(SKIP_1) | instid1(SALU_CYCLE_1)
	v_cmp_ne_u32_e32 vcc_lo, 0x7f800000, v43
                                        ; implicit-def: $vgpr43
	s_and_saveexec_b32 s15, vcc_lo
	s_xor_b32 s15, exec_lo, s15
; %bb.2497:                             ;   in Loop: Header=BB4_1420 Depth=2
	v_bfe_u32 v43, v44, 16, 1
	s_delay_alu instid0(VALU_DEP_1)
	v_add3_u32 v43, v44, v43, 0x7fff
                                        ; implicit-def: $vgpr44
; %bb.2498:                             ;   in Loop: Header=BB4_1420 Depth=2
	s_and_not1_saveexec_b32 s15, s15
; %bb.2499:                             ;   in Loop: Header=BB4_1420 Depth=2
	v_and_b32_e32 v43, 0xffff, v44
	v_or_b32_e32 v45, 0x10000, v44
	s_delay_alu instid0(VALU_DEP_2) | instskip(NEXT) | instid1(VALU_DEP_2)
	v_cmp_eq_u32_e32 vcc_lo, 0, v43
	v_cndmask_b32_e32 v43, v45, v44, vcc_lo
; %bb.2500:                             ;   in Loop: Header=BB4_1420 Depth=2
	s_or_b32 exec_lo, exec_lo, s15
	v_and_b32_e32 v11, 0xffff0000, v11
	v_and_b32_e32 v13, 0xffff0000, v13
	s_delay_alu instid0(VALU_DEP_1) | instskip(NEXT) | instid1(VALU_DEP_1)
	v_add_f32_e32 v13, v13, v11
	v_and_b32_e32 v11, 0x7f800000, v13
	s_delay_alu instid0(VALU_DEP_1) | instskip(SKIP_1) | instid1(SALU_CYCLE_1)
	v_cmp_ne_u32_e32 vcc_lo, 0x7f800000, v11
                                        ; implicit-def: $vgpr11
	s_and_saveexec_b32 s15, vcc_lo
	s_xor_b32 s15, exec_lo, s15
; %bb.2501:                             ;   in Loop: Header=BB4_1420 Depth=2
	v_bfe_u32 v11, v13, 16, 1
	s_delay_alu instid0(VALU_DEP_1)
	v_add3_u32 v11, v13, v11, 0x7fff
                                        ; implicit-def: $vgpr13
; %bb.2502:                             ;   in Loop: Header=BB4_1420 Depth=2
	s_and_not1_saveexec_b32 s15, s15
; %bb.2503:                             ;   in Loop: Header=BB4_1420 Depth=2
	v_and_b32_e32 v11, 0xffff, v13
	v_or_b32_e32 v44, 0x10000, v13
	s_delay_alu instid0(VALU_DEP_2) | instskip(NEXT) | instid1(VALU_DEP_2)
	v_cmp_eq_u32_e32 vcc_lo, 0, v11
	v_cndmask_b32_e32 v11, v44, v13, vcc_lo
; %bb.2504:                             ;   in Loop: Header=BB4_1420 Depth=2
	s_or_b32 exec_lo, exec_lo, s15
	v_dual_lshrrev_b32 v13, 16, v22 :: v_dual_lshrrev_b32 v23, 16, v23
	v_dual_lshrrev_b32 v22, 16, v42 :: v_dual_lshrrev_b32 v42, 16, v43
	s_delay_alu instid0(VALU_DEP_2) | instskip(NEXT) | instid1(VALU_DEP_3)
	v_and_or_b32 v9, 0xffff0000, v9, v13
	v_and_or_b32 v10, 0xffff0000, v10, v23
	s_delay_alu instid0(VALU_DEP_3) | instskip(NEXT) | instid1(VALU_DEP_4)
	v_and_or_b32 v8, 0xffff0000, v8, v22
	v_and_or_b32 v11, 0xffff0000, v11, v42
	global_store_b128 v[40:41], v[8:11], off th:TH_STORE_NT
.LBB4_2505:                             ;   in Loop: Header=BB4_1420 Depth=2
	s_wait_xcnt 0x0
	s_or_b32 exec_lo, exec_lo, s14
	v_and_b32_e32 v9, 14, v15
	s_mov_b32 s15, s90
	s_mov_b32 s14, exec_lo
                                        ; implicit-def: $vgpr44
                                        ; implicit-def: $vgpr8
                                        ; implicit-def: $vgpr45
	s_delay_alu instid0(VALU_DEP_1) | instskip(NEXT) | instid1(VALU_DEP_1)
	v_cndmask_b32_e64 v13, v57, v9, s13
	v_cmpx_ne_u32_e32 0, v13
	s_cbranch_execz .LBB4_2507
; %bb.2506:                             ;   in Loop: Header=BB4_1420 Depth=2
	v_cmp_lt_i32_e32 vcc_lo, 0, v58
	s_or_b32 s15, s90, exec_lo
	v_dual_cndmask_b32 v8, 0, v52 :: v_dual_sub_nc_u32 v9, v57, v9
	s_delay_alu instid0(VALU_DEP_1) | instskip(NEXT) | instid1(VALU_DEP_1)
	v_dual_cndmask_b32 v9, 0, v9, s13 :: v_dual_sub_nc_u32 v8, v8, v58
	v_add3_u32 v44, v56, v46, v9
	s_delay_alu instid0(VALU_DEP_2) | instskip(NEXT) | instid1(VALU_DEP_1)
	v_lshl_add_u32 v8, v8, 5, v47
	v_ashrrev_i32_e32 v10, 31, v8
	s_delay_alu instid0(VALU_DEP_1) | instskip(NEXT) | instid1(VALU_DEP_1)
	v_lshrrev_b32_e32 v10, 27, v10
	v_add_nc_u32_e32 v10, v8, v10
	s_delay_alu instid0(VALU_DEP_1) | instskip(NEXT) | instid1(VALU_DEP_1)
	v_and_b32_e32 v10, 0xffffffe0, v10
	v_sub_nc_u32_e32 v45, v8, v10
.LBB4_2507:                             ;   in Loop: Header=BB4_1420 Depth=2
	s_or_b32 exec_lo, exec_lo, s14
	s_delay_alu instid0(SALU_CYCLE_1) | instskip(SKIP_1) | instid1(SALU_CYCLE_1)
	s_and_not1_b32 s13, s90, exec_lo
	s_and_b32 s14, s15, exec_lo
	s_or_b32 s90, s13, s14
.LBB4_2508:                             ;   in Loop: Header=BB4_1420 Depth=2
	s_or_b32 exec_lo, exec_lo, s91
	s_and_saveexec_b32 s15, s90
	s_cbranch_execz .LBB4_2652
.LBB4_2509:                             ;   in Loop: Header=BB4_1420 Depth=2
	s_delay_alu instid0(VALU_DEP_1) | instskip(SKIP_3) | instid1(VALU_DEP_3)
	v_dual_ashrrev_i32 v9, 31, v8 :: v_dual_ashrrev_i32 v10, 31, v13
	v_dual_mov_b32 v43, 0 :: v_dual_mov_b32 v42, 0
	s_wait_dscnt 0x0
	v_dual_mov_b32 v41, 0 :: v_dual_mov_b32 v40, 0
	v_lshrrev_b32_e32 v9, 27, v9
	s_mov_b32 s14, 0
	s_mov_b32 s13, exec_lo
	v_dual_mov_b32 v61, 0 :: v_dual_mov_b32 v59, 0
	s_delay_alu instid0(VALU_DEP_2) | instskip(NEXT) | instid1(VALU_DEP_1)
	v_dual_add_nc_u32 v8, v8, v9 :: v_dual_lshrrev_b32 v9, 24, v10
	v_dual_ashrrev_i32 v8, 5, v8 :: v_dual_lshlrev_b32 v10, 1, v45
	s_delay_alu instid0(VALU_DEP_1) | instskip(NEXT) | instid1(VALU_DEP_1)
	v_dual_add_nc_u32 v9, v13, v9 :: v_dual_lshlrev_b32 v11, 8, v8
	v_ashrrev_i32_e32 v15, 8, v9
	s_delay_alu instid0(VALU_DEP_2) | instskip(SKIP_1) | instid1(VALU_DEP_2)
	v_add3_u32 v22, v44, v10, v11
	v_dual_mov_b32 v11, 0 :: v_dual_mov_b32 v10, 0
	v_dual_sub_nc_u32 v46, v15, v8 :: v_dual_ashrrev_i32 v23, 31, v22
	s_delay_alu instid0(VALU_DEP_1) | instskip(NEXT) | instid1(VALU_DEP_2)
	v_add_nc_u64_e32 v[8:9], v[20:21], v[22:23]
	v_cmpx_lt_i32_e32 0, v46
	s_cbranch_execz .LBB4_2581
; %bb.2510:                             ;   in Loop: Header=BB4_1420 Depth=2
	s_trap 2
	ds_load_b64 v[40:41], v0
	v_add_nc_u64_e32 v[10:11], v[22:23], v[18:19]
	s_mov_b32 s41, 0
	s_mov_b32 s40, 0
                                        ; implicit-def: $sgpr14
                                        ; implicit-def: $vgpr92
                                        ; implicit-def: $vgpr90
                                        ; implicit-def: $vgpr88
                                        ; implicit-def: $vgpr62
                                        ; implicit-def: $vgpr47
                                        ; implicit-def: $vgpr56
                                        ; implicit-def: $vgpr57
                                        ; implicit-def: $vgpr58
	s_wait_dscnt 0x0
	v_add_nc_u64_e32 v[22:23], v[40:41], v[22:23]
	s_branch .LBB4_2512
.LBB4_2511:                             ;   in Loop: Header=BB4_2512 Depth=3
	s_or_b32 exec_lo, exec_lo, s90
	v_dual_cndmask_b32 v59, 0, v52, s41 :: v_dual_cndmask_b32 v107, 0, v99, s41
	v_add_nc_u64_e32 v[104:105], v[22:23], v[82:83]
	v_add_nc_u64_e32 v[94:95], v[10:11], v[82:83]
	v_cndmask_b32_e64 v106, 0x100, v98, s41
	s_delay_alu instid0(VALU_DEP_4)
	v_sub_nc_u32_e32 v46, v46, v59
	s_clause 0x3
	flat_store_d16_hi_b16 v[8:9], v40 th:TH_STORE_NT
	flat_store_d16_hi_b16 v[8:9], v43 offset:64 th:TH_STORE_NT
	flat_store_d16_hi_b16 v[8:9], v42 offset:128 th:TH_STORE_NT
	;; [unrolled: 1-line block ×3, first 2 shown]
	v_cndmask_b32_e64 v23, v23, v105, s41
	v_cmp_gt_i32_e32 vcc_lo, 1, v46
	s_wait_xcnt 0x0
	v_add_nc_u64_e32 v[8:9], v[8:9], v[106:107]
	v_dual_cndmask_b32 v11, v11, v95, s41 :: v_dual_cndmask_b32 v10, v10, v94, s41
	v_cndmask_b32_e64 v22, v22, v104, s41
	s_or_b32 s40, vcc_lo, s40
	s_and_not1_b32 s14, s14, exec_lo
	s_and_b32 s90, s41, exec_lo
	s_delay_alu instid0(SALU_CYCLE_1)
	s_or_b32 s14, s14, s90
	s_and_not1_b32 exec_lo, exec_lo, s40
	s_cbranch_execz .LBB4_2580
.LBB4_2512:                             ;   Parent Loop BB4_47 Depth=1
                                        ;     Parent Loop BB4_1420 Depth=2
                                        ; =>    This Inner Loop Header: Depth=3
	s_clause 0x3
	flat_load_u16 v95, v[10:11] th:TH_LOAD_NT
	flat_load_u16 v94, v[10:11] offset:64 th:TH_LOAD_NT
	flat_load_u16 v93, v[10:11] offset:128 th:TH_LOAD_NT
	;; [unrolled: 1-line block ×3, first 2 shown]
	s_clause 0x3
	flat_load_u16 v89, v[22:23] th:TH_LOAD_NT
	flat_load_u16 v63, v[22:23] offset:64 th:TH_LOAD_NT
	flat_load_u16 v61, v[22:23] offset:128 th:TH_LOAD_NT
	;; [unrolled: 1-line block ×3, first 2 shown]
	s_wait_xcnt 0x0
	s_and_saveexec_b32 s90, s41
	s_cbranch_execz .LBB4_2546
; %bb.2513:                             ;   in Loop: Header=BB4_2512 Depth=3
	s_trap 2
	ds_load_b32 v40, v0
	s_wait_dscnt 0x0
	v_lshlrev_b32_e32 v41, 16, v40
	s_delay_alu instid0(VALU_DEP_1) | instskip(NEXT) | instid1(VALU_DEP_1)
	v_dual_lshlrev_b32 v40, 16, v92 :: v_dual_mov_b32 v42, v41
	v_pk_mul_f32 v[42:43], v[42:43], v[40:41]
	s_delay_alu instid0(VALU_DEP_1) | instskip(NEXT) | instid1(VALU_DEP_1)
	v_and_b32_e32 v40, 0x7f800000, v42
	v_cmp_ne_u32_e32 vcc_lo, 0x7f800000, v40
                                        ; implicit-def: $vgpr40
	s_and_saveexec_b32 s41, vcc_lo
	s_delay_alu instid0(SALU_CYCLE_1)
	s_xor_b32 s41, exec_lo, s41
; %bb.2514:                             ;   in Loop: Header=BB4_2512 Depth=3
	v_bfe_u32 v40, v42, 16, 1
	s_delay_alu instid0(VALU_DEP_1)
	v_add3_u32 v40, v42, v40, 0x7fff
                                        ; implicit-def: $vgpr42_vgpr43
; %bb.2515:                             ;   in Loop: Header=BB4_2512 Depth=3
	s_and_not1_saveexec_b32 s41, s41
; %bb.2516:                             ;   in Loop: Header=BB4_2512 Depth=3
	v_and_b32_e32 v40, 0xffff, v42
	v_or_b32_e32 v43, 0x10000, v42
	s_delay_alu instid0(VALU_DEP_2) | instskip(NEXT) | instid1(VALU_DEP_2)
	v_cmp_eq_u32_e32 vcc_lo, 0, v40
	v_cndmask_b32_e32 v40, v43, v42, vcc_lo
; %bb.2517:                             ;   in Loop: Header=BB4_2512 Depth=3
	s_or_b32 exec_lo, exec_lo, s41
	v_lshlrev_b32_e32 v42, 16, v90
	s_delay_alu instid0(VALU_DEP_1) | instskip(NEXT) | instid1(VALU_DEP_1)
	v_mul_f32_e32 v42, v41, v42
	v_and_b32_e32 v43, 0x7f800000, v42
	s_delay_alu instid0(VALU_DEP_1) | instskip(SKIP_1) | instid1(SALU_CYCLE_1)
	v_cmp_ne_u32_e32 vcc_lo, 0x7f800000, v43
                                        ; implicit-def: $vgpr43
	s_and_saveexec_b32 s41, vcc_lo
	s_xor_b32 s41, exec_lo, s41
; %bb.2518:                             ;   in Loop: Header=BB4_2512 Depth=3
	v_bfe_u32 v43, v42, 16, 1
	s_delay_alu instid0(VALU_DEP_1)
	v_add3_u32 v43, v42, v43, 0x7fff
                                        ; implicit-def: $vgpr42
; %bb.2519:                             ;   in Loop: Header=BB4_2512 Depth=3
	s_and_not1_saveexec_b32 s41, s41
; %bb.2520:                             ;   in Loop: Header=BB4_2512 Depth=3
	v_and_b32_e32 v43, 0xffff, v42
	v_or_b32_e32 v90, 0x10000, v42
	s_delay_alu instid0(VALU_DEP_2) | instskip(NEXT) | instid1(VALU_DEP_2)
	v_cmp_eq_u32_e32 vcc_lo, 0, v43
	v_cndmask_b32_e32 v43, v90, v42, vcc_lo
; %bb.2521:                             ;   in Loop: Header=BB4_2512 Depth=3
	s_or_b32 exec_lo, exec_lo, s41
	v_lshlrev_b32_e32 v42, 16, v88
	s_delay_alu instid0(VALU_DEP_1) | instskip(NEXT) | instid1(VALU_DEP_1)
	v_mul_f32_e32 v88, v41, v42
	v_and_b32_e32 v42, 0x7f800000, v88
	s_delay_alu instid0(VALU_DEP_1) | instskip(SKIP_1) | instid1(SALU_CYCLE_1)
	v_cmp_ne_u32_e32 vcc_lo, 0x7f800000, v42
                                        ; implicit-def: $vgpr42
	s_and_saveexec_b32 s41, vcc_lo
	s_xor_b32 s41, exec_lo, s41
; %bb.2522:                             ;   in Loop: Header=BB4_2512 Depth=3
	v_bfe_u32 v42, v88, 16, 1
	s_delay_alu instid0(VALU_DEP_1)
	v_add3_u32 v42, v88, v42, 0x7fff
                                        ; implicit-def: $vgpr88
; %bb.2523:                             ;   in Loop: Header=BB4_2512 Depth=3
	s_and_not1_saveexec_b32 s41, s41
; %bb.2524:                             ;   in Loop: Header=BB4_2512 Depth=3
	v_and_b32_e32 v42, 0xffff, v88
	v_or_b32_e32 v90, 0x10000, v88
	s_delay_alu instid0(VALU_DEP_2) | instskip(NEXT) | instid1(VALU_DEP_2)
	v_cmp_eq_u32_e32 vcc_lo, 0, v42
	v_cndmask_b32_e32 v42, v90, v88, vcc_lo
; %bb.2525:                             ;   in Loop: Header=BB4_2512 Depth=3
	s_or_b32 exec_lo, exec_lo, s41
	v_lshlrev_b32_e32 v62, 16, v62
	s_delay_alu instid0(VALU_DEP_1) | instskip(NEXT) | instid1(VALU_DEP_1)
	v_mul_f32_e32 v62, v41, v62
	v_and_b32_e32 v41, 0x7f800000, v62
	s_delay_alu instid0(VALU_DEP_1) | instskip(SKIP_1) | instid1(SALU_CYCLE_1)
	v_cmp_ne_u32_e32 vcc_lo, 0x7f800000, v41
                                        ; implicit-def: $vgpr41
	s_and_saveexec_b32 s41, vcc_lo
	s_xor_b32 s41, exec_lo, s41
; %bb.2526:                             ;   in Loop: Header=BB4_2512 Depth=3
	v_bfe_u32 v41, v62, 16, 1
	s_delay_alu instid0(VALU_DEP_1)
	v_add3_u32 v41, v62, v41, 0x7fff
                                        ; implicit-def: $vgpr62
; %bb.2527:                             ;   in Loop: Header=BB4_2512 Depth=3
	s_and_not1_saveexec_b32 s41, s41
; %bb.2528:                             ;   in Loop: Header=BB4_2512 Depth=3
	v_and_b32_e32 v41, 0xffff, v62
	v_or_b32_e32 v88, 0x10000, v62
	s_delay_alu instid0(VALU_DEP_2) | instskip(NEXT) | instid1(VALU_DEP_2)
	v_cmp_eq_u32_e32 vcc_lo, 0, v41
	v_cndmask_b32_e32 v41, v88, v62, vcc_lo
; %bb.2529:                             ;   in Loop: Header=BB4_2512 Depth=3
	s_or_b32 exec_lo, exec_lo, s41
	v_and_b32_e32 v40, 0xffff0000, v40
	v_lshlrev_b32_e32 v62, 16, v47
	s_delay_alu instid0(VALU_DEP_1) | instskip(NEXT) | instid1(VALU_DEP_1)
	v_add_f32_e32 v62, v62, v40
	v_and_b32_e32 v40, 0x7f800000, v62
	s_delay_alu instid0(VALU_DEP_1) | instskip(SKIP_1) | instid1(SALU_CYCLE_1)
	v_cmp_ne_u32_e32 vcc_lo, 0x7f800000, v40
                                        ; implicit-def: $vgpr40
	s_and_saveexec_b32 s41, vcc_lo
	s_xor_b32 s41, exec_lo, s41
; %bb.2530:                             ;   in Loop: Header=BB4_2512 Depth=3
	v_bfe_u32 v40, v62, 16, 1
	s_delay_alu instid0(VALU_DEP_1)
	v_add3_u32 v40, v62, v40, 0x7fff
                                        ; implicit-def: $vgpr62
; %bb.2531:                             ;   in Loop: Header=BB4_2512 Depth=3
	s_and_not1_saveexec_b32 s41, s41
; %bb.2532:                             ;   in Loop: Header=BB4_2512 Depth=3
	v_and_b32_e32 v40, 0xffff, v62
	v_or_b32_e32 v88, 0x10000, v62
	s_delay_alu instid0(VALU_DEP_2) | instskip(NEXT) | instid1(VALU_DEP_2)
	v_cmp_eq_u32_e32 vcc_lo, 0, v40
	v_cndmask_b32_e32 v40, v88, v62, vcc_lo
; %bb.2533:                             ;   in Loop: Header=BB4_2512 Depth=3
	s_or_b32 exec_lo, exec_lo, s41
	v_and_b32_e32 v43, 0xffff0000, v43
	v_lshlrev_b32_e32 v62, 16, v56
	s_delay_alu instid0(VALU_DEP_1) | instskip(NEXT) | instid1(VALU_DEP_1)
	v_add_f32_e32 v62, v62, v43
	v_and_b32_e32 v43, 0x7f800000, v62
	s_delay_alu instid0(VALU_DEP_1) | instskip(SKIP_1) | instid1(SALU_CYCLE_1)
	v_cmp_ne_u32_e32 vcc_lo, 0x7f800000, v43
                                        ; implicit-def: $vgpr43
	s_and_saveexec_b32 s41, vcc_lo
	s_xor_b32 s41, exec_lo, s41
; %bb.2534:                             ;   in Loop: Header=BB4_2512 Depth=3
	v_bfe_u32 v43, v62, 16, 1
	s_delay_alu instid0(VALU_DEP_1)
	v_add3_u32 v43, v62, v43, 0x7fff
                                        ; implicit-def: $vgpr62
; %bb.2535:                             ;   in Loop: Header=BB4_2512 Depth=3
	s_and_not1_saveexec_b32 s41, s41
; %bb.2536:                             ;   in Loop: Header=BB4_2512 Depth=3
	v_and_b32_e32 v43, 0xffff, v62
	v_or_b32_e32 v88, 0x10000, v62
	s_delay_alu instid0(VALU_DEP_2) | instskip(NEXT) | instid1(VALU_DEP_2)
	v_cmp_eq_u32_e32 vcc_lo, 0, v43
	v_cndmask_b32_e32 v43, v88, v62, vcc_lo
; %bb.2537:                             ;   in Loop: Header=BB4_2512 Depth=3
	s_or_b32 exec_lo, exec_lo, s41
	v_and_b32_e32 v42, 0xffff0000, v42
	v_lshlrev_b32_e32 v62, 16, v57
	s_delay_alu instid0(VALU_DEP_1) | instskip(NEXT) | instid1(VALU_DEP_1)
	v_add_f32_e32 v62, v62, v42
	v_and_b32_e32 v42, 0x7f800000, v62
	s_delay_alu instid0(VALU_DEP_1) | instskip(SKIP_1) | instid1(SALU_CYCLE_1)
	v_cmp_ne_u32_e32 vcc_lo, 0x7f800000, v42
                                        ; implicit-def: $vgpr42
	s_and_saveexec_b32 s41, vcc_lo
	s_xor_b32 s41, exec_lo, s41
; %bb.2538:                             ;   in Loop: Header=BB4_2512 Depth=3
	v_bfe_u32 v42, v62, 16, 1
	s_delay_alu instid0(VALU_DEP_1)
	v_add3_u32 v42, v62, v42, 0x7fff
                                        ; implicit-def: $vgpr62
; %bb.2539:                             ;   in Loop: Header=BB4_2512 Depth=3
	s_and_not1_saveexec_b32 s41, s41
; %bb.2540:                             ;   in Loop: Header=BB4_2512 Depth=3
	v_and_b32_e32 v42, 0xffff, v62
	v_or_b32_e32 v88, 0x10000, v62
	s_delay_alu instid0(VALU_DEP_2) | instskip(NEXT) | instid1(VALU_DEP_2)
	v_cmp_eq_u32_e32 vcc_lo, 0, v42
	v_cndmask_b32_e32 v42, v88, v62, vcc_lo
; %bb.2541:                             ;   in Loop: Header=BB4_2512 Depth=3
	s_or_b32 exec_lo, exec_lo, s41
	v_and_b32_e32 v41, 0xffff0000, v41
	v_lshlrev_b32_e32 v62, 16, v58
	s_delay_alu instid0(VALU_DEP_1) | instskip(NEXT) | instid1(VALU_DEP_1)
	v_add_f32_e32 v62, v62, v41
	v_and_b32_e32 v41, 0x7f800000, v62
	s_delay_alu instid0(VALU_DEP_1) | instskip(SKIP_1) | instid1(SALU_CYCLE_1)
	v_cmp_ne_u32_e32 vcc_lo, 0x7f800000, v41
                                        ; implicit-def: $vgpr41
	s_and_saveexec_b32 s41, vcc_lo
	s_xor_b32 s41, exec_lo, s41
; %bb.2542:                             ;   in Loop: Header=BB4_2512 Depth=3
	v_bfe_u32 v41, v62, 16, 1
	s_delay_alu instid0(VALU_DEP_1)
	v_add3_u32 v41, v62, v41, 0x7fff
                                        ; implicit-def: $vgpr62
; %bb.2543:                             ;   in Loop: Header=BB4_2512 Depth=3
	s_and_not1_saveexec_b32 s41, s41
; %bb.2544:                             ;   in Loop: Header=BB4_2512 Depth=3
	v_and_b32_e32 v41, 0xffff, v62
	v_or_b32_e32 v88, 0x10000, v62
	s_delay_alu instid0(VALU_DEP_2) | instskip(NEXT) | instid1(VALU_DEP_2)
	v_cmp_eq_u32_e32 vcc_lo, 0, v41
	v_cndmask_b32_e32 v41, v88, v62, vcc_lo
; %bb.2545:                             ;   in Loop: Header=BB4_2512 Depth=3
	s_or_b32 exec_lo, exec_lo, s41
	v_dual_lshrrev_b32 v92, 16, v40 :: v_dual_lshrrev_b32 v90, 16, v43
	s_delay_alu instid0(VALU_DEP_2)
	v_dual_lshrrev_b32 v88, 16, v42 :: v_dual_lshrrev_b32 v62, 16, v41
	s_clause 0x3
	flat_store_b16 v[8:9], v92 th:TH_STORE_NT
	flat_store_b16 v[8:9], v90 offset:64 th:TH_STORE_NT
	flat_store_b16 v[8:9], v88 offset:128 th:TH_STORE_NT
	;; [unrolled: 1-line block ×3, first 2 shown]
	s_wait_xcnt 0x0
	v_add_nc_u64_e32 v[8:9], v[8:9], v[98:99]
.LBB4_2546:                             ;   in Loop: Header=BB4_2512 Depth=3
	s_or_b32 exec_lo, exec_lo, s90
	v_sub_nc_u32_e32 v46, v46, v52
	v_add_nc_u64_e32 v[10:11], v[10:11], v[98:99]
	v_add_nc_u64_e32 v[22:23], v[22:23], v[98:99]
	s_delay_alu instid0(VALU_DEP_3)
	v_cmp_lt_i32_e64 s41, 0, v46
	s_and_saveexec_b32 s90, s41
	s_cbranch_execz .LBB4_2548
; %bb.2547:                             ;   in Loop: Header=BB4_2512 Depth=3
	s_clause 0x3
	flat_load_u16 v92, v[10:11] th:TH_LOAD_NT
	flat_load_u16 v90, v[10:11] offset:64 th:TH_LOAD_NT
	flat_load_u16 v88, v[10:11] offset:128 th:TH_LOAD_NT
	;; [unrolled: 1-line block ×3, first 2 shown]
	s_clause 0x3
	flat_load_u16 v47, v[22:23] th:TH_LOAD_NT
	flat_load_u16 v56, v[22:23] offset:64 th:TH_LOAD_NT
	flat_load_u16 v57, v[22:23] offset:128 th:TH_LOAD_NT
	;; [unrolled: 1-line block ×3, first 2 shown]
	s_wait_xcnt 0x4
	v_add_nc_u64_e32 v[10:11], 0x100, v[10:11]
	s_wait_xcnt 0x0
	v_add_nc_u64_e32 v[22:23], 0x100, v[22:23]
.LBB4_2548:                             ;   in Loop: Header=BB4_2512 Depth=3
	s_or_b32 exec_lo, exec_lo, s90
	s_trap 2
	ds_load_b32 v40, v0
	s_wait_loadcnt_dscnt 0x700
	v_dual_lshlrev_b32 v41, 16, v40 :: v_dual_lshlrev_b32 v40, 16, v95
	s_delay_alu instid0(VALU_DEP_1) | instskip(NEXT) | instid1(VALU_DEP_1)
	v_mov_b32_e32 v42, v41
	v_pk_mul_f32 v[42:43], v[42:43], v[40:41]
	s_delay_alu instid0(VALU_DEP_1) | instskip(NEXT) | instid1(VALU_DEP_1)
	v_and_b32_e32 v40, 0x7f800000, v42
	v_cmp_ne_u32_e32 vcc_lo, 0x7f800000, v40
                                        ; implicit-def: $vgpr40
	s_and_saveexec_b32 s90, vcc_lo
	s_delay_alu instid0(SALU_CYCLE_1)
	s_xor_b32 s90, exec_lo, s90
; %bb.2549:                             ;   in Loop: Header=BB4_2512 Depth=3
	v_bfe_u32 v40, v42, 16, 1
	s_delay_alu instid0(VALU_DEP_1)
	v_add3_u32 v40, v42, v40, 0x7fff
                                        ; implicit-def: $vgpr42_vgpr43
; %bb.2550:                             ;   in Loop: Header=BB4_2512 Depth=3
	s_and_not1_saveexec_b32 s90, s90
; %bb.2551:                             ;   in Loop: Header=BB4_2512 Depth=3
	v_and_b32_e32 v40, 0xffff, v42
	v_or_b32_e32 v43, 0x10000, v42
	s_delay_alu instid0(VALU_DEP_2) | instskip(NEXT) | instid1(VALU_DEP_2)
	v_cmp_eq_u32_e32 vcc_lo, 0, v40
	v_cndmask_b32_e32 v40, v43, v42, vcc_lo
; %bb.2552:                             ;   in Loop: Header=BB4_2512 Depth=3
	s_or_b32 exec_lo, exec_lo, s90
	s_wait_loadcnt 0x6
	v_lshlrev_b32_e32 v42, 16, v94
	s_delay_alu instid0(VALU_DEP_1) | instskip(NEXT) | instid1(VALU_DEP_1)
	v_mul_f32_e32 v42, v41, v42
	v_and_b32_e32 v43, 0x7f800000, v42
	s_delay_alu instid0(VALU_DEP_1) | instskip(SKIP_1) | instid1(SALU_CYCLE_1)
	v_cmp_ne_u32_e32 vcc_lo, 0x7f800000, v43
                                        ; implicit-def: $vgpr43
	s_and_saveexec_b32 s90, vcc_lo
	s_xor_b32 s90, exec_lo, s90
; %bb.2553:                             ;   in Loop: Header=BB4_2512 Depth=3
	v_bfe_u32 v43, v42, 16, 1
	s_delay_alu instid0(VALU_DEP_1)
	v_add3_u32 v43, v42, v43, 0x7fff
                                        ; implicit-def: $vgpr42
; %bb.2554:                             ;   in Loop: Header=BB4_2512 Depth=3
	s_and_not1_saveexec_b32 s90, s90
; %bb.2555:                             ;   in Loop: Header=BB4_2512 Depth=3
	v_and_b32_e32 v43, 0xffff, v42
	v_or_b32_e32 v94, 0x10000, v42
	s_delay_alu instid0(VALU_DEP_2) | instskip(NEXT) | instid1(VALU_DEP_2)
	v_cmp_eq_u32_e32 vcc_lo, 0, v43
	v_cndmask_b32_e32 v43, v94, v42, vcc_lo
; %bb.2556:                             ;   in Loop: Header=BB4_2512 Depth=3
	s_or_b32 exec_lo, exec_lo, s90
	s_wait_loadcnt 0x5
	v_lshlrev_b32_e32 v42, 16, v93
	s_delay_alu instid0(VALU_DEP_1) | instskip(NEXT) | instid1(VALU_DEP_1)
	v_mul_f32_e32 v93, v41, v42
	v_and_b32_e32 v42, 0x7f800000, v93
	s_delay_alu instid0(VALU_DEP_1) | instskip(SKIP_1) | instid1(SALU_CYCLE_1)
	v_cmp_ne_u32_e32 vcc_lo, 0x7f800000, v42
                                        ; implicit-def: $vgpr42
	s_and_saveexec_b32 s90, vcc_lo
	s_xor_b32 s90, exec_lo, s90
; %bb.2557:                             ;   in Loop: Header=BB4_2512 Depth=3
	v_bfe_u32 v42, v93, 16, 1
	s_delay_alu instid0(VALU_DEP_1)
	v_add3_u32 v42, v93, v42, 0x7fff
                                        ; implicit-def: $vgpr93
; %bb.2558:                             ;   in Loop: Header=BB4_2512 Depth=3
	s_and_not1_saveexec_b32 s90, s90
; %bb.2559:                             ;   in Loop: Header=BB4_2512 Depth=3
	v_and_b32_e32 v42, 0xffff, v93
	v_or_b32_e32 v94, 0x10000, v93
	s_delay_alu instid0(VALU_DEP_2) | instskip(NEXT) | instid1(VALU_DEP_2)
	v_cmp_eq_u32_e32 vcc_lo, 0, v42
	v_cndmask_b32_e32 v42, v94, v93, vcc_lo
; %bb.2560:                             ;   in Loop: Header=BB4_2512 Depth=3
	s_or_b32 exec_lo, exec_lo, s90
	s_wait_loadcnt 0x4
	v_lshlrev_b32_e32 v91, 16, v91
	s_delay_alu instid0(VALU_DEP_1) | instskip(NEXT) | instid1(VALU_DEP_1)
	v_mul_f32_e32 v91, v41, v91
	v_and_b32_e32 v41, 0x7f800000, v91
	s_delay_alu instid0(VALU_DEP_1) | instskip(SKIP_1) | instid1(SALU_CYCLE_1)
	v_cmp_ne_u32_e32 vcc_lo, 0x7f800000, v41
                                        ; implicit-def: $vgpr41
	s_and_saveexec_b32 s90, vcc_lo
	s_xor_b32 s90, exec_lo, s90
; %bb.2561:                             ;   in Loop: Header=BB4_2512 Depth=3
	v_bfe_u32 v41, v91, 16, 1
	s_delay_alu instid0(VALU_DEP_1)
	v_add3_u32 v41, v91, v41, 0x7fff
                                        ; implicit-def: $vgpr91
; %bb.2562:                             ;   in Loop: Header=BB4_2512 Depth=3
	s_and_not1_saveexec_b32 s90, s90
; %bb.2563:                             ;   in Loop: Header=BB4_2512 Depth=3
	v_and_b32_e32 v41, 0xffff, v91
	v_or_b32_e32 v93, 0x10000, v91
	s_delay_alu instid0(VALU_DEP_2) | instskip(NEXT) | instid1(VALU_DEP_2)
	v_cmp_eq_u32_e32 vcc_lo, 0, v41
	v_cndmask_b32_e32 v41, v93, v91, vcc_lo
; %bb.2564:                             ;   in Loop: Header=BB4_2512 Depth=3
	s_or_b32 exec_lo, exec_lo, s90
	v_and_b32_e32 v40, 0xffff0000, v40
	s_wait_loadcnt 0x3
	v_lshlrev_b32_e32 v89, 16, v89
	s_delay_alu instid0(VALU_DEP_1) | instskip(NEXT) | instid1(VALU_DEP_1)
	v_add_f32_e32 v89, v89, v40
	v_and_b32_e32 v40, 0x7f800000, v89
	s_delay_alu instid0(VALU_DEP_1) | instskip(SKIP_1) | instid1(SALU_CYCLE_1)
	v_cmp_ne_u32_e32 vcc_lo, 0x7f800000, v40
                                        ; implicit-def: $vgpr40
	s_and_saveexec_b32 s90, vcc_lo
	s_xor_b32 s90, exec_lo, s90
; %bb.2565:                             ;   in Loop: Header=BB4_2512 Depth=3
	v_bfe_u32 v40, v89, 16, 1
	s_delay_alu instid0(VALU_DEP_1)
	v_add3_u32 v40, v89, v40, 0x7fff
                                        ; implicit-def: $vgpr89
; %bb.2566:                             ;   in Loop: Header=BB4_2512 Depth=3
	s_and_not1_saveexec_b32 s90, s90
; %bb.2567:                             ;   in Loop: Header=BB4_2512 Depth=3
	v_and_b32_e32 v40, 0xffff, v89
	v_or_b32_e32 v91, 0x10000, v89
	s_delay_alu instid0(VALU_DEP_2) | instskip(NEXT) | instid1(VALU_DEP_2)
	v_cmp_eq_u32_e32 vcc_lo, 0, v40
	v_cndmask_b32_e32 v40, v91, v89, vcc_lo
; %bb.2568:                             ;   in Loop: Header=BB4_2512 Depth=3
	s_or_b32 exec_lo, exec_lo, s90
	v_and_b32_e32 v43, 0xffff0000, v43
	s_wait_loadcnt 0x2
	v_lshlrev_b32_e32 v63, 16, v63
	s_delay_alu instid0(VALU_DEP_1) | instskip(NEXT) | instid1(VALU_DEP_1)
	v_add_f32_e32 v63, v63, v43
	v_and_b32_e32 v43, 0x7f800000, v63
	s_delay_alu instid0(VALU_DEP_1) | instskip(SKIP_1) | instid1(SALU_CYCLE_1)
	v_cmp_ne_u32_e32 vcc_lo, 0x7f800000, v43
                                        ; implicit-def: $vgpr43
	s_and_saveexec_b32 s90, vcc_lo
	s_xor_b32 s90, exec_lo, s90
; %bb.2569:                             ;   in Loop: Header=BB4_2512 Depth=3
	v_bfe_u32 v43, v63, 16, 1
	s_delay_alu instid0(VALU_DEP_1)
	v_add3_u32 v43, v63, v43, 0x7fff
                                        ; implicit-def: $vgpr63
; %bb.2570:                             ;   in Loop: Header=BB4_2512 Depth=3
	s_and_not1_saveexec_b32 s90, s90
; %bb.2571:                             ;   in Loop: Header=BB4_2512 Depth=3
	v_and_b32_e32 v43, 0xffff, v63
	v_or_b32_e32 v89, 0x10000, v63
	s_delay_alu instid0(VALU_DEP_2) | instskip(NEXT) | instid1(VALU_DEP_2)
	v_cmp_eq_u32_e32 vcc_lo, 0, v43
	v_cndmask_b32_e32 v43, v89, v63, vcc_lo
; %bb.2572:                             ;   in Loop: Header=BB4_2512 Depth=3
	s_or_b32 exec_lo, exec_lo, s90
	v_and_b32_e32 v42, 0xffff0000, v42
	s_wait_loadcnt 0x1
	v_lshlrev_b32_e32 v61, 16, v61
	s_delay_alu instid0(VALU_DEP_1) | instskip(NEXT) | instid1(VALU_DEP_1)
	v_add_f32_e32 v61, v61, v42
	v_and_b32_e32 v42, 0x7f800000, v61
	s_delay_alu instid0(VALU_DEP_1) | instskip(SKIP_1) | instid1(SALU_CYCLE_1)
	v_cmp_ne_u32_e32 vcc_lo, 0x7f800000, v42
                                        ; implicit-def: $vgpr42
	s_and_saveexec_b32 s90, vcc_lo
	s_xor_b32 s90, exec_lo, s90
; %bb.2573:                             ;   in Loop: Header=BB4_2512 Depth=3
	v_bfe_u32 v42, v61, 16, 1
	s_delay_alu instid0(VALU_DEP_1)
	v_add3_u32 v42, v61, v42, 0x7fff
                                        ; implicit-def: $vgpr61
; %bb.2574:                             ;   in Loop: Header=BB4_2512 Depth=3
	s_and_not1_saveexec_b32 s90, s90
; %bb.2575:                             ;   in Loop: Header=BB4_2512 Depth=3
	v_and_b32_e32 v42, 0xffff, v61
	v_or_b32_e32 v63, 0x10000, v61
	s_delay_alu instid0(VALU_DEP_2) | instskip(NEXT) | instid1(VALU_DEP_2)
	v_cmp_eq_u32_e32 vcc_lo, 0, v42
	v_cndmask_b32_e32 v42, v63, v61, vcc_lo
; %bb.2576:                             ;   in Loop: Header=BB4_2512 Depth=3
	s_or_b32 exec_lo, exec_lo, s90
	v_and_b32_e32 v41, 0xffff0000, v41
	s_wait_loadcnt 0x0
	v_lshlrev_b32_e32 v59, 16, v59
	s_delay_alu instid0(VALU_DEP_1) | instskip(NEXT) | instid1(VALU_DEP_1)
	v_add_f32_e32 v59, v59, v41
	v_and_b32_e32 v41, 0x7f800000, v59
	s_delay_alu instid0(VALU_DEP_1) | instskip(SKIP_1) | instid1(SALU_CYCLE_1)
	v_cmp_ne_u32_e32 vcc_lo, 0x7f800000, v41
                                        ; implicit-def: $vgpr41
	s_and_saveexec_b32 s90, vcc_lo
	s_xor_b32 s90, exec_lo, s90
; %bb.2577:                             ;   in Loop: Header=BB4_2512 Depth=3
	v_bfe_u32 v41, v59, 16, 1
	s_delay_alu instid0(VALU_DEP_1)
	v_add3_u32 v41, v59, v41, 0x7fff
                                        ; implicit-def: $vgpr59
; %bb.2578:                             ;   in Loop: Header=BB4_2512 Depth=3
	s_and_not1_saveexec_b32 s90, s90
	s_cbranch_execz .LBB4_2511
; %bb.2579:                             ;   in Loop: Header=BB4_2512 Depth=3
	v_and_b32_e32 v41, 0xffff, v59
	v_or_b32_e32 v61, 0x10000, v59
	s_delay_alu instid0(VALU_DEP_2) | instskip(NEXT) | instid1(VALU_DEP_2)
	v_cmp_eq_u32_e32 vcc_lo, 0, v41
	v_cndmask_b32_e32 v41, v61, v59, vcc_lo
	s_branch .LBB4_2511
.LBB4_2580:                             ;   in Loop: Header=BB4_1420 Depth=2
	s_or_b32 exec_lo, exec_lo, s40
	v_dual_lshlrev_b32 v61, 16, v92 :: v_dual_lshlrev_b32 v59, 16, v90
	v_dual_lshlrev_b32 v43, 16, v88 :: v_dual_lshlrev_b32 v42, 16, v62
	;; [unrolled: 1-line block ×4, first 2 shown]
	s_and_b32 s14, s14, exec_lo
.LBB4_2581:                             ;   in Loop: Header=BB4_1420 Depth=2
	s_or_b32 exec_lo, exec_lo, s13
	s_and_saveexec_b32 s13, s14
	s_cbranch_execz .LBB4_2615
; %bb.2582:                             ;   in Loop: Header=BB4_1420 Depth=2
	s_trap 2
	ds_load_b32 v22, v0
	s_wait_dscnt 0x0
	v_lshlrev_b32_e32 v22, 16, v22
	s_delay_alu instid0(VALU_DEP_1) | instskip(NEXT) | instid1(VALU_DEP_1)
	v_mul_f32_e32 v47, v61, v22
	v_and_b32_e32 v23, 0x7f800000, v47
	s_delay_alu instid0(VALU_DEP_1) | instskip(SKIP_1) | instid1(SALU_CYCLE_1)
	v_cmp_ne_u32_e32 vcc_lo, 0x7f800000, v23
                                        ; implicit-def: $vgpr23
	s_and_saveexec_b32 s14, vcc_lo
	s_xor_b32 s14, exec_lo, s14
; %bb.2583:                             ;   in Loop: Header=BB4_1420 Depth=2
	v_bfe_u32 v23, v47, 16, 1
	s_delay_alu instid0(VALU_DEP_1)
	v_add3_u32 v23, v47, v23, 0x7fff
                                        ; implicit-def: $vgpr47
; %bb.2584:                             ;   in Loop: Header=BB4_1420 Depth=2
	s_and_not1_saveexec_b32 s14, s14
; %bb.2585:                             ;   in Loop: Header=BB4_1420 Depth=2
	v_and_b32_e32 v23, 0xffff, v47
	v_or_b32_e32 v56, 0x10000, v47
	s_delay_alu instid0(VALU_DEP_2) | instskip(NEXT) | instid1(VALU_DEP_2)
	v_cmp_eq_u32_e32 vcc_lo, 0, v23
	v_cndmask_b32_e32 v23, v56, v47, vcc_lo
; %bb.2586:                             ;   in Loop: Header=BB4_1420 Depth=2
	s_or_b32 exec_lo, exec_lo, s14
	v_mul_f32_e32 v56, v59, v22
	s_delay_alu instid0(VALU_DEP_1) | instskip(NEXT) | instid1(VALU_DEP_1)
	v_and_b32_e32 v47, 0x7f800000, v56
	v_cmp_ne_u32_e32 vcc_lo, 0x7f800000, v47
                                        ; implicit-def: $vgpr47
	s_and_saveexec_b32 s14, vcc_lo
	s_delay_alu instid0(SALU_CYCLE_1)
	s_xor_b32 s14, exec_lo, s14
; %bb.2587:                             ;   in Loop: Header=BB4_1420 Depth=2
	v_bfe_u32 v47, v56, 16, 1
	s_delay_alu instid0(VALU_DEP_1)
	v_add3_u32 v47, v56, v47, 0x7fff
                                        ; implicit-def: $vgpr56
; %bb.2588:                             ;   in Loop: Header=BB4_1420 Depth=2
	s_and_not1_saveexec_b32 s14, s14
; %bb.2589:                             ;   in Loop: Header=BB4_1420 Depth=2
	v_and_b32_e32 v47, 0xffff, v56
	v_or_b32_e32 v57, 0x10000, v56
	s_delay_alu instid0(VALU_DEP_2) | instskip(NEXT) | instid1(VALU_DEP_2)
	v_cmp_eq_u32_e32 vcc_lo, 0, v47
	v_cndmask_b32_e32 v47, v57, v56, vcc_lo
; %bb.2590:                             ;   in Loop: Header=BB4_1420 Depth=2
	s_or_b32 exec_lo, exec_lo, s14
	v_mul_f32_e32 v56, v43, v22
	s_delay_alu instid0(VALU_DEP_1) | instskip(NEXT) | instid1(VALU_DEP_1)
	v_and_b32_e32 v43, 0x7f800000, v56
	v_cmp_ne_u32_e32 vcc_lo, 0x7f800000, v43
                                        ; implicit-def: $vgpr43
	s_and_saveexec_b32 s14, vcc_lo
	s_delay_alu instid0(SALU_CYCLE_1)
	s_xor_b32 s14, exec_lo, s14
; %bb.2591:                             ;   in Loop: Header=BB4_1420 Depth=2
	v_bfe_u32 v43, v56, 16, 1
	s_delay_alu instid0(VALU_DEP_1)
	v_add3_u32 v43, v56, v43, 0x7fff
                                        ; implicit-def: $vgpr56
; %bb.2592:                             ;   in Loop: Header=BB4_1420 Depth=2
	s_and_not1_saveexec_b32 s14, s14
; %bb.2593:                             ;   in Loop: Header=BB4_1420 Depth=2
	v_and_b32_e32 v43, 0xffff, v56
	v_or_b32_e32 v57, 0x10000, v56
	s_delay_alu instid0(VALU_DEP_2) | instskip(NEXT) | instid1(VALU_DEP_2)
	v_cmp_eq_u32_e32 vcc_lo, 0, v43
	v_cndmask_b32_e32 v43, v57, v56, vcc_lo
; %bb.2594:                             ;   in Loop: Header=BB4_1420 Depth=2
	s_or_b32 exec_lo, exec_lo, s14
	v_mul_f32_e32 v42, v42, v22
	s_delay_alu instid0(VALU_DEP_1) | instskip(NEXT) | instid1(VALU_DEP_1)
	v_and_b32_e32 v22, 0x7f800000, v42
	v_cmp_ne_u32_e32 vcc_lo, 0x7f800000, v22
                                        ; implicit-def: $vgpr22
	s_and_saveexec_b32 s14, vcc_lo
	s_delay_alu instid0(SALU_CYCLE_1)
	s_xor_b32 s14, exec_lo, s14
; %bb.2595:                             ;   in Loop: Header=BB4_1420 Depth=2
	v_bfe_u32 v22, v42, 16, 1
	s_delay_alu instid0(VALU_DEP_1)
	v_add3_u32 v22, v42, v22, 0x7fff
                                        ; implicit-def: $vgpr42
; %bb.2596:                             ;   in Loop: Header=BB4_1420 Depth=2
	s_and_not1_saveexec_b32 s14, s14
; %bb.2597:                             ;   in Loop: Header=BB4_1420 Depth=2
	v_and_b32_e32 v22, 0xffff, v42
	v_or_b32_e32 v56, 0x10000, v42
	s_delay_alu instid0(VALU_DEP_2) | instskip(NEXT) | instid1(VALU_DEP_2)
	v_cmp_eq_u32_e32 vcc_lo, 0, v22
	v_cndmask_b32_e32 v22, v56, v42, vcc_lo
; %bb.2598:                             ;   in Loop: Header=BB4_1420 Depth=2
	s_or_b32 exec_lo, exec_lo, s14
	v_and_b32_e32 v23, 0xffff0000, v23
	s_delay_alu instid0(VALU_DEP_1) | instskip(NEXT) | instid1(VALU_DEP_1)
	v_add_f32_e32 v41, v41, v23
	v_and_b32_e32 v23, 0x7f800000, v41
	s_delay_alu instid0(VALU_DEP_1) | instskip(SKIP_1) | instid1(SALU_CYCLE_1)
	v_cmp_ne_u32_e32 vcc_lo, 0x7f800000, v23
                                        ; implicit-def: $vgpr23
	s_and_saveexec_b32 s14, vcc_lo
	s_xor_b32 s14, exec_lo, s14
; %bb.2599:                             ;   in Loop: Header=BB4_1420 Depth=2
	v_bfe_u32 v23, v41, 16, 1
	s_delay_alu instid0(VALU_DEP_1)
	v_add3_u32 v23, v41, v23, 0x7fff
                                        ; implicit-def: $vgpr41
; %bb.2600:                             ;   in Loop: Header=BB4_1420 Depth=2
	s_and_not1_saveexec_b32 s14, s14
; %bb.2601:                             ;   in Loop: Header=BB4_1420 Depth=2
	v_and_b32_e32 v23, 0xffff, v41
	v_or_b32_e32 v42, 0x10000, v41
	s_delay_alu instid0(VALU_DEP_2) | instskip(NEXT) | instid1(VALU_DEP_2)
	v_cmp_eq_u32_e32 vcc_lo, 0, v23
	v_cndmask_b32_e32 v23, v42, v41, vcc_lo
; %bb.2602:                             ;   in Loop: Header=BB4_1420 Depth=2
	s_or_b32 exec_lo, exec_lo, s14
	v_and_b32_e32 v41, 0xffff0000, v47
	s_delay_alu instid0(VALU_DEP_1) | instskip(NEXT) | instid1(VALU_DEP_1)
	v_add_f32_e32 v41, v40, v41
	v_and_b32_e32 v40, 0x7f800000, v41
	s_delay_alu instid0(VALU_DEP_1) | instskip(SKIP_1) | instid1(SALU_CYCLE_1)
	v_cmp_ne_u32_e32 vcc_lo, 0x7f800000, v40
                                        ; implicit-def: $vgpr40
	s_and_saveexec_b32 s14, vcc_lo
	s_xor_b32 s14, exec_lo, s14
; %bb.2603:                             ;   in Loop: Header=BB4_1420 Depth=2
	v_bfe_u32 v40, v41, 16, 1
	s_delay_alu instid0(VALU_DEP_1)
	v_add3_u32 v40, v41, v40, 0x7fff
                                        ; implicit-def: $vgpr41
; %bb.2604:                             ;   in Loop: Header=BB4_1420 Depth=2
	s_and_not1_saveexec_b32 s14, s14
; %bb.2605:                             ;   in Loop: Header=BB4_1420 Depth=2
	v_and_b32_e32 v40, 0xffff, v41
	v_or_b32_e32 v42, 0x10000, v41
	s_delay_alu instid0(VALU_DEP_2) | instskip(NEXT) | instid1(VALU_DEP_2)
	v_cmp_eq_u32_e32 vcc_lo, 0, v40
	v_cndmask_b32_e32 v40, v42, v41, vcc_lo
; %bb.2606:                             ;   in Loop: Header=BB4_1420 Depth=2
	s_or_b32 exec_lo, exec_lo, s14
	v_and_b32_e32 v41, 0xffff0000, v43
	s_delay_alu instid0(VALU_DEP_1) | instskip(NEXT) | instid1(VALU_DEP_1)
	v_add_f32_e32 v41, v11, v41
	v_and_b32_e32 v11, 0x7f800000, v41
	s_delay_alu instid0(VALU_DEP_1) | instskip(SKIP_1) | instid1(SALU_CYCLE_1)
	v_cmp_ne_u32_e32 vcc_lo, 0x7f800000, v11
                                        ; implicit-def: $vgpr11
	s_and_saveexec_b32 s14, vcc_lo
	s_xor_b32 s14, exec_lo, s14
; %bb.2607:                             ;   in Loop: Header=BB4_1420 Depth=2
	v_bfe_u32 v11, v41, 16, 1
	s_delay_alu instid0(VALU_DEP_1)
	v_add3_u32 v11, v41, v11, 0x7fff
                                        ; implicit-def: $vgpr41
; %bb.2608:                             ;   in Loop: Header=BB4_1420 Depth=2
	s_and_not1_saveexec_b32 s14, s14
; %bb.2609:                             ;   in Loop: Header=BB4_1420 Depth=2
	v_and_b32_e32 v11, 0xffff, v41
	v_or_b32_e32 v42, 0x10000, v41
	s_delay_alu instid0(VALU_DEP_2) | instskip(NEXT) | instid1(VALU_DEP_2)
	v_cmp_eq_u32_e32 vcc_lo, 0, v11
	v_cndmask_b32_e32 v11, v42, v41, vcc_lo
; %bb.2610:                             ;   in Loop: Header=BB4_1420 Depth=2
	s_or_b32 exec_lo, exec_lo, s14
	v_and_b32_e32 v22, 0xffff0000, v22
	s_delay_alu instid0(VALU_DEP_1) | instskip(NEXT) | instid1(VALU_DEP_1)
	v_add_f32_e32 v10, v10, v22
	v_and_b32_e32 v22, 0x7f800000, v10
	s_delay_alu instid0(VALU_DEP_1) | instskip(SKIP_1) | instid1(SALU_CYCLE_1)
	v_cmp_ne_u32_e32 vcc_lo, 0x7f800000, v22
                                        ; implicit-def: $vgpr22
	s_and_saveexec_b32 s14, vcc_lo
	s_xor_b32 s14, exec_lo, s14
; %bb.2611:                             ;   in Loop: Header=BB4_1420 Depth=2
	v_bfe_u32 v22, v10, 16, 1
	s_delay_alu instid0(VALU_DEP_1)
	v_add3_u32 v22, v10, v22, 0x7fff
                                        ; implicit-def: $vgpr10
; %bb.2612:                             ;   in Loop: Header=BB4_1420 Depth=2
	s_and_not1_saveexec_b32 s14, s14
; %bb.2613:                             ;   in Loop: Header=BB4_1420 Depth=2
	v_and_b32_e32 v22, 0xffff, v10
	v_or_b32_e32 v41, 0x10000, v10
	s_delay_alu instid0(VALU_DEP_2) | instskip(NEXT) | instid1(VALU_DEP_2)
	v_cmp_eq_u32_e32 vcc_lo, 0, v22
	v_cndmask_b32_e32 v22, v41, v10, vcc_lo
; %bb.2614:                             ;   in Loop: Header=BB4_1420 Depth=2
	s_or_b32 exec_lo, exec_lo, s14
	s_clause 0x3
	flat_store_d16_hi_b16 v[8:9], v23 th:TH_STORE_NT
	flat_store_d16_hi_b16 v[8:9], v40 offset:64 th:TH_STORE_NT
	flat_store_d16_hi_b16 v[8:9], v11 offset:128 th:TH_STORE_NT
	;; [unrolled: 1-line block ×3, first 2 shown]
.LBB4_2615:                             ;   in Loop: Header=BB4_1420 Depth=2
	s_wait_xcnt 0x0
	s_or_b32 exec_lo, exec_lo, s13
	v_lshlrev_b32_e32 v8, 8, v15
	s_delay_alu instid0(VALU_DEP_1)
	v_cmp_ne_u32_e32 vcc_lo, v13, v8
	s_and_b32 exec_lo, exec_lo, vcc_lo
	s_cbranch_execz .LBB4_2652
; %bb.2616:                             ;   in Loop: Header=BB4_1420 Depth=2
	v_lshlrev_b32_e32 v9, 5, v46
	s_delay_alu instid0(VALU_DEP_1) | instskip(NEXT) | instid1(VALU_DEP_1)
	v_sub_nc_u32_e32 v9, v45, v9
	v_ashrrev_i32_e32 v10, 31, v9
	s_delay_alu instid0(VALU_DEP_1) | instskip(NEXT) | instid1(VALU_DEP_1)
	v_lshrrev_b32_e32 v10, 27, v10
	v_add_nc_u32_e32 v10, v9, v10
	s_delay_alu instid0(VALU_DEP_1) | instskip(NEXT) | instid1(VALU_DEP_1)
	v_and_b32_e32 v11, 0x7fffffe0, v10
	v_sub_nc_u32_e32 v9, v9, v11
	s_delay_alu instid0(VALU_DEP_1) | instskip(NEXT) | instid1(VALU_DEP_1)
	v_dual_lshlrev_b32 v9, 1, v9 :: v_dual_lshlrev_b32 v10, 1, v10
	v_and_b32_e32 v10, 0xffffffc0, v10
	s_delay_alu instid0(VALU_DEP_1) | instskip(NEXT) | instid1(VALU_DEP_1)
	v_add3_u32 v8, v10, v9, v8
	v_sub_nc_u32_e32 v13, v13, v8
	s_delay_alu instid0(VALU_DEP_1)
	v_cmp_lt_i32_e32 vcc_lo, 1, v13
	s_and_b32 exec_lo, exec_lo, vcc_lo
	s_cbranch_execz .LBB4_2652
; %bb.2617:                             ;   in Loop: Header=BB4_1420 Depth=2
	s_trap 2
	ds_load_b64 v[10:11], v0
	v_add_nc_u32_e32 v22, v8, v44
	s_mov_b32 s92, 0
	s_mov_b32 s90, 0
                                        ; implicit-def: $sgpr91
	s_delay_alu instid0(VALU_DEP_1) | instskip(NEXT) | instid1(VALU_DEP_1)
	v_ashrrev_i32_e32 v23, 31, v22
	v_add_nc_u64_e32 v[8:9], v[20:21], v[22:23]
	v_add_nc_u64_e32 v[18:19], v[22:23], v[18:19]
	s_wait_dscnt 0x0
	v_add_nc_u64_e32 v[10:11], v[10:11], v[22:23]
	s_branch .LBB4_2619
.LBB4_2618:                             ;   in Loop: Header=BB4_2619 Depth=3
	s_or_b32 exec_lo, exec_lo, s13
	v_dual_cndmask_b32 v40, 0, v79, s92 :: v_dual_cndmask_b32 v22, 64, v102, s92
	s_delay_alu instid0(VALU_DEP_2) | instskip(SKIP_1) | instid1(VALU_DEP_3)
	v_lshrrev_b32_e32 v15, 16, v15
	v_add_nc_u64_e32 v[20:21], v[10:11], v[86:87]
	v_dual_cndmask_b32 v23, 0, v103, s92 :: v_dual_sub_nc_u32 v13, v13, v40
	v_add_nc_u64_e32 v[40:41], v[18:19], v[86:87]
	flat_store_b16 v[8:9], v15 th:TH_STORE_NT
	scratch_store_b16 off, v15, s33 offset:160
	v_cndmask_b32_e64 v11, v11, v21, s92
	v_cmp_gt_i32_e32 vcc_lo, 2, v13
	s_wait_xcnt 0x1
	v_add_nc_u64_e32 v[8:9], v[8:9], v[22:23]
	v_dual_cndmask_b32 v10, v10, v20, s92 :: v_dual_cndmask_b32 v19, v19, v41, s92
	v_cndmask_b32_e64 v18, v18, v40, s92
	s_or_b32 s90, vcc_lo, s90
	s_and_not1_b32 s13, s91, exec_lo
	s_and_b32 s14, s92, exec_lo
	s_delay_alu instid0(SALU_CYCLE_1)
	s_or_b32 s91, s13, s14
	s_wait_xcnt 0x0
	s_and_not1_b32 exec_lo, exec_lo, s90
	s_cbranch_execz .LBB4_2642
.LBB4_2619:                             ;   Parent Loop BB4_47 Depth=1
                                        ;     Parent Loop BB4_1420 Depth=2
                                        ; =>    This Loop Header: Depth=3
                                        ;         Child Loop BB4_2620 Depth 4
                                        ;         Child Loop BB4_2633 Depth 4
	s_add_co_i32 s13, s33, 0xa0
	s_mov_b64 s[40:41], 0
	s_mov_b32 s93, s13
	s_mov_b32 s94, -1
.LBB4_2620:                             ;   Parent Loop BB4_47 Depth=1
                                        ;     Parent Loop BB4_1420 Depth=2
                                        ;       Parent Loop BB4_2619 Depth=3
                                        ; =>      This Inner Loop Header: Depth=4
	s_cmp_eq_u32 s40, 1
	s_cselect_b32 vcc_lo, -1, 0
	s_cmp_eq_u32 s40, 0
	v_dual_cndmask_b32 v21, v19, v11 :: v_dual_cndmask_b32 v20, v18, v10
	s_cselect_b32 s13, -1, 0
	s_and_b32 s14, exec_lo, s94
	s_mov_b64 s[40:41], 1
	s_mov_b32 s94, 0
	flat_load_u16 v15, v[20:21] th:TH_LOAD_NT
	s_wait_xcnt 0x0
	v_add_nc_u64_e32 v[20:21], 64, v[20:21]
	s_delay_alu instid0(VALU_DEP_1)
	v_dual_cndmask_b32 v11, v11, v21 :: v_dual_cndmask_b32 v10, v10, v20
	v_dual_cndmask_b32 v19, v19, v21, s13 :: v_dual_cndmask_b32 v18, v18, v20, s13
	s_add_co_i32 s13, s33, 0xc0
	s_mov_b32 vcc_lo, s14
	s_wait_loadcnt_dscnt 0x0
	scratch_store_b16 off, v15, s93
	s_wait_xcnt 0x0
	s_mov_b32 s93, s13
	s_cbranch_vccnz .LBB4_2620
; %bb.2621:                             ;   in Loop: Header=BB4_2619 Depth=3
	s_and_saveexec_b32 s13, s92
	s_cbranch_execz .LBB4_2631
; %bb.2622:                             ;   in Loop: Header=BB4_2619 Depth=3
	s_trap 2
	scratch_load_u16 v15, off, s33 offset:148
	ds_load_b32 v20, v0
	s_wait_loadcnt_dscnt 0x0
	v_dual_lshlrev_b32 v20, 16, v20 :: v_dual_lshlrev_b32 v15, 16, v15
	s_delay_alu instid0(VALU_DEP_1) | instskip(NEXT) | instid1(VALU_DEP_1)
	v_mul_f32_e32 v15, v20, v15
	v_and_b32_e32 v20, 0x7f800000, v15
	s_delay_alu instid0(VALU_DEP_1) | instskip(SKIP_2) | instid1(SALU_CYCLE_1)
	v_cmp_ne_u32_e32 vcc_lo, 0x7f800000, v20
                                        ; implicit-def: $vgpr20
	s_wait_xcnt 0x0
	s_and_saveexec_b32 s14, vcc_lo
	s_xor_b32 s14, exec_lo, s14
; %bb.2623:                             ;   in Loop: Header=BB4_2619 Depth=3
	v_bfe_u32 v20, v15, 16, 1
	s_delay_alu instid0(VALU_DEP_1)
	v_add3_u32 v20, v15, v20, 0x7fff
                                        ; implicit-def: $vgpr15
; %bb.2624:                             ;   in Loop: Header=BB4_2619 Depth=3
	s_and_not1_saveexec_b32 s14, s14
; %bb.2625:                             ;   in Loop: Header=BB4_2619 Depth=3
	v_and_b32_e32 v20, 0xffff, v15
	v_or_b32_e32 v21, 0x10000, v15
	s_delay_alu instid0(VALU_DEP_2) | instskip(NEXT) | instid1(VALU_DEP_2)
	v_cmp_eq_u32_e32 vcc_lo, 0, v20
	v_cndmask_b32_e32 v20, v21, v15, vcc_lo
; %bb.2626:                             ;   in Loop: Header=BB4_2619 Depth=3
	s_or_b32 exec_lo, exec_lo, s14
	scratch_load_u16 v15, off, s33 offset:150
	v_and_b32_e32 v20, 0xffff0000, v20
	s_wait_loadcnt 0x0
	v_lshlrev_b32_e32 v15, 16, v15
	s_delay_alu instid0(VALU_DEP_1) | instskip(NEXT) | instid1(VALU_DEP_1)
	v_add_f32_e32 v15, v20, v15
	v_and_b32_e32 v20, 0x7f800000, v15
	s_delay_alu instid0(VALU_DEP_1) | instskip(SKIP_2) | instid1(SALU_CYCLE_1)
	v_cmp_ne_u32_e32 vcc_lo, 0x7f800000, v20
                                        ; implicit-def: $vgpr20
	s_wait_xcnt 0x0
	s_and_saveexec_b32 s14, vcc_lo
	s_xor_b32 s14, exec_lo, s14
; %bb.2627:                             ;   in Loop: Header=BB4_2619 Depth=3
	v_bfe_u32 v20, v15, 16, 1
	s_delay_alu instid0(VALU_DEP_1)
	v_add3_u32 v20, v15, v20, 0x7fff
                                        ; implicit-def: $vgpr15
; %bb.2628:                             ;   in Loop: Header=BB4_2619 Depth=3
	s_and_not1_saveexec_b32 s14, s14
; %bb.2629:                             ;   in Loop: Header=BB4_2619 Depth=3
	v_and_b32_e32 v20, 0xffff, v15
	v_or_b32_e32 v21, 0x10000, v15
	s_delay_alu instid0(VALU_DEP_2) | instskip(NEXT) | instid1(VALU_DEP_2)
	v_cmp_eq_u32_e32 vcc_lo, 0, v20
	v_cndmask_b32_e32 v20, v21, v15, vcc_lo
; %bb.2630:                             ;   in Loop: Header=BB4_2619 Depth=3
	s_or_b32 exec_lo, exec_lo, s14
	s_delay_alu instid0(VALU_DEP_1)
	v_lshrrev_b32_e32 v15, 16, v20
	flat_store_b16 v[8:9], v15 th:TH_STORE_NT
	s_wait_xcnt 0x0
	v_add_nc_u64_e32 v[8:9], v[8:9], v[102:103]
	scratch_store_b16 off, v15, s33 offset:148
.LBB4_2631:                             ;   in Loop: Header=BB4_2619 Depth=3
	s_wait_xcnt 0x0
	s_or_b32 exec_lo, exec_lo, s13
	v_sub_nc_u32_e32 v13, v13, v79
	v_add_nc_u64_e32 v[18:19], v[18:19], v[86:87]
	v_add_nc_u64_e32 v[10:11], v[10:11], v[86:87]
	s_delay_alu instid0(VALU_DEP_3)
	v_cmp_lt_i32_e64 s92, 1, v13
	s_and_saveexec_b32 s93, s92
	s_cbranch_execz .LBB4_2634
; %bb.2632:                             ;   in Loop: Header=BB4_2619 Depth=3
	s_add_co_i32 s13, s33, 0x94
	s_mov_b64 s[40:41], 0
	s_mov_b32 s94, s13
	s_mov_b32 s95, -1
.LBB4_2633:                             ;   Parent Loop BB4_47 Depth=1
                                        ;     Parent Loop BB4_1420 Depth=2
                                        ;       Parent Loop BB4_2619 Depth=3
                                        ; =>      This Inner Loop Header: Depth=4
	s_cmp_eq_u32 s40, 1
	s_cselect_b32 vcc_lo, -1, 0
	s_cmp_eq_u32 s40, 0
	v_dual_cndmask_b32 v21, v19, v11 :: v_dual_cndmask_b32 v20, v18, v10
	s_cselect_b32 s13, -1, 0
	s_and_b32 s14, exec_lo, s95
	s_mov_b64 s[40:41], 1
	s_mov_b32 s95, 0
	flat_load_u16 v15, v[20:21] th:TH_LOAD_NT
	s_wait_xcnt 0x0
	v_add_nc_u64_e32 v[20:21], 64, v[20:21]
	s_delay_alu instid0(VALU_DEP_1)
	v_dual_cndmask_b32 v19, v19, v21, s13 :: v_dual_cndmask_b32 v18, v18, v20, s13
	v_dual_cndmask_b32 v11, v11, v21 :: v_dual_cndmask_b32 v10, v10, v20
	s_add_co_i32 s13, s33, 0x96
	s_mov_b32 vcc_lo, s14
	s_wait_loadcnt_dscnt 0x0
	scratch_store_b16 off, v15, s94
	s_wait_xcnt 0x0
	s_mov_b32 s94, s13
	s_cbranch_vccnz .LBB4_2633
.LBB4_2634:                             ;   in Loop: Header=BB4_2619 Depth=3
	s_or_b32 exec_lo, exec_lo, s93
	s_trap 2
	scratch_load_u16 v15, off, s33 offset:160
	ds_load_b32 v20, v0
	s_wait_loadcnt_dscnt 0x0
	v_dual_lshlrev_b32 v20, 16, v20 :: v_dual_lshlrev_b32 v15, 16, v15
	s_delay_alu instid0(VALU_DEP_1) | instskip(NEXT) | instid1(VALU_DEP_1)
	v_mul_f32_e32 v15, v20, v15
	v_and_b32_e32 v20, 0x7f800000, v15
	s_delay_alu instid0(VALU_DEP_1) | instskip(SKIP_2) | instid1(SALU_CYCLE_1)
	v_cmp_ne_u32_e32 vcc_lo, 0x7f800000, v20
                                        ; implicit-def: $vgpr20
	s_wait_xcnt 0x0
	s_and_saveexec_b32 s13, vcc_lo
	s_xor_b32 s13, exec_lo, s13
; %bb.2635:                             ;   in Loop: Header=BB4_2619 Depth=3
	v_bfe_u32 v20, v15, 16, 1
	s_delay_alu instid0(VALU_DEP_1)
	v_add3_u32 v20, v15, v20, 0x7fff
                                        ; implicit-def: $vgpr15
; %bb.2636:                             ;   in Loop: Header=BB4_2619 Depth=3
	s_and_not1_saveexec_b32 s13, s13
; %bb.2637:                             ;   in Loop: Header=BB4_2619 Depth=3
	v_and_b32_e32 v20, 0xffff, v15
	v_or_b32_e32 v21, 0x10000, v15
	s_delay_alu instid0(VALU_DEP_2) | instskip(NEXT) | instid1(VALU_DEP_2)
	v_cmp_eq_u32_e32 vcc_lo, 0, v20
	v_cndmask_b32_e32 v20, v21, v15, vcc_lo
; %bb.2638:                             ;   in Loop: Header=BB4_2619 Depth=3
	s_or_b32 exec_lo, exec_lo, s13
	scratch_load_u16 v15, off, s33 offset:192
	v_and_b32_e32 v20, 0xffff0000, v20
	s_wait_loadcnt 0x0
	v_lshlrev_b32_e32 v15, 16, v15
	s_delay_alu instid0(VALU_DEP_1) | instskip(NEXT) | instid1(VALU_DEP_1)
	v_add_f32_e32 v20, v20, v15
	v_and_b32_e32 v15, 0x7f800000, v20
	s_delay_alu instid0(VALU_DEP_1) | instskip(SKIP_2) | instid1(SALU_CYCLE_1)
	v_cmp_ne_u32_e32 vcc_lo, 0x7f800000, v15
                                        ; implicit-def: $vgpr15
	s_wait_xcnt 0x0
	s_and_saveexec_b32 s13, vcc_lo
	s_xor_b32 s13, exec_lo, s13
; %bb.2639:                             ;   in Loop: Header=BB4_2619 Depth=3
	v_bfe_u32 v15, v20, 16, 1
	s_delay_alu instid0(VALU_DEP_1)
	v_add3_u32 v15, v20, v15, 0x7fff
                                        ; implicit-def: $vgpr20
; %bb.2640:                             ;   in Loop: Header=BB4_2619 Depth=3
	s_and_not1_saveexec_b32 s13, s13
	s_cbranch_execz .LBB4_2618
; %bb.2641:                             ;   in Loop: Header=BB4_2619 Depth=3
	v_and_b32_e32 v15, 0xffff, v20
	v_or_b32_e32 v21, 0x10000, v20
	s_delay_alu instid0(VALU_DEP_2) | instskip(NEXT) | instid1(VALU_DEP_2)
	v_cmp_eq_u32_e32 vcc_lo, 0, v15
	v_cndmask_b32_e32 v15, v21, v20, vcc_lo
	s_branch .LBB4_2618
.LBB4_2642:                             ;   in Loop: Header=BB4_1420 Depth=2
	s_or_b32 exec_lo, exec_lo, s90
	s_delay_alu instid0(SALU_CYCLE_1)
	s_and_b32 exec_lo, exec_lo, s91
	s_cbranch_execz .LBB4_2652
; %bb.2643:                             ;   in Loop: Header=BB4_1420 Depth=2
	s_trap 2
	scratch_load_u16 v10, off, s33 offset:148
	ds_load_b32 v11, v0
	s_wait_loadcnt_dscnt 0x0
	v_dual_lshlrev_b32 v11, 16, v11 :: v_dual_lshlrev_b32 v10, 16, v10
	s_delay_alu instid0(VALU_DEP_1) | instskip(NEXT) | instid1(VALU_DEP_1)
	v_mul_f32_e32 v10, v11, v10
	v_and_b32_e32 v11, 0x7f800000, v10
	s_delay_alu instid0(VALU_DEP_1) | instskip(SKIP_2) | instid1(SALU_CYCLE_1)
	v_cmp_ne_u32_e32 vcc_lo, 0x7f800000, v11
                                        ; implicit-def: $vgpr11
	s_wait_xcnt 0x0
	s_and_saveexec_b32 s13, vcc_lo
	s_xor_b32 s13, exec_lo, s13
; %bb.2644:                             ;   in Loop: Header=BB4_1420 Depth=2
	v_bfe_u32 v11, v10, 16, 1
	s_delay_alu instid0(VALU_DEP_1)
	v_add3_u32 v11, v10, v11, 0x7fff
                                        ; implicit-def: $vgpr10
; %bb.2645:                             ;   in Loop: Header=BB4_1420 Depth=2
	s_and_not1_saveexec_b32 s13, s13
; %bb.2646:                             ;   in Loop: Header=BB4_1420 Depth=2
	v_and_b32_e32 v11, 0xffff, v10
	v_or_b32_e32 v13, 0x10000, v10
	s_delay_alu instid0(VALU_DEP_2) | instskip(NEXT) | instid1(VALU_DEP_2)
	v_cmp_eq_u32_e32 vcc_lo, 0, v11
	v_cndmask_b32_e32 v11, v13, v10, vcc_lo
; %bb.2647:                             ;   in Loop: Header=BB4_1420 Depth=2
	s_or_b32 exec_lo, exec_lo, s13
	scratch_load_u16 v10, off, s33 offset:150
	v_and_b32_e32 v11, 0xffff0000, v11
	s_wait_loadcnt 0x0
	v_lshlrev_b32_e32 v10, 16, v10
	s_delay_alu instid0(VALU_DEP_1) | instskip(NEXT) | instid1(VALU_DEP_1)
	v_add_f32_e32 v10, v11, v10
	v_and_b32_e32 v11, 0x7f800000, v10
	s_delay_alu instid0(VALU_DEP_1) | instskip(SKIP_2) | instid1(SALU_CYCLE_1)
	v_cmp_ne_u32_e32 vcc_lo, 0x7f800000, v11
                                        ; implicit-def: $vgpr11
	s_wait_xcnt 0x0
	s_and_saveexec_b32 s13, vcc_lo
	s_xor_b32 s13, exec_lo, s13
; %bb.2648:                             ;   in Loop: Header=BB4_1420 Depth=2
	v_bfe_u32 v11, v10, 16, 1
	s_delay_alu instid0(VALU_DEP_1)
	v_add3_u32 v11, v10, v11, 0x7fff
                                        ; implicit-def: $vgpr10
; %bb.2649:                             ;   in Loop: Header=BB4_1420 Depth=2
	s_and_not1_saveexec_b32 s13, s13
; %bb.2650:                             ;   in Loop: Header=BB4_1420 Depth=2
	v_and_b32_e32 v11, 0xffff, v10
	v_or_b32_e32 v13, 0x10000, v10
	s_delay_alu instid0(VALU_DEP_2) | instskip(NEXT) | instid1(VALU_DEP_2)
	v_cmp_eq_u32_e32 vcc_lo, 0, v11
	v_cndmask_b32_e32 v11, v13, v10, vcc_lo
; %bb.2651:                             ;   in Loop: Header=BB4_1420 Depth=2
	s_or_b32 exec_lo, exec_lo, s13
	flat_store_d16_hi_b16 v[8:9], v11 th:TH_STORE_NT
.LBB4_2652:                             ;   in Loop: Header=BB4_1420 Depth=2
	s_wait_xcnt 0x0
	s_or_b32 exec_lo, exec_lo, s15
	v_cmp_lt_i32_e64 s13, 0, v2
	s_and_saveexec_b32 s14, s2
	s_cbranch_execz .LBB4_2671
.LBB4_2653:                             ;   in Loop: Header=BB4_1420 Depth=2
	s_and_saveexec_b32 s15, s3
	s_delay_alu instid0(SALU_CYCLE_1)
	s_xor_b32 s15, exec_lo, s15
	s_cbranch_execz .LBB4_2668
; %bb.2654:                             ;   in Loop: Header=BB4_1420 Depth=2
	s_and_saveexec_b32 s40, s6
	s_cbranch_execz .LBB4_2667
; %bb.2655:                             ;   in Loop: Header=BB4_1420 Depth=2
	s_mov_b32 s90, exec_lo
	s_mov_b32 s41, exec_lo
	v_mbcnt_lo_u32_b32 v2, s90, 0
	global_wb scope:SCOPE_DEV
	s_wait_storecnt 0x0
	s_wait_loadcnt_dscnt 0x0
	global_inv scope:SCOPE_DEV
	v_cmpx_eq_u32_e32 0, v2
	s_cbranch_execz .LBB4_2657
; %bb.2656:                             ;   in Loop: Header=BB4_1420 Depth=2
	s_bcnt1_i32_b32 s90, s90
	s_delay_alu instid0(SALU_CYCLE_1)
	v_mov_b32_e32 v2, s90
	s_wait_loadcnt 0x0
	ds_add_u64 v0, v[2:3]
	s_trap 2
.LBB4_2657:                             ;   in Loop: Header=BB4_1420 Depth=2
	s_or_b32 exec_lo, exec_lo, s41
	s_trap 2
	ds_load_b64 v[8:9], v0
	s_wait_dscnt 0x0
	v_add_nc_u64_e32 v[48:49], v[48:49], v[52:53]
	s_mov_b32 s41, exec_lo
	s_delay_alu instid0(VALU_DEP_1)
	v_cmpx_lt_u64_e64 v[8:9], v[48:49]
	s_cbranch_execz .LBB4_2666
; %bb.2658:                             ;   in Loop: Header=BB4_1420 Depth=2
	s_mov_b32 s90, 0
	s_mov_b32 s93, 0
                                        ; implicit-def: $sgpr91
                                        ; implicit-def: $sgpr92
	s_branch .LBB4_2660
.LBB4_2659:                             ;   in Loop: Header=BB4_2660 Depth=3
	s_or_b32 exec_lo, exec_lo, s95
	s_delay_alu instid0(SALU_CYCLE_1) | instskip(NEXT) | instid1(SALU_CYCLE_1)
	s_and_b32 s94, exec_lo, vcc_lo
	s_or_b32 s90, s94, s90
	s_and_not1_b32 s91, s91, exec_lo
	s_and_b32 s94, s92, exec_lo
	s_delay_alu instid0(SALU_CYCLE_1)
	s_or_b32 s91, s91, s94
	s_and_not1_b32 exec_lo, exec_lo, s90
	s_cbranch_execz .LBB4_2664
.LBB4_2660:                             ;   Parent Loop BB4_47 Depth=1
                                        ;     Parent Loop BB4_1420 Depth=2
                                        ; =>    This Inner Loop Header: Depth=3
	s_add_co_i32 s93, s93, 1
	s_delay_alu instid0(SALU_CYCLE_1) | instskip(SKIP_1) | instid1(SALU_CYCLE_1)
	s_cmp_lg_u32 s93, 0x2710
	s_cselect_b32 s94, -1, 0
	s_and_b32 vcc_lo, exec_lo, s94
	s_cbranch_vccz .LBB4_2662
; %bb.2661:                             ;   in Loop: Header=BB4_2660 Depth=3
	s_mov_b32 vcc_lo, -1
	s_or_b32 s92, s92, exec_lo
	s_and_saveexec_b32 s95, s94
	s_cbranch_execz .LBB4_2659
	s_branch .LBB4_2663
.LBB4_2662:                             ;   in Loop: Header=BB4_2660 Depth=3
	s_trap 2
	ds_load_b64 v[8:9], v0
	s_and_not1_b32 s94, s94, exec_lo
	s_mov_b32 s93, 0
	s_wait_loadcnt_dscnt 0x0
	flat_load_b32 v2, v[8:9] scope:SCOPE_SYS
	s_wait_loadcnt_dscnt 0x0
	global_inv scope:SCOPE_SYS
	v_cmp_eq_u32_e32 vcc_lo, 0, v2
	s_and_b32 s95, vcc_lo, exec_lo
	s_delay_alu instid0(SALU_CYCLE_1)
	s_or_b32 s94, s94, s95
	s_mov_b32 vcc_lo, -1
	s_or_b32 s92, s92, exec_lo
	s_and_saveexec_b32 s95, s94
	s_cbranch_execz .LBB4_2659
.LBB4_2663:                             ;   in Loop: Header=BB4_2660 Depth=3
	s_sleep 1
	s_trap 2
	ds_load_b64 v[8:9], v0
	s_wait_dscnt 0x0
	s_and_not1_b32 s92, s92, exec_lo
	v_cmp_ge_u64_e32 vcc_lo, v[8:9], v[48:49]
	s_or_not1_b32 vcc_lo, vcc_lo, exec_lo
	s_branch .LBB4_2659
.LBB4_2664:                             ;   in Loop: Header=BB4_1420 Depth=2
	s_or_b32 exec_lo, exec_lo, s90
	s_and_saveexec_b32 s90, s91
	s_delay_alu instid0(SALU_CYCLE_1)
	s_xor_b32 s90, exec_lo, s90
	s_cbranch_execz .LBB4_2666
; %bb.2665:                             ;   in Loop: Header=BB4_1420 Depth=2
	ds_store_b32 v0, v75
	s_trap 2
.LBB4_2666:                             ;   in Loop: Header=BB4_1420 Depth=2
	s_or_b32 exec_lo, exec_lo, s41
	;;#ASMSTART
	s_wakeup
	;;#ASMEND
.LBB4_2667:                             ;   in Loop: Header=BB4_1420 Depth=2
	s_or_b32 exec_lo, exec_lo, s40
.LBB4_2668:                             ;   in Loop: Header=BB4_1420 Depth=2
	s_and_not1_saveexec_b32 s15, s15
	s_cbranch_execz .LBB4_2670
; %bb.2669:                             ;   in Loop: Header=BB4_1420 Depth=2
	global_wb scope:SCOPE_DEV
	s_wait_storecnt 0x0
	s_wait_loadcnt_dscnt 0x0
	global_inv scope:SCOPE_DEV
	s_barrier_signal -1
	s_barrier_wait -1
.LBB4_2670:                             ;   in Loop: Header=BB4_1420 Depth=2
	s_or_b32 exec_lo, exec_lo, s15
.LBB4_2671:                             ;   in Loop: Header=BB4_1420 Depth=2
	s_delay_alu instid0(SALU_CYCLE_1) | instskip(SKIP_2) | instid1(SALU_CYCLE_1)
	s_or_b32 exec_lo, exec_lo, s14
	v_and_b32_e32 v8, 16, v30
	s_and_saveexec_b32 s14, s12
	s_xor_b32 s14, exec_lo, s14
	s_cbranch_execz .LBB4_2675
; %bb.2672:                             ;   in Loop: Header=BB4_1420 Depth=2
	v_and_b32_e32 v2, 16, v30
	v_and_b32_e32 v8, 16, v30
	s_delay_alu instid0(VALU_DEP_2) | instskip(SKIP_1) | instid1(SALU_CYCLE_1)
	v_cmp_ne_u32_e32 vcc_lo, 0, v2
	s_and_b32 s15, vcc_lo, s13
	s_and_saveexec_b32 s13, s15
	s_cbranch_execz .LBB4_2674
; %bb.2673:                             ;   in Loop: Header=BB4_1420 Depth=2
	v_mov_b32_e32 v8, 1
	global_wb scope:SCOPE_SYS
	s_wait_storecnt 0x0
	s_wait_loadcnt_dscnt 0x0
	global_inv scope:SCOPE_SYS
.LBB4_2674:                             ;   in Loop: Header=BB4_1420 Depth=2
	s_or_b32 exec_lo, exec_lo, s13
.LBB4_2675:                             ;   in Loop: Header=BB4_1420 Depth=2
	s_and_not1_saveexec_b32 s13, s14
	s_cbranch_execz .LBB4_2694
; %bb.2676:                             ;   in Loop: Header=BB4_1420 Depth=2
	s_and_saveexec_b32 s14, s3
	s_delay_alu instid0(SALU_CYCLE_1)
	s_xor_b32 s14, exec_lo, s14
	s_cbranch_execz .LBB4_2691
; %bb.2677:                             ;   in Loop: Header=BB4_1420 Depth=2
	s_and_saveexec_b32 s15, s6
	s_cbranch_execz .LBB4_2690
; %bb.2678:                             ;   in Loop: Header=BB4_1420 Depth=2
	s_mov_b32 s41, exec_lo
	s_mov_b32 s40, exec_lo
	v_mbcnt_lo_u32_b32 v2, s41, 0
	;;#ASMSTART
	s_waitcnt lgkmcnt(0) vmcnt(0)
	;;#ASMEND
	s_delay_alu instid0(VALU_DEP_1)
	v_cmpx_eq_u32_e32 0, v2
	s_cbranch_execz .LBB4_2680
; %bb.2679:                             ;   in Loop: Header=BB4_1420 Depth=2
	s_bcnt1_i32_b32 s41, s41
	s_delay_alu instid0(SALU_CYCLE_1)
	v_mov_b32_e32 v2, s41
	s_wait_storecnt 0x0
	s_wait_loadcnt_dscnt 0x0
	ds_add_u64 v0, v[2:3]
	s_trap 2
.LBB4_2680:                             ;   in Loop: Header=BB4_1420 Depth=2
	s_or_b32 exec_lo, exec_lo, s40
	s_trap 2
	ds_load_b64 v[10:11], v0
	s_wait_dscnt 0x0
	v_add_nc_u64_e32 v[48:49], v[48:49], v[52:53]
	s_mov_b32 s40, exec_lo
	s_delay_alu instid0(VALU_DEP_1)
	v_cmpx_lt_u64_e64 v[10:11], v[48:49]
	s_cbranch_execz .LBB4_2689
; %bb.2681:                             ;   in Loop: Header=BB4_1420 Depth=2
	s_mov_b32 s41, 0
	s_mov_b32 s92, 0
                                        ; implicit-def: $sgpr90
                                        ; implicit-def: $sgpr91
	s_branch .LBB4_2683
.LBB4_2682:                             ;   in Loop: Header=BB4_2683 Depth=3
	s_or_b32 exec_lo, exec_lo, s94
	s_delay_alu instid0(SALU_CYCLE_1) | instskip(NEXT) | instid1(SALU_CYCLE_1)
	s_and_b32 s93, exec_lo, s95
	s_or_b32 s41, s93, s41
	s_and_not1_b32 s90, s90, exec_lo
	s_and_b32 s93, s91, exec_lo
	s_delay_alu instid0(SALU_CYCLE_1)
	s_or_b32 s90, s90, s93
	s_and_not1_b32 exec_lo, exec_lo, s41
	s_cbranch_execz .LBB4_2687
.LBB4_2683:                             ;   Parent Loop BB4_47 Depth=1
                                        ;     Parent Loop BB4_1420 Depth=2
                                        ; =>    This Inner Loop Header: Depth=3
	s_add_co_i32 s92, s92, 1
	s_delay_alu instid0(SALU_CYCLE_1) | instskip(SKIP_1) | instid1(SALU_CYCLE_1)
	s_cmp_lg_u32 s92, 0x2710
	s_cselect_b32 s93, -1, 0
	s_and_b32 vcc_lo, exec_lo, s93
	s_cbranch_vccz .LBB4_2685
; %bb.2684:                             ;   in Loop: Header=BB4_2683 Depth=3
	s_mov_b32 s95, -1
	s_or_b32 s91, s91, exec_lo
	s_and_saveexec_b32 s94, s93
	s_cbranch_execz .LBB4_2682
	s_branch .LBB4_2686
.LBB4_2685:                             ;   in Loop: Header=BB4_2683 Depth=3
	s_trap 2
	ds_load_b64 v[10:11], v0
	s_and_not1_b32 s93, s93, exec_lo
	s_mov_b32 s92, 0
	s_wait_storecnt 0x0
	s_wait_loadcnt_dscnt 0x0
	flat_load_b32 v2, v[10:11] scope:SCOPE_SYS
	s_wait_loadcnt_dscnt 0x0
	global_inv scope:SCOPE_SYS
	v_cmp_eq_u32_e32 vcc_lo, 0, v2
	s_and_b32 s94, vcc_lo, exec_lo
	s_delay_alu instid0(SALU_CYCLE_1)
	s_or_b32 s93, s93, s94
	s_mov_b32 s95, -1
	s_or_b32 s91, s91, exec_lo
	s_and_saveexec_b32 s94, s93
	s_cbranch_execz .LBB4_2682
.LBB4_2686:                             ;   in Loop: Header=BB4_2683 Depth=3
	s_sleep 1
	s_trap 2
	ds_load_b64 v[10:11], v0
	s_wait_dscnt 0x0
	s_and_not1_b32 s91, s91, exec_lo
	v_cmp_ge_u64_e32 vcc_lo, v[10:11], v[48:49]
	s_or_not1_b32 s95, vcc_lo, exec_lo
	s_branch .LBB4_2682
.LBB4_2687:                             ;   in Loop: Header=BB4_1420 Depth=2
	s_or_b32 exec_lo, exec_lo, s41
	s_and_saveexec_b32 s41, s90
	s_delay_alu instid0(SALU_CYCLE_1)
	s_xor_b32 s41, exec_lo, s41
	s_cbranch_execz .LBB4_2689
; %bb.2688:                             ;   in Loop: Header=BB4_1420 Depth=2
	ds_store_b32 v0, v75
	s_trap 2
.LBB4_2689:                             ;   in Loop: Header=BB4_1420 Depth=2
	s_or_b32 exec_lo, exec_lo, s40
	;;#ASMSTART
	s_wakeup
	;;#ASMEND
.LBB4_2690:                             ;   in Loop: Header=BB4_1420 Depth=2
	s_or_b32 exec_lo, exec_lo, s15
.LBB4_2691:                             ;   in Loop: Header=BB4_1420 Depth=2
	s_and_not1_saveexec_b32 s14, s14
	s_cbranch_execz .LBB4_2693
; %bb.2692:                             ;   in Loop: Header=BB4_1420 Depth=2
	;;#ASMSTART
	s_waitcnt lgkmcnt(0) vmcnt(0)
	;;#ASMEND
	s_barrier_signal -1
	s_barrier_wait -1
.LBB4_2693:                             ;   in Loop: Header=BB4_1420 Depth=2
	s_or_b32 exec_lo, exec_lo, s14
.LBB4_2694:                             ;   in Loop: Header=BB4_1420 Depth=2
	s_delay_alu instid0(SALU_CYCLE_1) | instskip(SKIP_2) | instid1(SALU_CYCLE_1)
	s_or_b32 exec_lo, exec_lo, s13
	v_cmp_ne_u32_e32 vcc_lo, 0, v8
	s_xor_b32 s13, s4, -1
	s_and_b32 s14, vcc_lo, s13
	s_delay_alu instid0(SALU_CYCLE_1)
	s_and_saveexec_b32 s13, s14
	s_cbranch_execz .LBB4_2696
; %bb.2695:                             ;   in Loop: Header=BB4_1420 Depth=2
	global_wb scope:SCOPE_SYS
	s_wait_storecnt 0x0
	s_wait_loadcnt_dscnt 0x0
	flat_store_b32 v[38:39], v75 scope:SCOPE_SYS
.LBB4_2696:                             ;   in Loop: Header=BB4_1420 Depth=2
	s_wait_xcnt 0x0
	s_or_b32 exec_lo, exec_lo, s13
	v_and_b32_e32 v2, 48, v30
	s_mov_b32 s13, exec_lo
	s_delay_alu instid0(VALU_DEP_1)
	v_cmpx_ne_u32_e32 0, v2
	s_cbranch_execz .LBB4_1419
; %bb.2697:                             ;   in Loop: Header=BB4_1420 Depth=2
	v_add_nc_u64_e32 v[114:115], 2, v[114:115]
	global_wb scope:SCOPE_SYS
	s_wait_storecnt 0x0
	s_wait_loadcnt_dscnt 0x0
	flat_store_b64 v[32:33], v[114:115] scope:SCOPE_SYS
	s_branch .LBB4_1419
.LBB4_2698:                             ;   in Loop: Header=BB4_47 Depth=1
	s_or_b32 exec_lo, exec_lo, s27
.LBB4_2699:                             ;   in Loop: Header=BB4_47 Depth=1
	s_delay_alu instid0(SALU_CYCLE_1) | instskip(NEXT) | instid1(SALU_CYCLE_1)
	s_or_b32 exec_lo, exec_lo, s18
	s_mov_b32 s14, exec_lo
	v_cmpx_gt_i32_e32 2, v2
	s_cbranch_execz .LBB4_2775
; %bb.2700:                             ;   in Loop: Header=BB4_47 Depth=1
	v_cmp_eq_u32_e64 s18, 0, v2
	s_mov_b32 s15, 0
	s_branch .LBB4_2702
.LBB4_2701:                             ;   in Loop: Header=BB4_2702 Depth=2
	s_wait_xcnt 0x0
	s_or_b32 exec_lo, exec_lo, s13
	v_add_nc_u32_e32 v14, v12, v14
	s_mov_b32 s18, 0
	s_and_not1_b32 exec_lo, exec_lo, s15
	s_cbranch_execz .LBB4_2774
.LBB4_2702:                             ;   Parent Loop BB4_47 Depth=1
                                        ; =>  This Loop Header: Depth=2
                                        ;       Child Loop BB4_2708 Depth 3
                                        ;       Child Loop BB4_2736 Depth 3
	;; [unrolled: 1-line block ×3, first 2 shown]
	s_delay_alu instid0(VALU_DEP_1) | instskip(SKIP_2) | instid1(VALU_DEP_2)
	v_sub_nc_u32_e32 v2, v60, v14
	v_and_b32_e32 v8, 12, v30
	s_mov_b32 s27, exec_lo
	v_min_i32_e32 v12, v12, v2
	s_delay_alu instid0(VALU_DEP_2)
	v_cmpx_ne_u32_e32 0, v8
	s_cbranch_execz .LBB4_2728
; %bb.2703:                             ;   in Loop: Header=BB4_2702 Depth=2
	v_and_b32_e32 v2, 8, v30
	v_add_nc_u64_e32 v[8:9], 2, v[114:115]
	s_mov_b32 s40, exec_lo
	s_wait_loadcnt_dscnt 0x1
	s_delay_alu instid0(VALU_DEP_2) | instskip(NEXT) | instid1(VALU_DEP_1)
	v_add_nc_u64_e32 v[10:11], v[50:51], v[2:3]
	v_cmpx_lt_u64_e64 v[10:11], v[8:9]
	s_cbranch_execz .LBB4_2715
; %bb.2704:                             ;   in Loop: Header=BB4_2702 Depth=2
	v_and_b32_e32 v10, 64, v30
	s_mov_b32 s41, 0
	s_mov_b32 s91, 0
                                        ; implicit-def: $sgpr88
                                        ; implicit-def: $sgpr89
                                        ; implicit-def: $sgpr90
	s_delay_alu instid0(VALU_DEP_1)
	v_cmp_eq_u32_e32 vcc_lo, 0, v10
	s_branch .LBB4_2708
.LBB4_2705:                             ;   in Loop: Header=BB4_2708 Depth=3
	s_wait_loadcnt_dscnt 0x0
	v_add_nc_u64_e32 v[16:17], v[50:51], v[2:3]
	s_or_b32 s94, s94, exec_lo
	s_delay_alu instid0(VALU_DEP_1)
	v_cmp_ge_u64_e64 s13, v[16:17], v[8:9]
	s_or_not1_b32 s93, s13, exec_lo
.LBB4_2706:                             ;   in Loop: Header=BB4_2708 Depth=3
	s_or_b32 exec_lo, exec_lo, vcc_hi
	s_delay_alu instid0(SALU_CYCLE_1)
	s_and_not1_b32 s13, s90, exec_lo
	s_and_b32 s90, s94, exec_lo
	s_and_not1_b32 s89, s89, exec_lo
	s_and_b32 s93, s93, exec_lo
	s_or_b32 s90, s13, s90
	s_or_b32 s89, s89, s93
.LBB4_2707:                             ;   in Loop: Header=BB4_2708 Depth=3
	s_or_b32 exec_lo, exec_lo, s92
	s_delay_alu instid0(SALU_CYCLE_1) | instskip(NEXT) | instid1(SALU_CYCLE_1)
	s_and_b32 s13, exec_lo, s89
	s_or_b32 s41, s13, s41
	s_and_not1_b32 s13, s88, exec_lo
	s_and_b32 s88, s90, exec_lo
	s_delay_alu instid0(SALU_CYCLE_1)
	s_or_b32 s88, s13, s88
	s_and_not1_b32 exec_lo, exec_lo, s41
	s_cbranch_execz .LBB4_2712
.LBB4_2708:                             ;   Parent Loop BB4_47 Depth=1
                                        ;     Parent Loop BB4_2702 Depth=2
                                        ; =>    This Inner Loop Header: Depth=3
	s_sleep 1
	s_wait_loadcnt_dscnt 0x0
	flat_load_b64 v[50:51], v[32:33] scope:SCOPE_SYS
	s_or_b32 s90, s90, exec_lo
	s_or_b32 s89, s89, exec_lo
                                        ; implicit-def: $vgpr10
	s_wait_xcnt 0x0
	s_and_saveexec_b32 s92, vcc_lo
	s_cbranch_execz .LBB4_2707
; %bb.2709:                             ;   in Loop: Header=BB4_2708 Depth=3
	s_cmp_lt_i32 s91, 0x270f
	s_mov_b32 s93, -1
	s_cselect_b32 s95, -1, 0
	s_cmp_gt_i32 s91, 0x270e
	s_cbranch_scc0 .LBB4_2711
; %bb.2710:                             ;   in Loop: Header=BB4_2708 Depth=3
	s_trap 2
	ds_load_b64 v[10:11], v0
	s_and_not1_b32 s91, s95, exec_lo
	s_mov_b32 s94, 0
	s_wait_storecnt 0x0
	s_wait_loadcnt_dscnt 0x0
	flat_load_b32 v10, v[10:11] scope:SCOPE_SYS
	s_wait_loadcnt_dscnt 0x0
	global_inv scope:SCOPE_SYS
	v_cmp_eq_u32_e64 s13, 0, v10
	s_and_b32 s13, s13, exec_lo
	s_delay_alu instid0(SALU_CYCLE_1)
	s_or_b32 s95, s91, s13
	s_mov_b32 s91, 0
	s_and_saveexec_b32 vcc_hi, s95
	s_cbranch_execz .LBB4_2706
	s_branch .LBB4_2705
.LBB4_2711:                             ;   in Loop: Header=BB4_2708 Depth=3
	s_add_co_i32 s91, s91, 1
	s_mov_b32 s94, -1
                                        ; implicit-def: $vgpr10
	s_and_saveexec_b32 vcc_hi, s95
	s_cbranch_execz .LBB4_2706
	s_branch .LBB4_2705
.LBB4_2712:                             ;   in Loop: Header=BB4_2702 Depth=2
	s_or_b32 exec_lo, exec_lo, s41
	s_xor_b32 s13, s88, -1
	s_delay_alu instid0(SALU_CYCLE_1) | instskip(NEXT) | instid1(SALU_CYCLE_1)
	s_and_saveexec_b32 s41, s13
	s_xor_b32 s13, exec_lo, s41
	s_cbranch_execz .LBB4_2714
; %bb.2713:                             ;   in Loop: Header=BB4_2702 Depth=2
	v_or_b32_e32 v30, 64, v30
	s_wait_storecnt 0x0
	s_wait_loadcnt_dscnt 0x0
	ds_store_b32 v0, v10
	s_trap 2
.LBB4_2714:                             ;   in Loop: Header=BB4_2702 Depth=2
	s_or_b32 exec_lo, exec_lo, s13
.LBB4_2715:                             ;   in Loop: Header=BB4_2702 Depth=2
	s_delay_alu instid0(SALU_CYCLE_1) | instskip(SKIP_2) | instid1(VALU_DEP_1)
	s_or_b32 exec_lo, exec_lo, s40
	v_and_b32_e32 v10, 0x108, v30
	;;#ASMSTART
	s_wakeup
	;;#ASMEND
	v_cmp_ne_u32_e32 vcc_lo, 0x108, v10
                                        ; implicit-def: $vgpr10_vgpr11
	s_and_saveexec_b32 s13, vcc_lo
	s_delay_alu instid0(SALU_CYCLE_1)
	s_xor_b32 s13, exec_lo, s13
; %bb.2716:                             ;   in Loop: Header=BB4_2702 Depth=2
	v_dual_mov_b32 v11, v3 :: v_dual_bitop2_b32 v10, 7, v114 bitop3:0x40
                                        ; implicit-def: $vgpr114_vgpr115
; %bb.2717:                             ;   in Loop: Header=BB4_2702 Depth=2
	s_and_not1_saveexec_b32 s13, s13
	s_cbranch_execz .LBB4_2719
; %bb.2718:                             ;   in Loop: Header=BB4_2702 Depth=2
	v_dual_ashrrev_i32 v13, 31, v12 :: v_dual_bitop2_b32 v10, 7, v114 bitop3:0x40
	v_mov_b32_e32 v11, v3
	s_delay_alu instid0(VALU_DEP_2) | instskip(NEXT) | instid1(VALU_DEP_3)
	v_mad_nc_u64_u32 v[16:17], v10, 24, v[6:7]
	v_lshlrev_b64_e32 v[18:19], 1, v[12:13]
	flat_store_b64 v[16:17], v[18:19] offset:8
.LBB4_2719:                             ;   in Loop: Header=BB4_2702 Depth=2
	s_wait_xcnt 0x0
	s_or_b32 exec_lo, exec_lo, s13
	v_and_b32_e32 v13, 0x100, v30
	s_mov_b32 s13, -1
	s_mov_b32 s40, exec_lo
                                        ; implicit-def: $vgpr16_vgpr17
	s_delay_alu instid0(VALU_DEP_1)
	v_cmpx_ne_u32_e32 0, v13
	s_cbranch_execz .LBB4_2723
; %bb.2720:                             ;   in Loop: Header=BB4_2702 Depth=2
	v_mad_nc_u64_u32 v[18:19], v10, 24, v[6:7]
	s_mov_b32 s41, exec_lo
                                        ; implicit-def: $vgpr16_vgpr17
	s_delay_alu instid0(VALU_DEP_1)
	v_mad_u32 v19, v11, 24, v19
	flat_load_b32 v13, v[18:19]
	s_wait_loadcnt_dscnt 0x0
	v_cmp_ne_u32_e32 vcc_lo, 1, v13
	s_wait_xcnt 0x0
	v_cmpx_eq_u32_e32 1, v13
	s_cbranch_execz .LBB4_2722
; %bb.2721:                             ;   in Loop: Header=BB4_2702 Depth=2
	flat_load_b32 v16, v[18:19] offset:4 scope:SCOPE_SYS
	s_wait_loadcnt_dscnt 0x0
	v_ashrrev_i32_e32 v17, 31, v16
	s_delay_alu instid0(VALU_DEP_1)
	v_lshrrev_b64 v[16:17], 1, v[16:17]
.LBB4_2722:                             ;   in Loop: Header=BB4_2702 Depth=2
	s_wait_xcnt 0x0
	s_or_b32 exec_lo, exec_lo, s41
	s_delay_alu instid0(SALU_CYCLE_1)
	s_or_not1_b32 s13, vcc_lo, exec_lo
.LBB4_2723:                             ;   in Loop: Header=BB4_2702 Depth=2
	s_or_b32 exec_lo, exec_lo, s40
	s_and_saveexec_b32 s40, s13
; %bb.2724:                             ;   in Loop: Header=BB4_2702 Depth=2
	v_mul_u64_e32 v[16:17], v[10:11], v[34:35]
; %bb.2725:                             ;   in Loop: Header=BB4_2702 Depth=2
	s_or_b32 exec_lo, exec_lo, s40
	v_cmp_eq_u32_e32 vcc_lo, 0, v2
	v_and_b32_e32 v13, 0x2000, v30
	s_delay_alu instid0(VALU_DEP_3) | instskip(SKIP_2) | instid1(VALU_DEP_1)
	v_lshl_add_u64 v[10:11], v[16:17], 1, v[36:37]
	s_mov_b32 s13, exec_lo
	v_cndmask_b32_e32 v2, 0xd0, v76, vcc_lo
	v_add_nc_u32_e32 v2, v0, v2
	ds_store_b64 v2, v[10:11] offset:584
	v_cmpx_ne_u32_e32 0, v13
	s_cbranch_execz .LBB4_2727
; %bb.2726:                             ;   in Loop: Header=BB4_2702 Depth=2
	ds_load_b64 v[10:11], v0 offset:872
	s_wait_dscnt 0x0
	v_add_nc_u64_e32 v[10:11], 1, v[10:11]
	ds_store_b64 v0, v[10:11] offset:872
.LBB4_2727:                             ;   in Loop: Header=BB4_2702 Depth=2
	s_or_b32 exec_lo, exec_lo, s13
	v_mov_b64_e32 v[114:115], v[8:9]
.LBB4_2728:                             ;   in Loop: Header=BB4_2702 Depth=2
	s_or_b32 exec_lo, exec_lo, s27
	s_xor_b32 s13, s18, -1
	s_delay_alu instid0(SALU_CYCLE_1) | instskip(NEXT) | instid1(SALU_CYCLE_1)
	s_and_b32 s13, exec_lo, s13
	s_or_b32 s15, s13, s15
	s_and_saveexec_b32 s13, s2
	s_cbranch_execz .LBB4_2747
; %bb.2729:                             ;   in Loop: Header=BB4_2702 Depth=2
	s_and_saveexec_b32 s18, s3
	s_delay_alu instid0(SALU_CYCLE_1)
	s_xor_b32 s18, exec_lo, s18
	s_cbranch_execz .LBB4_2744
; %bb.2730:                             ;   in Loop: Header=BB4_2702 Depth=2
	s_and_saveexec_b32 s27, s6
	s_cbranch_execz .LBB4_2743
; %bb.2731:                             ;   in Loop: Header=BB4_2702 Depth=2
	s_mov_b32 s41, exec_lo
	s_mov_b32 s40, exec_lo
	v_mbcnt_lo_u32_b32 v2, s41, 0
	global_wb scope:SCOPE_DEV
	s_wait_storecnt 0x0
	s_wait_loadcnt_dscnt 0x0
	global_inv scope:SCOPE_DEV
	v_cmpx_eq_u32_e32 0, v2
	s_cbranch_execz .LBB4_2733
; %bb.2732:                             ;   in Loop: Header=BB4_2702 Depth=2
	s_bcnt1_i32_b32 s41, s41
	s_delay_alu instid0(SALU_CYCLE_1)
	v_mov_b32_e32 v2, s41
	s_wait_loadcnt 0x0
	ds_add_u64 v0, v[2:3]
	s_trap 2
.LBB4_2733:                             ;   in Loop: Header=BB4_2702 Depth=2
	s_or_b32 exec_lo, exec_lo, s40
	s_trap 2
	ds_load_b64 v[8:9], v0
	s_wait_dscnt 0x0
	v_add_nc_u64_e32 v[48:49], v[48:49], v[52:53]
	s_mov_b32 s40, exec_lo
	s_delay_alu instid0(VALU_DEP_1)
	v_cmpx_lt_u64_e64 v[8:9], v[48:49]
	s_cbranch_execz .LBB4_2742
; %bb.2734:                             ;   in Loop: Header=BB4_2702 Depth=2
	s_mov_b32 s41, 0
	s_mov_b32 s90, 0
                                        ; implicit-def: $sgpr88
                                        ; implicit-def: $sgpr89
	s_branch .LBB4_2736
.LBB4_2735:                             ;   in Loop: Header=BB4_2736 Depth=3
	s_or_b32 exec_lo, exec_lo, s92
	s_delay_alu instid0(SALU_CYCLE_1) | instskip(NEXT) | instid1(SALU_CYCLE_1)
	s_and_b32 s91, exec_lo, s93
	s_or_b32 s41, s91, s41
	s_and_not1_b32 s88, s88, exec_lo
	s_and_b32 s91, s89, exec_lo
	s_delay_alu instid0(SALU_CYCLE_1)
	s_or_b32 s88, s88, s91
	s_and_not1_b32 exec_lo, exec_lo, s41
	s_cbranch_execz .LBB4_2740
.LBB4_2736:                             ;   Parent Loop BB4_47 Depth=1
                                        ;     Parent Loop BB4_2702 Depth=2
                                        ; =>    This Inner Loop Header: Depth=3
	s_add_co_i32 s90, s90, 1
	s_delay_alu instid0(SALU_CYCLE_1) | instskip(SKIP_1) | instid1(SALU_CYCLE_1)
	s_cmp_lg_u32 s90, 0x2710
	s_cselect_b32 s91, -1, 0
	s_and_b32 vcc_lo, exec_lo, s91
	s_cbranch_vccz .LBB4_2738
; %bb.2737:                             ;   in Loop: Header=BB4_2736 Depth=3
	s_mov_b32 s93, -1
	s_or_b32 s89, s89, exec_lo
	s_and_saveexec_b32 s92, s91
	s_cbranch_execz .LBB4_2735
	s_branch .LBB4_2739
.LBB4_2738:                             ;   in Loop: Header=BB4_2736 Depth=3
	s_trap 2
	ds_load_b64 v[8:9], v0
	s_and_not1_b32 s91, s91, exec_lo
	s_mov_b32 s90, 0
	s_wait_loadcnt_dscnt 0x0
	flat_load_b32 v2, v[8:9] scope:SCOPE_SYS
	s_wait_loadcnt_dscnt 0x0
	global_inv scope:SCOPE_SYS
	v_cmp_eq_u32_e32 vcc_lo, 0, v2
	s_and_b32 s92, vcc_lo, exec_lo
	s_delay_alu instid0(SALU_CYCLE_1)
	s_or_b32 s91, s91, s92
	s_mov_b32 s93, -1
	s_or_b32 s89, s89, exec_lo
	s_and_saveexec_b32 s92, s91
	s_cbranch_execz .LBB4_2735
.LBB4_2739:                             ;   in Loop: Header=BB4_2736 Depth=3
	s_sleep 1
	s_trap 2
	ds_load_b64 v[8:9], v0
	s_wait_dscnt 0x0
	s_and_not1_b32 s89, s89, exec_lo
	v_cmp_ge_u64_e32 vcc_lo, v[8:9], v[48:49]
	s_or_not1_b32 s93, vcc_lo, exec_lo
	s_branch .LBB4_2735
.LBB4_2740:                             ;   in Loop: Header=BB4_2702 Depth=2
	s_or_b32 exec_lo, exec_lo, s41
	s_and_saveexec_b32 s41, s88
	s_delay_alu instid0(SALU_CYCLE_1)
	s_xor_b32 s41, exec_lo, s41
	s_cbranch_execz .LBB4_2742
; %bb.2741:                             ;   in Loop: Header=BB4_2702 Depth=2
	ds_store_b32 v0, v75
	s_trap 2
.LBB4_2742:                             ;   in Loop: Header=BB4_2702 Depth=2
	s_or_b32 exec_lo, exec_lo, s40
	;;#ASMSTART
	s_wakeup
	;;#ASMEND
.LBB4_2743:                             ;   in Loop: Header=BB4_2702 Depth=2
	s_or_b32 exec_lo, exec_lo, s27
.LBB4_2744:                             ;   in Loop: Header=BB4_2702 Depth=2
	s_and_not1_saveexec_b32 s18, s18
	s_cbranch_execz .LBB4_2746
; %bb.2745:                             ;   in Loop: Header=BB4_2702 Depth=2
	global_wb scope:SCOPE_DEV
	s_wait_storecnt 0x0
	s_wait_loadcnt_dscnt 0x0
	global_inv scope:SCOPE_DEV
	s_barrier_signal -1
	s_barrier_wait -1
.LBB4_2746:                             ;   in Loop: Header=BB4_2702 Depth=2
	s_or_b32 exec_lo, exec_lo, s18
.LBB4_2747:                             ;   in Loop: Header=BB4_2702 Depth=2
	s_delay_alu instid0(SALU_CYCLE_1) | instskip(SKIP_2) | instid1(SALU_CYCLE_1)
	s_or_b32 exec_lo, exec_lo, s13
	v_and_b32_e32 v8, 16, v30
	s_and_saveexec_b32 s13, s12
	s_xor_b32 s18, exec_lo, s13
	s_cbranch_execz .LBB4_2751
; %bb.2748:                             ;   in Loop: Header=BB4_2702 Depth=2
	s_trap 2
	ds_load_b32 v2, v0
	v_cmp_lt_i32_e32 vcc_lo, 0, v12
	v_and_b32_e32 v8, 16, v30
	s_wait_dscnt 0x0
	v_readfirstlane_b32 s13, v2
	v_and_b32_e32 v2, 16, v30
	s_cmp_eq_u32 s13, 0
	s_delay_alu instid0(VALU_DEP_1) | instskip(SKIP_1) | instid1(SALU_CYCLE_1)
	v_cmp_ne_u32_e64 s13, 0, v2
	s_cselect_b32 s27, -1, 0
	s_and_b32 s27, vcc_lo, s27
	s_delay_alu instid0(SALU_CYCLE_1) | instskip(NEXT) | instid1(SALU_CYCLE_1)
	s_and_b32 s27, s13, s27
	s_and_saveexec_b32 s13, s27
	s_cbranch_execz .LBB4_2750
; %bb.2749:                             ;   in Loop: Header=BB4_2702 Depth=2
	v_mov_b32_e32 v8, 1
	global_wb scope:SCOPE_SYS
	s_wait_loadcnt 0x0
	s_wait_storecnt 0x0
	global_inv scope:SCOPE_SYS
.LBB4_2750:                             ;   in Loop: Header=BB4_2702 Depth=2
	s_or_b32 exec_lo, exec_lo, s13
.LBB4_2751:                             ;   in Loop: Header=BB4_2702 Depth=2
	s_and_not1_saveexec_b32 s13, s18
	s_cbranch_execz .LBB4_2770
; %bb.2752:                             ;   in Loop: Header=BB4_2702 Depth=2
	s_and_saveexec_b32 s18, s3
	s_delay_alu instid0(SALU_CYCLE_1)
	s_xor_b32 s18, exec_lo, s18
	s_cbranch_execz .LBB4_2767
; %bb.2753:                             ;   in Loop: Header=BB4_2702 Depth=2
	s_and_saveexec_b32 s27, s6
	s_cbranch_execz .LBB4_2766
; %bb.2754:                             ;   in Loop: Header=BB4_2702 Depth=2
	s_mov_b32 s41, exec_lo
	s_mov_b32 s40, exec_lo
	v_mbcnt_lo_u32_b32 v2, s41, 0
	;;#ASMSTART
	s_waitcnt lgkmcnt(0) vmcnt(0)
	;;#ASMEND
	s_delay_alu instid0(VALU_DEP_1)
	v_cmpx_eq_u32_e32 0, v2
	s_cbranch_execz .LBB4_2756
; %bb.2755:                             ;   in Loop: Header=BB4_2702 Depth=2
	s_bcnt1_i32_b32 s41, s41
	s_delay_alu instid0(SALU_CYCLE_1)
	v_mov_b32_e32 v2, s41
	s_wait_storecnt 0x0
	s_wait_loadcnt_dscnt 0x0
	ds_add_u64 v0, v[2:3]
	s_trap 2
.LBB4_2756:                             ;   in Loop: Header=BB4_2702 Depth=2
	s_or_b32 exec_lo, exec_lo, s40
	s_trap 2
	ds_load_b64 v[10:11], v0
	s_wait_dscnt 0x0
	v_add_nc_u64_e32 v[48:49], v[48:49], v[52:53]
	s_mov_b32 s40, exec_lo
	s_delay_alu instid0(VALU_DEP_1)
	v_cmpx_lt_u64_e64 v[10:11], v[48:49]
	s_cbranch_execz .LBB4_2765
; %bb.2757:                             ;   in Loop: Header=BB4_2702 Depth=2
	s_mov_b32 s41, 0
	s_mov_b32 s90, 0
                                        ; implicit-def: $sgpr88
                                        ; implicit-def: $sgpr89
	s_branch .LBB4_2759
.LBB4_2758:                             ;   in Loop: Header=BB4_2759 Depth=3
	s_or_b32 exec_lo, exec_lo, s92
	s_delay_alu instid0(SALU_CYCLE_1) | instskip(NEXT) | instid1(SALU_CYCLE_1)
	s_and_b32 s91, exec_lo, s93
	s_or_b32 s41, s91, s41
	s_and_not1_b32 s88, s88, exec_lo
	s_and_b32 s91, s89, exec_lo
	s_delay_alu instid0(SALU_CYCLE_1)
	s_or_b32 s88, s88, s91
	s_and_not1_b32 exec_lo, exec_lo, s41
	s_cbranch_execz .LBB4_2763
.LBB4_2759:                             ;   Parent Loop BB4_47 Depth=1
                                        ;     Parent Loop BB4_2702 Depth=2
                                        ; =>    This Inner Loop Header: Depth=3
	s_add_co_i32 s90, s90, 1
	s_delay_alu instid0(SALU_CYCLE_1) | instskip(SKIP_1) | instid1(SALU_CYCLE_1)
	s_cmp_lg_u32 s90, 0x2710
	s_cselect_b32 s91, -1, 0
	s_and_b32 vcc_lo, exec_lo, s91
	s_cbranch_vccz .LBB4_2761
; %bb.2760:                             ;   in Loop: Header=BB4_2759 Depth=3
	s_mov_b32 s93, -1
	s_or_b32 s89, s89, exec_lo
	s_and_saveexec_b32 s92, s91
	s_cbranch_execz .LBB4_2758
	s_branch .LBB4_2762
.LBB4_2761:                             ;   in Loop: Header=BB4_2759 Depth=3
	s_trap 2
	ds_load_b64 v[10:11], v0
	s_and_not1_b32 s91, s91, exec_lo
	s_mov_b32 s90, 0
	s_wait_storecnt 0x0
	s_wait_loadcnt_dscnt 0x0
	flat_load_b32 v2, v[10:11] scope:SCOPE_SYS
	s_wait_loadcnt_dscnt 0x0
	global_inv scope:SCOPE_SYS
	v_cmp_eq_u32_e32 vcc_lo, 0, v2
	s_and_b32 s92, vcc_lo, exec_lo
	s_delay_alu instid0(SALU_CYCLE_1)
	s_or_b32 s91, s91, s92
	s_mov_b32 s93, -1
	s_or_b32 s89, s89, exec_lo
	s_and_saveexec_b32 s92, s91
	s_cbranch_execz .LBB4_2758
.LBB4_2762:                             ;   in Loop: Header=BB4_2759 Depth=3
	s_sleep 1
	s_trap 2
	ds_load_b64 v[10:11], v0
	s_wait_dscnt 0x0
	s_and_not1_b32 s89, s89, exec_lo
	v_cmp_ge_u64_e32 vcc_lo, v[10:11], v[48:49]
	s_or_not1_b32 s93, vcc_lo, exec_lo
	s_branch .LBB4_2758
.LBB4_2763:                             ;   in Loop: Header=BB4_2702 Depth=2
	s_or_b32 exec_lo, exec_lo, s41
	s_and_saveexec_b32 s41, s88
	s_delay_alu instid0(SALU_CYCLE_1)
	s_xor_b32 s41, exec_lo, s41
	s_cbranch_execz .LBB4_2765
; %bb.2764:                             ;   in Loop: Header=BB4_2702 Depth=2
	ds_store_b32 v0, v75
	s_trap 2
.LBB4_2765:                             ;   in Loop: Header=BB4_2702 Depth=2
	s_or_b32 exec_lo, exec_lo, s40
	;;#ASMSTART
	s_wakeup
	;;#ASMEND
.LBB4_2766:                             ;   in Loop: Header=BB4_2702 Depth=2
	s_or_b32 exec_lo, exec_lo, s27
.LBB4_2767:                             ;   in Loop: Header=BB4_2702 Depth=2
	s_and_not1_saveexec_b32 s18, s18
	s_cbranch_execz .LBB4_2769
; %bb.2768:                             ;   in Loop: Header=BB4_2702 Depth=2
	;;#ASMSTART
	s_waitcnt lgkmcnt(0) vmcnt(0)
	;;#ASMEND
	s_barrier_signal -1
	s_barrier_wait -1
.LBB4_2769:                             ;   in Loop: Header=BB4_2702 Depth=2
	s_or_b32 exec_lo, exec_lo, s18
.LBB4_2770:                             ;   in Loop: Header=BB4_2702 Depth=2
	s_delay_alu instid0(SALU_CYCLE_1) | instskip(SKIP_2) | instid1(SALU_CYCLE_1)
	s_or_b32 exec_lo, exec_lo, s13
	v_cmp_ne_u32_e32 vcc_lo, 0, v8
	s_xor_b32 s13, s4, -1
	s_and_b32 s18, vcc_lo, s13
	s_delay_alu instid0(SALU_CYCLE_1)
	s_and_saveexec_b32 s13, s18
	s_cbranch_execz .LBB4_2772
; %bb.2771:                             ;   in Loop: Header=BB4_2702 Depth=2
	global_wb scope:SCOPE_SYS
	s_wait_storecnt 0x0
	s_wait_loadcnt_dscnt 0x0
	flat_store_b32 v[38:39], v75 scope:SCOPE_SYS
.LBB4_2772:                             ;   in Loop: Header=BB4_2702 Depth=2
	s_wait_xcnt 0x0
	s_or_b32 exec_lo, exec_lo, s13
	v_and_b32_e32 v2, 48, v30
	s_mov_b32 s13, exec_lo
	s_delay_alu instid0(VALU_DEP_1)
	v_cmpx_ne_u32_e32 0, v2
	s_cbranch_execz .LBB4_2701
; %bb.2773:                             ;   in Loop: Header=BB4_2702 Depth=2
	v_add_nc_u64_e32 v[114:115], 2, v[114:115]
	global_wb scope:SCOPE_SYS
	s_wait_storecnt 0x0
	s_wait_loadcnt_dscnt 0x0
	flat_store_b64 v[32:33], v[114:115] scope:SCOPE_SYS
	s_branch .LBB4_2701
.LBB4_2774:                             ;   in Loop: Header=BB4_47 Depth=1
	s_or_b32 exec_lo, exec_lo, s15
.LBB4_2775:                             ;   in Loop: Header=BB4_47 Depth=1
	s_delay_alu instid0(SALU_CYCLE_1) | instskip(NEXT) | instid1(SALU_CYCLE_1)
	s_or_b32 exec_lo, exec_lo, s14
	s_and_not1_b32 vcc_lo, exec_lo, s46
	s_cbranch_vccnz .LBB4_3105
; %bb.2776:                             ;   in Loop: Header=BB4_47 Depth=1
	s_mov_b32 s18, 1
.LBB4_2777:                             ;   Parent Loop BB4_47 Depth=1
                                        ; =>  This Loop Header: Depth=2
                                        ;       Child Loop BB4_2780 Depth 3
                                        ;         Child Loop BB4_2788 Depth 4
                                        ;         Child Loop BB4_2816 Depth 4
                                        ;         Child Loop BB4_2835 Depth 4
                                        ;         Child Loop BB4_2858 Depth 4
                                        ;           Child Loop BB4_2860 Depth 5
                                        ;           Child Loop BB4_2865 Depth 5
                                        ;         Child Loop BB4_2878 Depth 4
                                        ;         Child Loop BB4_2883 Depth 4
                                        ;           Child Loop BB4_2885 Depth 5
                                        ;           Child Loop BB4_2890 Depth 5
                                        ;         Child Loop BB4_2896 Depth 4
                                        ;         Child Loop BB4_2904 Depth 4
	;; [unrolled: 1-line block ×3, first 2 shown]
                                        ;           Child Loop BB4_2916 Depth 5
                                        ;           Child Loop BB4_2921 Depth 5
                                        ;         Child Loop BB4_2925 Depth 4
                                        ;         Child Loop BB4_2937 Depth 4
	;; [unrolled: 1-line block ×7, first 2 shown]
                                        ;       Child Loop BB4_3030 Depth 3
                                        ;         Child Loop BB4_3036 Depth 4
                                        ;         Child Loop BB4_3064 Depth 4
	;; [unrolled: 1-line block ×3, first 2 shown]
	s_delay_alu instid0(SALU_CYCLE_1) | instskip(SKIP_4) | instid1(SALU_CYCLE_1)
	s_sub_co_i32 s13, s44, s18
	s_mov_b32 s88, 0
	s_cmp_ge_i32 s13, s16
	v_mov_b32_e32 v42, 0
	s_cselect_b32 s14, s16, 0
	s_sub_co_i32 s14, s13, s14
	s_delay_alu instid0(SALU_CYCLE_1) | instskip(NEXT) | instid1(SALU_CYCLE_1)
	s_ashr_i32 s15, s14, 31
	v_mul_u64_e32 v[8:9], s[14:15], v[112:113]
	s_delay_alu instid0(VALU_DEP_1) | instskip(NEXT) | instid1(VALU_DEP_1)
	v_sub_nc_u64_e32 v[10:11], v[116:117], v[8:9]
	v_min_i64 v[10:11], v[112:113], v[10:11]
	s_delay_alu instid0(VALU_DEP_1) | instskip(SKIP_1) | instid1(VALU_DEP_2)
	v_max_i32_e32 v88, 0, v10
	v_cmp_lt_i32_e32 vcc_lo, 0, v10
	v_add_nc_u32_e32 v2, 31, v88
	s_and_b32 s13, s77, vcc_lo
	s_delay_alu instid0(VALU_DEP_1) | instskip(NEXT) | instid1(VALU_DEP_1)
	v_lshrrev_b32_e32 v2, 1, v2
	v_and_b32_e32 v11, 0x3ffffff0, v2
	s_wait_dscnt 0x0
	s_delay_alu instid0(VALU_DEP_1)
	v_dual_mov_b32 v2, 0 :: v_dual_max_i32 v40, s45, v11
	s_and_saveexec_b32 s27, s13
	s_cbranch_execz .LBB4_3027
; %bb.2778:                             ;   in Loop: Header=BB4_2777 Depth=2
	v_add_nc_u64_e32 v[8:9], v[8:9], v[118:119]
	v_mov_b32_e32 v42, 0
	s_mov_b32 s90, 1
	s_mov_b32 s89, -1
	s_delay_alu instid0(VALU_DEP_2)
	v_lshlrev_b64_e32 v[44:45], 1, v[8:9]
	s_branch .LBB4_2780
.LBB4_2779:                             ;   in Loop: Header=BB4_2780 Depth=3
	s_wait_xcnt 0x0
	s_or_b32 exec_lo, exec_lo, s13
	v_dual_add_nc_u32 v42, v40, v42 :: v_dual_mov_b32 v2, s90
	s_xor_b32 s13, s89, -1
	s_mov_b32 s89, 0
	s_mov_b32 s90, 2
	s_delay_alu instid0(VALU_DEP_1) | instskip(SKIP_1) | instid1(SALU_CYCLE_1)
	v_cmp_ge_i32_e32 vcc_lo, v42, v88
	s_or_b32 s13, s13, vcc_lo
	s_and_b32 s13, exec_lo, s13
	s_delay_alu instid0(SALU_CYCLE_1) | instskip(NEXT) | instid1(SALU_CYCLE_1)
	s_or_b32 s88, s13, s88
	s_and_not1_b32 exec_lo, exec_lo, s88
	s_cbranch_execz .LBB4_3026
.LBB4_2780:                             ;   Parent Loop BB4_47 Depth=1
                                        ;     Parent Loop BB4_2777 Depth=2
                                        ; =>    This Loop Header: Depth=3
                                        ;         Child Loop BB4_2788 Depth 4
                                        ;         Child Loop BB4_2816 Depth 4
	;; [unrolled: 1-line block ×4, first 2 shown]
                                        ;           Child Loop BB4_2860 Depth 5
                                        ;           Child Loop BB4_2865 Depth 5
                                        ;         Child Loop BB4_2878 Depth 4
                                        ;         Child Loop BB4_2883 Depth 4
                                        ;           Child Loop BB4_2885 Depth 5
                                        ;           Child Loop BB4_2890 Depth 5
                                        ;         Child Loop BB4_2896 Depth 4
                                        ;         Child Loop BB4_2904 Depth 4
	;; [unrolled: 1-line block ×3, first 2 shown]
                                        ;           Child Loop BB4_2916 Depth 5
                                        ;           Child Loop BB4_2921 Depth 5
                                        ;         Child Loop BB4_2925 Depth 4
                                        ;         Child Loop BB4_2937 Depth 4
	;; [unrolled: 1-line block ×7, first 2 shown]
	s_and_saveexec_b32 s13, s0
	s_cbranch_execz .LBB4_2782
; %bb.2781:                             ;   in Loop: Header=BB4_2780 Depth=3
	s_trap 2
	ds_load_b128 v[8:11], v0
	s_wait_dscnt 0x0
	v_cmp_ne_u64_e32 vcc_lo, 0, v[10:11]
	v_ashrrev_i32_e32 v43, 31, v42
	v_add_nc_u64_e32 v[14:15], v[10:11], v[44:45]
	v_add_nc_u64_e32 v[8:9], v[8:9], v[44:45]
	s_delay_alu instid0(VALU_DEP_3) | instskip(NEXT) | instid1(VALU_DEP_1)
	v_lshlrev_b64_e32 v[12:13], 1, v[42:43]
	v_add_nc_u64_e32 v[14:15], v[14:15], v[12:13]
	s_delay_alu instid0(VALU_DEP_3) | instskip(NEXT) | instid1(VALU_DEP_2)
	v_add_nc_u64_e32 v[8:9], v[8:9], v[12:13]
	v_dual_cndmask_b32 v11, 0, v15 :: v_dual_cndmask_b32 v10, 0, v14
	ds_store_b64 v0, v[8:9]
	ds_store_b64 v0, v[10:11]
.LBB4_2782:                             ;   in Loop: Header=BB4_2780 Depth=3
	s_or_b32 exec_lo, exec_lo, s13
	v_sub_nc_u32_e32 v2, v88, v42
	v_and_b32_e32 v8, 12, v30
	s_mov_b32 s14, exec_lo
	s_delay_alu instid0(VALU_DEP_2) | instskip(NEXT) | instid1(VALU_DEP_2)
	v_min_i32_e32 v40, v40, v2
	v_cmpx_ne_u32_e32 0, v8
	s_cbranch_execz .LBB4_2808
; %bb.2783:                             ;   in Loop: Header=BB4_2780 Depth=3
	v_and_b32_e32 v2, 8, v30
	v_add_nc_u64_e32 v[8:9], 2, v[114:115]
	s_mov_b32 s15, exec_lo
	s_wait_loadcnt 0x0
	s_delay_alu instid0(VALU_DEP_2) | instskip(NEXT) | instid1(VALU_DEP_1)
	v_add_nc_u64_e32 v[10:11], v[50:51], v[2:3]
	v_cmpx_lt_u64_e64 v[10:11], v[8:9]
	s_cbranch_execz .LBB4_2795
; %bb.2784:                             ;   in Loop: Header=BB4_2780 Depth=3
	v_and_b32_e32 v10, 64, v30
	s_mov_b32 s40, 0
	s_mov_b32 s93, 0
                                        ; implicit-def: $sgpr41
                                        ; implicit-def: $sgpr91
                                        ; implicit-def: $sgpr92
	s_delay_alu instid0(VALU_DEP_1)
	v_cmp_eq_u32_e32 vcc_lo, 0, v10
	s_branch .LBB4_2788
.LBB4_2785:                             ;   in Loop: Header=BB4_2788 Depth=4
	s_wait_loadcnt_dscnt 0x0
	v_add_nc_u64_e32 v[12:13], v[50:51], v[2:3]
	s_or_b32 vcc_hi, vcc_hi, exec_lo
	s_delay_alu instid0(VALU_DEP_1)
	v_cmp_ge_u64_e64 s13, v[12:13], v[8:9]
	s_or_not1_b32 s95, s13, exec_lo
.LBB4_2786:                             ;   in Loop: Header=BB4_2788 Depth=4
	s_or_b32 exec_lo, exec_lo, s31
	s_delay_alu instid0(SALU_CYCLE_1)
	s_and_not1_b32 s13, s92, exec_lo
	s_and_b32 s92, vcc_hi, exec_lo
	s_and_not1_b32 s91, s91, exec_lo
	s_and_b32 s95, s95, exec_lo
	s_or_b32 s92, s13, s92
	s_or_b32 s91, s91, s95
.LBB4_2787:                             ;   in Loop: Header=BB4_2788 Depth=4
	s_or_b32 exec_lo, exec_lo, s94
	s_delay_alu instid0(SALU_CYCLE_1) | instskip(NEXT) | instid1(SALU_CYCLE_1)
	s_and_b32 s13, exec_lo, s91
	s_or_b32 s40, s13, s40
	s_and_not1_b32 s13, s41, exec_lo
	s_and_b32 s41, s92, exec_lo
	s_delay_alu instid0(SALU_CYCLE_1)
	s_or_b32 s41, s13, s41
	s_and_not1_b32 exec_lo, exec_lo, s40
	s_cbranch_execz .LBB4_2792
.LBB4_2788:                             ;   Parent Loop BB4_47 Depth=1
                                        ;     Parent Loop BB4_2777 Depth=2
                                        ;       Parent Loop BB4_2780 Depth=3
                                        ; =>      This Inner Loop Header: Depth=4
	s_sleep 1
	s_wait_loadcnt_dscnt 0x0
	flat_load_b64 v[50:51], v[32:33] scope:SCOPE_SYS
	s_or_b32 s92, s92, exec_lo
	s_or_b32 s91, s91, exec_lo
                                        ; implicit-def: $vgpr10
	s_wait_xcnt 0x0
	s_and_saveexec_b32 s94, vcc_lo
	s_cbranch_execz .LBB4_2787
; %bb.2789:                             ;   in Loop: Header=BB4_2788 Depth=4
	s_cmp_lt_i32 s93, 0x270f
	s_mov_b32 s95, -1
	s_cselect_b32 s30, -1, 0
	s_cmp_gt_i32 s93, 0x270e
	s_cbranch_scc0 .LBB4_2791
; %bb.2790:                             ;   in Loop: Header=BB4_2788 Depth=4
	s_trap 2
	ds_load_b64 v[10:11], v0
	s_and_not1_b32 s93, s30, exec_lo
	s_mov_b32 vcc_hi, 0
	s_wait_storecnt 0x0
	s_wait_loadcnt_dscnt 0x0
	flat_load_b32 v10, v[10:11] scope:SCOPE_SYS
	s_wait_loadcnt_dscnt 0x0
	global_inv scope:SCOPE_SYS
	v_cmp_eq_u32_e64 s13, 0, v10
	s_and_b32 s13, s13, exec_lo
	s_delay_alu instid0(SALU_CYCLE_1)
	s_or_b32 s30, s93, s13
	s_mov_b32 s93, 0
	s_wait_xcnt 0x0
	s_and_saveexec_b32 s31, s30
	s_cbranch_execz .LBB4_2786
	s_branch .LBB4_2785
.LBB4_2791:                             ;   in Loop: Header=BB4_2788 Depth=4
	s_add_co_i32 s93, s93, 1
	s_mov_b32 vcc_hi, -1
                                        ; implicit-def: $vgpr10
	s_and_saveexec_b32 s31, s30
	s_cbranch_execz .LBB4_2786
	s_branch .LBB4_2785
.LBB4_2792:                             ;   in Loop: Header=BB4_2780 Depth=3
	s_or_b32 exec_lo, exec_lo, s40
	s_xor_b32 s13, s41, -1
	s_delay_alu instid0(SALU_CYCLE_1) | instskip(NEXT) | instid1(SALU_CYCLE_1)
	s_and_saveexec_b32 s40, s13
	s_xor_b32 s13, exec_lo, s40
	s_cbranch_execz .LBB4_2794
; %bb.2793:                             ;   in Loop: Header=BB4_2780 Depth=3
	v_or_b32_e32 v30, 64, v30
	s_wait_storecnt 0x0
	s_wait_loadcnt_dscnt 0x0
	ds_store_b32 v0, v10
	s_trap 2
.LBB4_2794:                             ;   in Loop: Header=BB4_2780 Depth=3
	s_or_b32 exec_lo, exec_lo, s13
.LBB4_2795:                             ;   in Loop: Header=BB4_2780 Depth=3
	s_delay_alu instid0(SALU_CYCLE_1) | instskip(SKIP_2) | instid1(VALU_DEP_1)
	s_or_b32 exec_lo, exec_lo, s15
	v_and_b32_e32 v10, 0x108, v30
	;;#ASMSTART
	s_wakeup
	;;#ASMEND
	v_cmp_ne_u32_e32 vcc_lo, 0x108, v10
                                        ; implicit-def: $vgpr10_vgpr11
	s_and_saveexec_b32 s13, vcc_lo
	s_delay_alu instid0(SALU_CYCLE_1)
	s_xor_b32 s13, exec_lo, s13
; %bb.2796:                             ;   in Loop: Header=BB4_2780 Depth=3
	v_dual_mov_b32 v11, v3 :: v_dual_bitop2_b32 v10, 7, v114 bitop3:0x40
                                        ; implicit-def: $vgpr114_vgpr115
; %bb.2797:                             ;   in Loop: Header=BB4_2780 Depth=3
	s_and_not1_saveexec_b32 s13, s13
	s_cbranch_execz .LBB4_2799
; %bb.2798:                             ;   in Loop: Header=BB4_2780 Depth=3
	v_dual_ashrrev_i32 v41, 31, v40 :: v_dual_bitop2_b32 v10, 7, v114 bitop3:0x40
	v_mov_b32_e32 v11, v3
	s_delay_alu instid0(VALU_DEP_2) | instskip(NEXT) | instid1(VALU_DEP_3)
	v_mad_nc_u64_u32 v[12:13], v10, 24, v[6:7]
	v_lshlrev_b64_e32 v[14:15], 1, v[40:41]
	flat_store_b64 v[12:13], v[14:15] offset:8
.LBB4_2799:                             ;   in Loop: Header=BB4_2780 Depth=3
	s_wait_xcnt 0x0
	s_or_b32 exec_lo, exec_lo, s13
	v_and_b32_e32 v12, 0x100, v30
	s_mov_b32 s13, -1
	s_delay_alu instid0(VALU_DEP_1)
	v_cmp_ne_u32_e32 vcc_lo, 0, v12
                                        ; implicit-def: $vgpr12_vgpr13
	s_and_saveexec_b32 s15, vcc_lo
	s_cbranch_execz .LBB4_2803
; %bb.2800:                             ;   in Loop: Header=BB4_2780 Depth=3
	v_mad_nc_u64_u32 v[14:15], v10, 24, v[6:7]
	s_delay_alu instid0(VALU_DEP_1)
	v_mad_u32 v15, v11, 24, v15
	flat_load_b32 v12, v[14:15]
	s_wait_loadcnt_dscnt 0x0
	v_cmp_eq_u32_e64 s13, 1, v12
	v_cmp_ne_u32_e32 vcc_lo, 1, v12
                                        ; implicit-def: $vgpr12_vgpr13
	s_wait_xcnt 0x0
	s_and_saveexec_b32 s40, s13
	s_cbranch_execz .LBB4_2802
; %bb.2801:                             ;   in Loop: Header=BB4_2780 Depth=3
	flat_load_b32 v12, v[14:15] offset:4 scope:SCOPE_SYS
	s_wait_loadcnt_dscnt 0x0
	v_ashrrev_i32_e32 v13, 31, v12
	s_delay_alu instid0(VALU_DEP_1)
	v_lshrrev_b64 v[12:13], 1, v[12:13]
.LBB4_2802:                             ;   in Loop: Header=BB4_2780 Depth=3
	s_wait_xcnt 0x0
	s_or_b32 exec_lo, exec_lo, s40
	s_delay_alu instid0(SALU_CYCLE_1)
	s_or_not1_b32 s13, vcc_lo, exec_lo
.LBB4_2803:                             ;   in Loop: Header=BB4_2780 Depth=3
	s_or_b32 exec_lo, exec_lo, s15
	s_and_saveexec_b32 s15, s13
; %bb.2804:                             ;   in Loop: Header=BB4_2780 Depth=3
	v_mul_u64_e32 v[12:13], v[10:11], v[34:35]
; %bb.2805:                             ;   in Loop: Header=BB4_2780 Depth=3
	s_or_b32 exec_lo, exec_lo, s15
	v_cmp_eq_u32_e32 vcc_lo, 0, v2
	v_and_b32_e32 v14, 0x2000, v30
	s_delay_alu instid0(VALU_DEP_3) | instskip(SKIP_2) | instid1(VALU_DEP_1)
	v_lshl_add_u64 v[10:11], v[12:13], 1, v[36:37]
	s_mov_b32 s13, exec_lo
	v_cndmask_b32_e32 v2, 0xd0, v77, vcc_lo
	v_add_nc_u32_e32 v2, v0, v2
	ds_store_b64 v2, v[10:11] offset:584
	v_cmpx_ne_u32_e32 0, v14
	s_cbranch_execz .LBB4_2807
; %bb.2806:                             ;   in Loop: Header=BB4_2780 Depth=3
	ds_load_b64 v[10:11], v0 offset:872
	s_wait_dscnt 0x0
	v_add_nc_u64_e32 v[10:11], 1, v[10:11]
	ds_store_b64 v0, v[10:11] offset:872
.LBB4_2807:                             ;   in Loop: Header=BB4_2780 Depth=3
	s_or_b32 exec_lo, exec_lo, s13
	v_mov_b64_e32 v[114:115], v[8:9]
.LBB4_2808:                             ;   in Loop: Header=BB4_2780 Depth=3
	s_or_b32 exec_lo, exec_lo, s14
	s_and_saveexec_b32 s13, s2
	s_cbranch_execz .LBB4_2827
; %bb.2809:                             ;   in Loop: Header=BB4_2780 Depth=3
	s_and_saveexec_b32 s14, s3
	s_delay_alu instid0(SALU_CYCLE_1)
	s_xor_b32 s14, exec_lo, s14
	s_cbranch_execz .LBB4_2824
; %bb.2810:                             ;   in Loop: Header=BB4_2780 Depth=3
	s_and_saveexec_b32 s15, s6
	s_cbranch_execz .LBB4_2823
; %bb.2811:                             ;   in Loop: Header=BB4_2780 Depth=3
	s_mov_b32 s41, exec_lo
	s_mov_b32 s40, exec_lo
	v_mbcnt_lo_u32_b32 v2, s41, 0
	global_wb scope:SCOPE_DEV
	s_wait_storecnt 0x0
	s_wait_loadcnt_dscnt 0x0
	global_inv scope:SCOPE_DEV
	v_cmpx_eq_u32_e32 0, v2
	s_cbranch_execz .LBB4_2813
; %bb.2812:                             ;   in Loop: Header=BB4_2780 Depth=3
	s_bcnt1_i32_b32 s41, s41
	s_delay_alu instid0(SALU_CYCLE_1)
	v_mov_b32_e32 v2, s41
	s_wait_loadcnt 0x0
	ds_add_u64 v0, v[2:3]
	s_trap 2
.LBB4_2813:                             ;   in Loop: Header=BB4_2780 Depth=3
	s_or_b32 exec_lo, exec_lo, s40
	s_trap 2
	ds_load_b64 v[8:9], v0
	s_wait_dscnt 0x0
	v_add_nc_u64_e32 v[48:49], v[48:49], v[52:53]
	s_mov_b32 s40, exec_lo
	s_delay_alu instid0(VALU_DEP_1)
	v_cmpx_lt_u64_e64 v[8:9], v[48:49]
	s_cbranch_execz .LBB4_2822
; %bb.2814:                             ;   in Loop: Header=BB4_2780 Depth=3
	s_mov_b32 s41, 0
	s_mov_b32 s93, 0
                                        ; implicit-def: $sgpr91
                                        ; implicit-def: $sgpr92
	s_branch .LBB4_2816
.LBB4_2815:                             ;   in Loop: Header=BB4_2816 Depth=4
	s_or_b32 exec_lo, exec_lo, s95
	s_delay_alu instid0(SALU_CYCLE_1) | instskip(NEXT) | instid1(SALU_CYCLE_1)
	s_and_b32 s94, exec_lo, vcc_lo
	s_or_b32 s41, s94, s41
	s_and_not1_b32 s91, s91, exec_lo
	s_and_b32 s94, s92, exec_lo
	s_delay_alu instid0(SALU_CYCLE_1)
	s_or_b32 s91, s91, s94
	s_and_not1_b32 exec_lo, exec_lo, s41
	s_cbranch_execz .LBB4_2820
.LBB4_2816:                             ;   Parent Loop BB4_47 Depth=1
                                        ;     Parent Loop BB4_2777 Depth=2
                                        ;       Parent Loop BB4_2780 Depth=3
                                        ; =>      This Inner Loop Header: Depth=4
	s_add_co_i32 s93, s93, 1
	s_delay_alu instid0(SALU_CYCLE_1) | instskip(SKIP_1) | instid1(SALU_CYCLE_1)
	s_cmp_lg_u32 s93, 0x2710
	s_cselect_b32 s94, -1, 0
	s_and_b32 vcc_lo, exec_lo, s94
	s_cbranch_vccz .LBB4_2818
; %bb.2817:                             ;   in Loop: Header=BB4_2816 Depth=4
	s_mov_b32 vcc_lo, -1
	s_or_b32 s92, s92, exec_lo
	s_and_saveexec_b32 s95, s94
	s_cbranch_execz .LBB4_2815
	s_branch .LBB4_2819
.LBB4_2818:                             ;   in Loop: Header=BB4_2816 Depth=4
	s_trap 2
	ds_load_b64 v[8:9], v0
	s_and_not1_b32 s94, s94, exec_lo
	s_mov_b32 s93, 0
	s_wait_loadcnt_dscnt 0x0
	flat_load_b32 v2, v[8:9] scope:SCOPE_SYS
	s_wait_loadcnt_dscnt 0x0
	global_inv scope:SCOPE_SYS
	v_cmp_eq_u32_e32 vcc_lo, 0, v2
	s_and_b32 s95, vcc_lo, exec_lo
	s_delay_alu instid0(SALU_CYCLE_1)
	s_or_b32 s94, s94, s95
	s_mov_b32 vcc_lo, -1
	s_or_b32 s92, s92, exec_lo
	s_wait_xcnt 0x0
	s_and_saveexec_b32 s95, s94
	s_cbranch_execz .LBB4_2815
.LBB4_2819:                             ;   in Loop: Header=BB4_2816 Depth=4
	s_sleep 1
	s_trap 2
	ds_load_b64 v[8:9], v0
	s_wait_dscnt 0x0
	s_and_not1_b32 s92, s92, exec_lo
	v_cmp_ge_u64_e32 vcc_lo, v[8:9], v[48:49]
	s_or_not1_b32 vcc_lo, vcc_lo, exec_lo
	s_branch .LBB4_2815
.LBB4_2820:                             ;   in Loop: Header=BB4_2780 Depth=3
	s_or_b32 exec_lo, exec_lo, s41
	s_and_saveexec_b32 s41, s91
	s_delay_alu instid0(SALU_CYCLE_1)
	s_xor_b32 s41, exec_lo, s41
	s_cbranch_execz .LBB4_2822
; %bb.2821:                             ;   in Loop: Header=BB4_2780 Depth=3
	ds_store_b32 v0, v75
	s_trap 2
.LBB4_2822:                             ;   in Loop: Header=BB4_2780 Depth=3
	s_or_b32 exec_lo, exec_lo, s40
	;;#ASMSTART
	s_wakeup
	;;#ASMEND
.LBB4_2823:                             ;   in Loop: Header=BB4_2780 Depth=3
	s_or_b32 exec_lo, exec_lo, s15
.LBB4_2824:                             ;   in Loop: Header=BB4_2780 Depth=3
	s_and_not1_saveexec_b32 s14, s14
	s_cbranch_execz .LBB4_2826
; %bb.2825:                             ;   in Loop: Header=BB4_2780 Depth=3
	global_wb scope:SCOPE_DEV
	s_wait_storecnt 0x0
	s_wait_loadcnt_dscnt 0x0
	global_inv scope:SCOPE_DEV
	s_barrier_signal -1
	s_barrier_wait -1
.LBB4_2826:                             ;   in Loop: Header=BB4_2780 Depth=3
	s_or_b32 exec_lo, exec_lo, s14
.LBB4_2827:                             ;   in Loop: Header=BB4_2780 Depth=3
	s_delay_alu instid0(SALU_CYCLE_1) | instskip(SKIP_4) | instid1(VALU_DEP_1)
	s_or_b32 exec_lo, exec_lo, s13
	s_trap 2
	ds_load_b32 v8, v0
	v_and_b32_e32 v2, 0x4000, v30
	s_xor_b32 s13, s1, -1
	v_cmp_ne_u32_e32 vcc_lo, 0, v2
	s_and_b32 s14, s13, vcc_lo
	s_delay_alu instid0(SALU_CYCLE_1)
	s_and_saveexec_b32 s13, s14
	s_cbranch_execz .LBB4_2846
; %bb.2828:                             ;   in Loop: Header=BB4_2780 Depth=3
	s_and_saveexec_b32 s14, s3
	s_delay_alu instid0(SALU_CYCLE_1)
	s_xor_b32 s14, exec_lo, s14
	s_cbranch_execz .LBB4_2843
; %bb.2829:                             ;   in Loop: Header=BB4_2780 Depth=3
	s_and_saveexec_b32 s15, s6
	s_cbranch_execz .LBB4_2842
; %bb.2830:                             ;   in Loop: Header=BB4_2780 Depth=3
	s_mov_b32 s41, exec_lo
	s_mov_b32 s40, exec_lo
	v_mbcnt_lo_u32_b32 v2, s41, 0
	global_wb scope:SCOPE_DEV
	s_wait_storecnt 0x0
	s_wait_loadcnt_dscnt 0x0
	global_inv scope:SCOPE_DEV
	v_cmpx_eq_u32_e32 0, v2
	s_cbranch_execz .LBB4_2832
; %bb.2831:                             ;   in Loop: Header=BB4_2780 Depth=3
	s_bcnt1_i32_b32 s41, s41
	s_delay_alu instid0(SALU_CYCLE_1)
	v_mov_b32_e32 v2, s41
	s_wait_loadcnt 0x0
	ds_add_u64 v0, v[2:3]
	s_trap 2
.LBB4_2832:                             ;   in Loop: Header=BB4_2780 Depth=3
	s_or_b32 exec_lo, exec_lo, s40
	s_trap 2
	ds_load_b64 v[10:11], v0
	s_wait_dscnt 0x0
	v_add_nc_u64_e32 v[48:49], v[48:49], v[52:53]
	s_mov_b32 s40, exec_lo
	s_delay_alu instid0(VALU_DEP_1)
	v_cmpx_lt_u64_e64 v[10:11], v[48:49]
	s_cbranch_execz .LBB4_2841
; %bb.2833:                             ;   in Loop: Header=BB4_2780 Depth=3
	s_mov_b32 s41, 0
	s_mov_b32 s93, 0
                                        ; implicit-def: $sgpr91
                                        ; implicit-def: $sgpr92
	s_branch .LBB4_2835
.LBB4_2834:                             ;   in Loop: Header=BB4_2835 Depth=4
	s_or_b32 exec_lo, exec_lo, s95
	s_delay_alu instid0(SALU_CYCLE_1) | instskip(NEXT) | instid1(SALU_CYCLE_1)
	s_and_b32 s94, exec_lo, vcc_lo
	s_or_b32 s41, s94, s41
	s_and_not1_b32 s91, s91, exec_lo
	s_and_b32 s94, s92, exec_lo
	s_delay_alu instid0(SALU_CYCLE_1)
	s_or_b32 s91, s91, s94
	s_and_not1_b32 exec_lo, exec_lo, s41
	s_cbranch_execz .LBB4_2839
.LBB4_2835:                             ;   Parent Loop BB4_47 Depth=1
                                        ;     Parent Loop BB4_2777 Depth=2
                                        ;       Parent Loop BB4_2780 Depth=3
                                        ; =>      This Inner Loop Header: Depth=4
	s_add_co_i32 s93, s93, 1
	s_delay_alu instid0(SALU_CYCLE_1) | instskip(SKIP_1) | instid1(SALU_CYCLE_1)
	s_cmp_lg_u32 s93, 0x2710
	s_cselect_b32 s94, -1, 0
	s_and_b32 vcc_lo, exec_lo, s94
	s_cbranch_vccz .LBB4_2837
; %bb.2836:                             ;   in Loop: Header=BB4_2835 Depth=4
	s_mov_b32 vcc_lo, -1
	s_or_b32 s92, s92, exec_lo
	s_and_saveexec_b32 s95, s94
	s_cbranch_execz .LBB4_2834
	s_branch .LBB4_2838
.LBB4_2837:                             ;   in Loop: Header=BB4_2835 Depth=4
	s_trap 2
	ds_load_b64 v[10:11], v0
	s_and_not1_b32 s94, s94, exec_lo
	s_mov_b32 s93, 0
	s_wait_loadcnt_dscnt 0x0
	flat_load_b32 v2, v[10:11] scope:SCOPE_SYS
	s_wait_loadcnt_dscnt 0x0
	global_inv scope:SCOPE_SYS
	v_cmp_eq_u32_e32 vcc_lo, 0, v2
	s_and_b32 s95, vcc_lo, exec_lo
	s_delay_alu instid0(SALU_CYCLE_1)
	s_or_b32 s94, s94, s95
	s_mov_b32 vcc_lo, -1
	s_or_b32 s92, s92, exec_lo
	s_wait_xcnt 0x0
	s_and_saveexec_b32 s95, s94
	s_cbranch_execz .LBB4_2834
.LBB4_2838:                             ;   in Loop: Header=BB4_2835 Depth=4
	s_sleep 1
	s_trap 2
	ds_load_b64 v[10:11], v0
	s_wait_dscnt 0x0
	s_and_not1_b32 s92, s92, exec_lo
	v_cmp_ge_u64_e32 vcc_lo, v[10:11], v[48:49]
	s_or_not1_b32 vcc_lo, vcc_lo, exec_lo
	s_branch .LBB4_2834
.LBB4_2839:                             ;   in Loop: Header=BB4_2780 Depth=3
	s_or_b32 exec_lo, exec_lo, s41
	s_and_saveexec_b32 s41, s91
	s_delay_alu instid0(SALU_CYCLE_1)
	s_xor_b32 s41, exec_lo, s41
	s_cbranch_execz .LBB4_2841
; %bb.2840:                             ;   in Loop: Header=BB4_2780 Depth=3
	ds_store_b32 v0, v75
	s_trap 2
.LBB4_2841:                             ;   in Loop: Header=BB4_2780 Depth=3
	s_or_b32 exec_lo, exec_lo, s40
	;;#ASMSTART
	s_wakeup
	;;#ASMEND
.LBB4_2842:                             ;   in Loop: Header=BB4_2780 Depth=3
	s_or_b32 exec_lo, exec_lo, s15
.LBB4_2843:                             ;   in Loop: Header=BB4_2780 Depth=3
	s_and_not1_saveexec_b32 s14, s14
	s_cbranch_execz .LBB4_2845
; %bb.2844:                             ;   in Loop: Header=BB4_2780 Depth=3
	global_wb scope:SCOPE_DEV
	s_wait_storecnt 0x0
	s_wait_loadcnt_dscnt 0x0
	global_inv scope:SCOPE_DEV
	s_barrier_signal -1
	s_barrier_wait -1
.LBB4_2845:                             ;   in Loop: Header=BB4_2780 Depth=3
	s_or_b32 exec_lo, exec_lo, s14
.LBB4_2846:                             ;   in Loop: Header=BB4_2780 Depth=3
	s_delay_alu instid0(SALU_CYCLE_1)
	s_or_b32 exec_lo, exec_lo, s13
	s_trap 2
	ds_load_b64 v[46:47], v0
	s_wait_dscnt 0x0
	v_cmp_eq_u64_e32 vcc_lo, 0, v[46:47]
	s_cbranch_vccnz .LBB4_2868
; %bb.2847:                             ;   in Loop: Header=BB4_2780 Depth=3
	s_trap 2
	ds_load_b64 v[56:57], v0
	s_wait_dscnt 0x0
	v_cmp_eq_u64_e32 vcc_lo, 0, v[56:57]
	s_cbranch_vccnz .LBB4_2868
; %bb.2848:                             ;   in Loop: Header=BB4_2780 Depth=3
	s_trap 2
	ds_load_b64 v[16:17], v0
	v_cmp_eq_u32_e32 vcc_lo, 0, v8
	s_mov_b32 s13, -1
	v_cndmask_b32_e32 v2, 0, v40, vcc_lo
	s_delay_alu instid0(VALU_DEP_1)
	v_lshlrev_b32_e32 v41, 1, v2
	s_wait_dscnt 0x0
	v_cmp_ne_u64_e32 vcc_lo, 0, v[16:17]
	s_cbranch_vccz .LBB4_2927
; %bb.2849:                             ;   in Loop: Header=BB4_2780 Depth=3
	s_and_saveexec_b32 s14, s10
	s_cbranch_execz .LBB4_2851
; %bb.2850:                             ;   in Loop: Header=BB4_2780 Depth=3
	ds_load_b32 v8, v0 offset:720
	s_wait_dscnt 0x0
	v_and_b32_e32 v8, 15, v8
	s_delay_alu instid0(VALU_DEP_1)
	v_cmp_eq_u32_e32 vcc_lo, 0, v8
	s_or_not1_b32 s13, vcc_lo, exec_lo
.LBB4_2851:                             ;   in Loop: Header=BB4_2780 Depth=3
	s_or_b32 exec_lo, exec_lo, s14
	s_and_saveexec_b32 s14, s11
	s_cbranch_execz .LBB4_2853
; %bb.2852:                             ;   in Loop: Header=BB4_2780 Depth=3
	ds_load_b32 v8, v0 offset:784
	s_wait_dscnt 0x0
	v_and_b32_e32 v8, 15, v8
	s_delay_alu instid0(VALU_DEP_1) | instskip(SKIP_3) | instid1(SALU_CYCLE_1)
	v_cmp_eq_u32_e32 vcc_lo, 0, v8
	s_and_b32 s15, s13, vcc_lo
	s_and_not1_b32 s13, s13, exec_lo
	s_and_b32 s15, s15, exec_lo
	s_or_b32 s13, s13, s15
.LBB4_2853:                             ;   in Loop: Header=BB4_2780 Depth=3
	s_or_b32 exec_lo, exec_lo, s14
	s_xor_b32 s13, s13, -1
	s_delay_alu instid0(SALU_CYCLE_1) | instskip(SKIP_1) | instid1(VALU_DEP_1)
	v_cndmask_b32_e64 v8, 0, 1, s13
	s_mov_b32 s13, -1
	v_cmp_ne_u32_e32 vcc_lo, 0, v8
	s_cbranch_vccz .LBB4_2873
; %bb.2854:                             ;   in Loop: Header=BB4_2780 Depth=3
	s_mov_b32 s91, -1
	v_mov_b32_e32 v19, 0
	s_cbranch_execnz .LBB4_2874
.LBB4_2855:                             ;   in Loop: Header=BB4_2780 Depth=3
	v_ashrrev_i32_e32 v8, 31, v41
	v_add_nc_u64_e32 v[18:19], v[56:57], v[64:65]
	v_add_nc_u64_e32 v[20:21], v[16:17], v[64:65]
	s_mov_b32 s14, 0
	s_mov_b32 s92, exec_lo
	v_lshrrev_b32_e32 v8, 23, v8
	s_delay_alu instid0(VALU_DEP_1) | instskip(NEXT) | instid1(VALU_DEP_1)
	v_add_nc_u32_e32 v8, v41, v8
	v_and_b32_e32 v58, 0xfffffe00, v8
	v_ashrrev_i32_e32 v8, 9, v8
	s_delay_alu instid0(VALU_DEP_2) | instskip(NEXT) | instid1(VALU_DEP_2)
	v_dual_sub_nc_u32 v43, v41, v64 :: v_dual_sub_nc_u32 v59, v41, v58
	v_sub_nc_u32_e32 v8, v8, v74
	s_delay_alu instid0(VALU_DEP_2) | instskip(NEXT) | instid1(VALU_DEP_1)
	v_cmp_lt_i32_e64 s13, 15, v59
	v_add_co_ci_u32_e64 v60, null, 0, v8, s13
                                        ; implicit-def: $vgpr8_vgpr9
	s_delay_alu instid0(VALU_DEP_4)
	v_cmpx_lt_i32_e32 15, v43
	s_cbranch_execz .LBB4_2876
; %bb.2856:                             ;   in Loop: Header=BB4_2780 Depth=3
	v_add_nc_u64_e32 v[22:23], v[46:47], v[64:65]
	s_mov_b32 s95, 0
	s_mov_b32 s93, 0
                                        ; implicit-def: $sgpr94
                                        ; implicit-def: $vgpr8_vgpr9
	s_branch .LBB4_2858
.LBB4_2857:                             ;   in Loop: Header=BB4_2858 Depth=4
	s_or_b32 exec_lo, exec_lo, s14
	s_delay_alu instid0(VALU_DEP_1) | instskip(SKIP_3) | instid1(SALU_CYCLE_1)
	v_cmp_gt_i32_e32 vcc_lo, 16, v43
	s_or_b32 s93, vcc_lo, s93
	s_and_not1_b32 s14, s94, exec_lo
	s_and_b32 s15, s95, exec_lo
	s_or_b32 s94, s14, s15
	s_and_not1_b32 exec_lo, exec_lo, s93
	s_cbranch_execz .LBB4_2875
.LBB4_2858:                             ;   Parent Loop BB4_47 Depth=1
                                        ;     Parent Loop BB4_2777 Depth=2
                                        ;       Parent Loop BB4_2780 Depth=3
                                        ; =>      This Loop Header: Depth=4
                                        ;           Child Loop BB4_2860 Depth 5
                                        ;           Child Loop BB4_2865 Depth 5
	global_load_b128 v[12:15], v[22:23], off th:TH_LOAD_NT
	s_wait_xcnt 0x0
	s_and_saveexec_b32 vcc_hi, s95
	s_cbranch_execz .LBB4_2862
; %bb.2859:                             ;   in Loop: Header=BB4_2858 Depth=4
	s_mov_b64 s[40:41], 0
	s_mov_b32 s95, -1
.LBB4_2860:                             ;   Parent Loop BB4_47 Depth=1
                                        ;     Parent Loop BB4_2777 Depth=2
                                        ;       Parent Loop BB4_2780 Depth=3
                                        ;         Parent Loop BB4_2858 Depth=4
                                        ; =>        This Inner Loop Header: Depth=5
	s_cmp_eq_u32 s40, 1
	s_cselect_b32 vcc_lo, -1, 0
	s_cmp_eq_u32 s40, 0
	s_wait_xcnt 0x0
	v_dual_cndmask_b32 v63, v19, v21 :: v_dual_cndmask_b32 v62, v18, v20
	s_cselect_b32 s14, -1, 0
	s_and_b32 s15, exec_lo, s95
	s_mov_b64 s[40:41], 1
	s_mov_b32 s95, 0
	v_add_nc_u64_e32 v[90:91], 0x200, v[62:63]
	global_store_b128 v[62:63], v[8:11], off th:TH_STORE_NT
	v_dual_cndmask_b32 v21, v21, v91 :: v_dual_cndmask_b32 v20, v20, v90
	v_dual_cndmask_b32 v19, v19, v91, s14 :: v_dual_cndmask_b32 v18, v18, v90, s14
	s_mov_b32 vcc_lo, s15
	s_cbranch_vccnz .LBB4_2860
; %bb.2861:                             ;   in Loop: Header=BB4_2858 Depth=4
	s_delay_alu instid0(VALU_DEP_1)
	v_add_nc_u64_e32 v[18:19], v[18:19], v[84:85]
	v_add_nc_u64_e32 v[20:21], v[20:21], v[84:85]
.LBB4_2862:                             ;   in Loop: Header=BB4_2858 Depth=4
	s_wait_xcnt 0x0
	s_or_b32 exec_lo, exec_lo, vcc_hi
	v_sub_nc_u32_e32 v43, v43, v78
	v_add_nc_u64_e32 v[22:23], v[100:101], v[22:23]
	s_delay_alu instid0(VALU_DEP_2)
	v_cmp_lt_i32_e64 s95, 15, v43
	s_and_saveexec_b32 s14, s95
	s_cbranch_execz .LBB4_2864
; %bb.2863:                             ;   in Loop: Header=BB4_2858 Depth=4
	global_load_b128 v[8:11], v[22:23], off th:TH_LOAD_NT
	s_wait_xcnt 0x0
	v_add_nc_u64_e32 v[22:23], 0x200, v[22:23]
.LBB4_2864:                             ;   in Loop: Header=BB4_2858 Depth=4
	s_or_b32 exec_lo, exec_lo, s14
	s_mov_b64 s[40:41], 0
	s_mov_b32 vcc_hi, -1
.LBB4_2865:                             ;   Parent Loop BB4_47 Depth=1
                                        ;     Parent Loop BB4_2777 Depth=2
                                        ;       Parent Loop BB4_2780 Depth=3
                                        ;         Parent Loop BB4_2858 Depth=4
                                        ; =>        This Inner Loop Header: Depth=5
	s_cmp_eq_u32 s40, 1
	s_cselect_b32 vcc_lo, -1, 0
	s_cmp_eq_u32 s40, 0
	s_wait_xcnt 0x0
	v_dual_cndmask_b32 v63, v19, v21 :: v_dual_cndmask_b32 v62, v18, v20
	s_cselect_b32 s14, -1, 0
	s_and_b32 s15, exec_lo, vcc_hi
	s_mov_b64 s[40:41], 1
	s_mov_b32 vcc_hi, 0
	v_add_nc_u64_e32 v[90:91], 0x200, v[62:63]
	s_wait_loadcnt 0x0
	global_store_b128 v[62:63], v[12:15], off th:TH_STORE_NT
	v_dual_cndmask_b32 v21, v21, v91 :: v_dual_cndmask_b32 v20, v20, v90
	v_dual_cndmask_b32 v19, v19, v91, s14 :: v_dual_cndmask_b32 v18, v18, v90, s14
	s_mov_b32 vcc_lo, s15
	s_cbranch_vccnz .LBB4_2865
; %bb.2866:                             ;   in Loop: Header=BB4_2858 Depth=4
	v_sub_nc_u32_e32 v60, v60, v52
	s_wait_xcnt 0x0
	s_and_saveexec_b32 s14, s95
	s_cbranch_execz .LBB4_2857
; %bb.2867:                             ;   in Loop: Header=BB4_2858 Depth=4
	v_add_nc_u64_e32 v[18:19], v[18:19], v[84:85]
	v_add_nc_u64_e32 v[20:21], v[20:21], v[84:85]
	;; [unrolled: 1-line block ×3, first 2 shown]
	v_dual_sub_nc_u32 v43, v43, v78 :: v_dual_sub_nc_u32 v60, v60, v52
	s_branch .LBB4_2857
.LBB4_2868:                             ;   in Loop: Header=BB4_2780 Depth=3
	s_mov_b32 s13, 0
	s_and_saveexec_b32 s14, s2
	s_cbranch_execnz .LBB4_2985
.LBB4_2869:                             ;   in Loop: Header=BB4_2780 Depth=3
	s_or_b32 exec_lo, exec_lo, s14
                                        ; implicit-def: $vgpr2
	s_and_saveexec_b32 s14, s12
	s_delay_alu instid0(SALU_CYCLE_1)
	s_xor_b32 s14, exec_lo, s14
	s_cbranch_execz .LBB4_3003
.LBB4_2870:                             ;   in Loop: Header=BB4_2780 Depth=3
	v_and_b32_e32 v2, 16, v30
	s_delay_alu instid0(VALU_DEP_1) | instskip(SKIP_2) | instid1(SALU_CYCLE_1)
	v_cmp_ne_u32_e32 vcc_lo, 0, v2
	v_and_b32_e32 v2, 16, v30
	s_and_b32 s15, vcc_lo, s13
	s_and_saveexec_b32 s13, s15
	s_cbranch_execz .LBB4_2872
; %bb.2871:                             ;   in Loop: Header=BB4_2780 Depth=3
	v_mov_b32_e32 v2, 1
	global_wb scope:SCOPE_SYS
	s_wait_storecnt 0x0
	s_wait_loadcnt_dscnt 0x0
	global_inv scope:SCOPE_SYS
.LBB4_2872:                             ;   in Loop: Header=BB4_2780 Depth=3
	s_or_b32 exec_lo, exec_lo, s13
	s_and_not1_saveexec_b32 s13, s14
	s_cbranch_execz .LBB4_3022
	s_branch .LBB4_3004
.LBB4_2873:                             ;   in Loop: Header=BB4_2780 Depth=3
	s_mov_b32 s91, 0
	v_mov_b32_e32 v19, 0
	s_and_not1_b32 vcc_lo, exec_lo, s13
	s_cbranch_vccz .LBB4_2855
.LBB4_2874:                             ;   in Loop: Header=BB4_2780 Depth=3
	v_dual_mov_b32 v18, v41 :: v_dual_mov_b32 v8, v0
	v_mov_b32_e32 v20, v73
	s_and_saveexec_b32 s15, s91
	s_cbranch_execnz .LBB4_2901
	s_branch .LBB4_2926
.LBB4_2875:                             ;   in Loop: Header=BB4_2780 Depth=3
	s_or_b32 exec_lo, exec_lo, s93
	s_delay_alu instid0(SALU_CYCLE_1)
	s_and_b32 s14, s94, exec_lo
.LBB4_2876:                             ;   in Loop: Header=BB4_2780 Depth=3
	s_or_b32 exec_lo, exec_lo, s92
	s_and_saveexec_b32 s92, s14
	s_cbranch_execz .LBB4_2879
; %bb.2877:                             ;   in Loop: Header=BB4_2780 Depth=3
	s_mov_b64 s[40:41], 0
	s_mov_b32 s93, -1
.LBB4_2878:                             ;   Parent Loop BB4_47 Depth=1
                                        ;     Parent Loop BB4_2777 Depth=2
                                        ;       Parent Loop BB4_2780 Depth=3
                                        ; =>      This Inner Loop Header: Depth=4
	s_cmp_eq_u32 s40, 1
	s_cselect_b32 vcc_lo, -1, 0
	s_cmp_eq_u32 s40, 0
	s_wait_xcnt 0x0
	v_dual_cndmask_b32 v13, v19, v21 :: v_dual_cndmask_b32 v12, v18, v20
	s_cselect_b32 s14, -1, 0
	s_and_b32 s15, exec_lo, s93
	s_mov_b64 s[40:41], 1
	s_mov_b32 s93, 0
	v_add_nc_u64_e32 v[14:15], 0x200, v[12:13]
	global_store_b128 v[12:13], v[8:11], off th:TH_STORE_NT
	v_dual_cndmask_b32 v21, v21, v15 :: v_dual_cndmask_b32 v20, v20, v14
	v_dual_cndmask_b32 v19, v19, v15, s14 :: v_dual_cndmask_b32 v18, v18, v14, s14
	s_mov_b32 vcc_lo, s15
	s_cbranch_vccnz .LBB4_2878
.LBB4_2879:                             ;   in Loop: Header=BB4_2780 Depth=3
	s_wait_xcnt 0x0
	s_or_b32 exec_lo, exec_lo, s92
	v_and_b32_e32 v9, 14, v41
	s_mov_b32 s92, exec_lo
                                        ; implicit-def: $vgpr18
                                        ; implicit-def: $vgpr19
                                        ; implicit-def: $vgpr8
                                        ; implicit-def: $vgpr20
	s_delay_alu instid0(VALU_DEP_1) | instskip(NEXT) | instid1(VALU_DEP_1)
	v_cndmask_b32_e64 v43, v59, v9, s13
	v_cmpx_ne_u32_e32 0, v43
	s_cbranch_execz .LBB4_2900
; %bb.2880:                             ;   in Loop: Header=BB4_2780 Depth=3
	v_cmp_lt_i32_e32 vcc_lo, 0, v60
	s_mov_b32 s14, 0
	s_mov_b32 s93, exec_lo
	v_dual_ashrrev_i32 v12, 31, v43 :: v_dual_sub_nc_u32 v9, v59, v9
	s_delay_alu instid0(VALU_DEP_1) | instskip(NEXT) | instid1(VALU_DEP_1)
	v_dual_cndmask_b32 v8, 0, v52, vcc_lo :: v_dual_cndmask_b32 v9, 0, v9, s13
	v_dual_sub_nc_u32 v8, v8, v60 :: v_dual_add_nc_u32 v58, v9, v58
	s_delay_alu instid0(VALU_DEP_1) | instskip(NEXT) | instid1(VALU_DEP_1)
	v_lshl_or_b32 v8, v8, 5, v73
	v_ashrrev_i32_e32 v10, 31, v8
	s_delay_alu instid0(VALU_DEP_1) | instskip(NEXT) | instid1(VALU_DEP_1)
	v_lshrrev_b32_e32 v10, 27, v10
	v_add_nc_u32_e32 v10, v8, v10
	s_delay_alu instid0(VALU_DEP_1) | instskip(NEXT) | instid1(VALU_DEP_1)
	v_and_b32_e32 v11, 0xffffffe0, v10
	v_dual_sub_nc_u32 v59, v8, v11 :: v_dual_lshrrev_b32 v8, 23, v12
	s_delay_alu instid0(VALU_DEP_1) | instskip(NEXT) | instid1(VALU_DEP_2)
	v_dual_ashrrev_i32 v12, 5, v10 :: v_dual_lshlrev_b32 v10, 4, v59
	v_add_nc_u32_e32 v8, v43, v8
	s_delay_alu instid0(VALU_DEP_2) | instskip(NEXT) | instid1(VALU_DEP_2)
	v_lshl_add_u32 v9, v12, 9, v10
	v_and_b32_e32 v60, 0xfffffe00, v8
	s_delay_alu instid0(VALU_DEP_1) | instskip(NEXT) | instid1(VALU_DEP_1)
	v_dual_add_nc_u32 v10, v9, v58 :: v_dual_sub_nc_u32 v61, v43, v60
	v_dual_ashrrev_i32 v8, 9, v8 :: v_dual_ashrrev_i32 v11, 31, v10
	s_delay_alu instid0(VALU_DEP_2) | instskip(NEXT) | instid1(VALU_DEP_2)
	v_cmp_lt_i32_e64 s13, 15, v61
	v_add_nc_u64_e32 v[18:19], v[10:11], v[56:57]
	s_delay_alu instid0(VALU_DEP_2) | instskip(SKIP_1) | instid1(VALU_DEP_2)
	v_add_co_ci_u32_e64 v8, null, 0, v8, s13
	v_add_nc_u64_e32 v[20:21], v[10:11], v[16:17]
	v_dual_sub_nc_u32 v63, v43, v9 :: v_dual_sub_nc_u32 v62, v8, v12
                                        ; implicit-def: $vgpr8_vgpr9
	s_delay_alu instid0(VALU_DEP_1)
	v_cmpx_lt_i32_e32 15, v63
	s_cbranch_execz .LBB4_2894
; %bb.2881:                             ;   in Loop: Header=BB4_2780 Depth=3
	v_add_nc_u64_e32 v[22:23], v[10:11], v[46:47]
	s_mov_b32 vcc_hi, 0
	s_mov_b32 s94, 0
                                        ; implicit-def: $sgpr95
                                        ; implicit-def: $vgpr8_vgpr9
	s_branch .LBB4_2883
.LBB4_2882:                             ;   in Loop: Header=BB4_2883 Depth=4
	s_or_b32 exec_lo, exec_lo, s14
	s_delay_alu instid0(VALU_DEP_1) | instskip(SKIP_3) | instid1(SALU_CYCLE_1)
	v_cmp_gt_i32_e32 vcc_lo, 16, v63
	s_or_b32 s94, vcc_lo, s94
	s_and_not1_b32 s14, s95, exec_lo
	s_and_b32 s15, vcc_hi, exec_lo
	s_or_b32 s95, s14, s15
	s_and_not1_b32 exec_lo, exec_lo, s94
	s_cbranch_execz .LBB4_2893
.LBB4_2883:                             ;   Parent Loop BB4_47 Depth=1
                                        ;     Parent Loop BB4_2777 Depth=2
                                        ;       Parent Loop BB4_2780 Depth=3
                                        ; =>      This Loop Header: Depth=4
                                        ;           Child Loop BB4_2885 Depth 5
                                        ;           Child Loop BB4_2890 Depth 5
	global_load_b128 v[12:15], v[22:23], off th:TH_LOAD_NT
	s_wait_xcnt 0x0
	s_and_saveexec_b32 s30, vcc_hi
	s_cbranch_execz .LBB4_2887
; %bb.2884:                             ;   in Loop: Header=BB4_2883 Depth=4
	s_mov_b64 s[40:41], 0
	s_mov_b32 vcc_hi, -1
.LBB4_2885:                             ;   Parent Loop BB4_47 Depth=1
                                        ;     Parent Loop BB4_2777 Depth=2
                                        ;       Parent Loop BB4_2780 Depth=3
                                        ;         Parent Loop BB4_2883 Depth=4
                                        ; =>        This Inner Loop Header: Depth=5
	s_cmp_eq_u32 s40, 1
	s_cselect_b32 vcc_lo, -1, 0
	s_cmp_eq_u32 s40, 0
	s_wait_xcnt 0x0
	v_dual_cndmask_b32 v91, v19, v21 :: v_dual_cndmask_b32 v90, v18, v20
	s_cselect_b32 s14, -1, 0
	s_and_b32 s15, exec_lo, vcc_hi
	s_mov_b64 s[40:41], 1
	s_mov_b32 vcc_hi, 0
	v_add_nc_u64_e32 v[92:93], 0x200, v[90:91]
	global_store_b128 v[90:91], v[8:11], off th:TH_STORE_NT
	v_dual_cndmask_b32 v21, v21, v93 :: v_dual_cndmask_b32 v20, v20, v92
	v_dual_cndmask_b32 v19, v19, v93, s14 :: v_dual_cndmask_b32 v18, v18, v92, s14
	s_mov_b32 vcc_lo, s15
	s_cbranch_vccnz .LBB4_2885
; %bb.2886:                             ;   in Loop: Header=BB4_2883 Depth=4
	s_delay_alu instid0(VALU_DEP_1)
	v_add_nc_u64_e32 v[18:19], v[18:19], v[84:85]
	v_add_nc_u64_e32 v[20:21], v[20:21], v[84:85]
.LBB4_2887:                             ;   in Loop: Header=BB4_2883 Depth=4
	s_wait_xcnt 0x0
	s_or_b32 exec_lo, exec_lo, s30
	v_sub_nc_u32_e32 v63, v63, v78
	v_add_nc_u64_e32 v[22:23], v[100:101], v[22:23]
	s_delay_alu instid0(VALU_DEP_2)
	v_cmp_lt_i32_e64 vcc_hi, 15, v63
	s_and_saveexec_b32 s14, vcc_hi
	s_cbranch_execz .LBB4_2889
; %bb.2888:                             ;   in Loop: Header=BB4_2883 Depth=4
	global_load_b128 v[8:11], v[22:23], off th:TH_LOAD_NT
	s_wait_xcnt 0x0
	v_add_nc_u64_e32 v[22:23], 0x200, v[22:23]
.LBB4_2889:                             ;   in Loop: Header=BB4_2883 Depth=4
	s_or_b32 exec_lo, exec_lo, s14
	s_mov_b64 s[40:41], 0
	s_mov_b32 s30, -1
.LBB4_2890:                             ;   Parent Loop BB4_47 Depth=1
                                        ;     Parent Loop BB4_2777 Depth=2
                                        ;       Parent Loop BB4_2780 Depth=3
                                        ;         Parent Loop BB4_2883 Depth=4
                                        ; =>        This Inner Loop Header: Depth=5
	s_cmp_eq_u32 s40, 1
	s_cselect_b32 vcc_lo, -1, 0
	s_cmp_eq_u32 s40, 0
	s_wait_xcnt 0x0
	v_dual_cndmask_b32 v91, v19, v21 :: v_dual_cndmask_b32 v90, v18, v20
	s_cselect_b32 s14, -1, 0
	s_and_b32 s15, exec_lo, s30
	s_mov_b64 s[40:41], 1
	s_mov_b32 s30, 0
	v_add_nc_u64_e32 v[92:93], 0x200, v[90:91]
	s_wait_loadcnt 0x0
	global_store_b128 v[90:91], v[12:15], off th:TH_STORE_NT
	v_dual_cndmask_b32 v21, v21, v93 :: v_dual_cndmask_b32 v20, v20, v92
	v_dual_cndmask_b32 v19, v19, v93, s14 :: v_dual_cndmask_b32 v18, v18, v92, s14
	s_mov_b32 vcc_lo, s15
	s_cbranch_vccnz .LBB4_2890
; %bb.2891:                             ;   in Loop: Header=BB4_2883 Depth=4
	v_sub_nc_u32_e32 v62, v62, v52
	s_wait_xcnt 0x0
	s_and_saveexec_b32 s14, vcc_hi
	s_cbranch_execz .LBB4_2882
; %bb.2892:                             ;   in Loop: Header=BB4_2883 Depth=4
	v_add_nc_u64_e32 v[18:19], v[18:19], v[84:85]
	v_add_nc_u64_e32 v[20:21], v[20:21], v[84:85]
	;; [unrolled: 1-line block ×3, first 2 shown]
	v_dual_sub_nc_u32 v63, v63, v78 :: v_dual_sub_nc_u32 v62, v62, v52
	s_branch .LBB4_2882
.LBB4_2893:                             ;   in Loop: Header=BB4_2780 Depth=3
	s_or_b32 exec_lo, exec_lo, s94
	s_delay_alu instid0(SALU_CYCLE_1)
	s_and_b32 s14, s95, exec_lo
.LBB4_2894:                             ;   in Loop: Header=BB4_2780 Depth=3
	s_or_b32 exec_lo, exec_lo, s93
	s_and_saveexec_b32 s93, s14
	s_cbranch_execz .LBB4_2897
; %bb.2895:                             ;   in Loop: Header=BB4_2780 Depth=3
	s_mov_b64 s[40:41], 0
	s_mov_b32 s94, -1
.LBB4_2896:                             ;   Parent Loop BB4_47 Depth=1
                                        ;     Parent Loop BB4_2777 Depth=2
                                        ;       Parent Loop BB4_2780 Depth=3
                                        ; =>      This Inner Loop Header: Depth=4
	s_cmp_eq_u32 s40, 1
	s_cselect_b32 vcc_lo, -1, 0
	s_cmp_eq_u32 s40, 0
	s_wait_xcnt 0x0
	v_dual_cndmask_b32 v13, v19, v21 :: v_dual_cndmask_b32 v12, v18, v20
	s_cselect_b32 s14, -1, 0
	s_and_b32 s15, exec_lo, s94
	s_mov_b64 s[40:41], 1
	s_mov_b32 s94, 0
	v_add_nc_u64_e32 v[14:15], 0x200, v[12:13]
	global_store_b128 v[12:13], v[8:11], off th:TH_STORE_NT
	v_dual_cndmask_b32 v21, v21, v15 :: v_dual_cndmask_b32 v20, v20, v14
	v_dual_cndmask_b32 v19, v19, v15, s14 :: v_dual_cndmask_b32 v18, v18, v14, s14
	s_mov_b32 vcc_lo, s15
	s_cbranch_vccnz .LBB4_2896
.LBB4_2897:                             ;   in Loop: Header=BB4_2780 Depth=3
	s_wait_xcnt 0x0
	s_or_b32 exec_lo, exec_lo, s93
	v_and_b32_e32 v9, 14, v43
	s_mov_b32 s15, s91
	s_mov_b32 s14, exec_lo
                                        ; implicit-def: $vgpr19
                                        ; implicit-def: $vgpr8
                                        ; implicit-def: $vgpr20
	s_delay_alu instid0(VALU_DEP_1) | instskip(NEXT) | instid1(VALU_DEP_1)
	v_cndmask_b32_e64 v18, v61, v9, s13
	v_cmpx_ne_u32_e32 0, v18
	s_cbranch_execz .LBB4_2899
; %bb.2898:                             ;   in Loop: Header=BB4_2780 Depth=3
	v_cmp_lt_i32_e32 vcc_lo, 0, v62
	s_or_b32 s15, s91, exec_lo
	v_dual_cndmask_b32 v8, 0, v52 :: v_dual_sub_nc_u32 v9, v61, v9
	s_delay_alu instid0(VALU_DEP_1) | instskip(NEXT) | instid1(VALU_DEP_1)
	v_dual_cndmask_b32 v9, 0, v9, s13 :: v_dual_sub_nc_u32 v8, v8, v62
	v_add3_u32 v19, v60, v58, v9
	s_delay_alu instid0(VALU_DEP_2) | instskip(NEXT) | instid1(VALU_DEP_1)
	v_lshl_add_u32 v8, v8, 5, v59
	v_ashrrev_i32_e32 v10, 31, v8
	s_delay_alu instid0(VALU_DEP_1) | instskip(NEXT) | instid1(VALU_DEP_1)
	v_lshrrev_b32_e32 v10, 27, v10
	v_add_nc_u32_e32 v10, v8, v10
	s_delay_alu instid0(VALU_DEP_1) | instskip(NEXT) | instid1(VALU_DEP_1)
	v_and_b32_e32 v10, 0xffffffe0, v10
	v_sub_nc_u32_e32 v20, v8, v10
.LBB4_2899:                             ;   in Loop: Header=BB4_2780 Depth=3
	s_or_b32 exec_lo, exec_lo, s14
	s_delay_alu instid0(SALU_CYCLE_1) | instskip(SKIP_1) | instid1(SALU_CYCLE_1)
	s_and_not1_b32 s13, s91, exec_lo
	s_and_b32 s14, s15, exec_lo
	s_or_b32 s91, s13, s14
.LBB4_2900:                             ;   in Loop: Header=BB4_2780 Depth=3
	s_or_b32 exec_lo, exec_lo, s92
	s_and_saveexec_b32 s15, s91
	s_cbranch_execz .LBB4_2926
.LBB4_2901:                             ;   in Loop: Header=BB4_2780 Depth=3
	v_ashrrev_i32_e32 v9, 31, v8
	s_mov_b32 s14, 0
	s_mov_b32 s13, exec_lo
                                        ; implicit-def: $vgpr22
                                        ; implicit-def: $vgpr23
                                        ; implicit-def: $vgpr43
                                        ; implicit-def: $vgpr58
	s_delay_alu instid0(VALU_DEP_1) | instskip(NEXT) | instid1(VALU_DEP_1)
	v_dual_lshlrev_b32 v10, 1, v20 :: v_dual_lshrrev_b32 v9, 27, v9
	v_dual_add_nc_u32 v8, v8, v9 :: v_dual_ashrrev_i32 v9, 31, v18
	s_delay_alu instid0(VALU_DEP_1) | instskip(NEXT) | instid1(VALU_DEP_1)
	v_dual_ashrrev_i32 v8, 5, v8 :: v_dual_lshrrev_b32 v9, 24, v9
	v_lshlrev_b32_e32 v11, 8, v8
	s_delay_alu instid0(VALU_DEP_1) | instskip(NEXT) | instid1(VALU_DEP_1)
	v_add3_u32 v12, v19, v10, v11
	v_dual_add_nc_u32 v9, v18, v9 :: v_dual_ashrrev_i32 v13, 31, v12
	s_delay_alu instid0(VALU_DEP_1) | instskip(NEXT) | instid1(VALU_DEP_2)
	v_ashrrev_i32_e32 v21, 8, v9
	v_add_nc_u64_e32 v[10:11], v[56:57], v[12:13]
	s_delay_alu instid0(VALU_DEP_2) | instskip(SKIP_1) | instid1(VALU_DEP_2)
	v_sub_nc_u32_e32 v59, v21, v8
	v_add_nc_u64_e32 v[8:9], v[16:17], v[12:13]
	v_cmpx_lt_i32_e32 0, v59
	s_cbranch_execz .LBB4_2909
; %bb.2902:                             ;   in Loop: Header=BB4_2780 Depth=3
	v_add_nc_u64_e32 v[12:13], v[12:13], v[46:47]
	s_mov_b32 s41, 0
                                        ; implicit-def: $sgpr40
                                        ; implicit-def: $vgpr22
                                        ; implicit-def: $vgpr23
                                        ; implicit-def: $vgpr43
                                        ; implicit-def: $vgpr58
	s_branch .LBB4_2904
.LBB4_2903:                             ;   in Loop: Header=BB4_2904 Depth=4
	s_or_b32 exec_lo, exec_lo, s91
	v_add_nc_u64_e32 v[90:91], 0x100, v[10:11]
	v_add_nc_u64_e32 v[92:93], 0x100, v[8:9]
	s_wait_loadcnt_dscnt 0x303
	flat_store_b16 v[10:11], v60 th:TH_STORE_NT
	s_wait_loadcnt_dscnt 0x203
	flat_store_b16 v[10:11], v61 offset:64 th:TH_STORE_NT
	s_wait_loadcnt_dscnt 0x103
	flat_store_b16 v[10:11], v62 offset:128 th:TH_STORE_NT
	s_wait_loadcnt_dscnt 0x3
	flat_store_b16 v[10:11], v63 offset:192 th:TH_STORE_NT
	v_add_nc_u64_e32 v[12:13], v[12:13], v[14:15]
	s_clause 0x3
	flat_store_b16 v[8:9], v60 th:TH_STORE_NT
	flat_store_b16 v[8:9], v61 offset:64 th:TH_STORE_NT
	flat_store_b16 v[8:9], v62 offset:128 th:TH_STORE_NT
	;; [unrolled: 1-line block ×3, first 2 shown]
	s_wait_xcnt 0x4
	v_add_nc_u64_e32 v[10:11], v[90:91], v[82:83]
	v_sub_nc_u32_e32 v59, v59, v89
	v_add_nc_u64_e32 v[94:95], v[92:93], v[82:83]
	s_delay_alu instid0(VALU_DEP_3) | instskip(NEXT) | instid1(VALU_DEP_3)
	v_cndmask_b32_e64 v10, v90, v10, s41
	v_cmp_gt_i32_e32 vcc_lo, 1, v59
	s_wait_xcnt 0x0
	s_delay_alu instid0(VALU_DEP_3) | instskip(NEXT) | instid1(VALU_DEP_4)
	v_dual_cndmask_b32 v11, v91, v11, s41 :: v_dual_cndmask_b32 v8, v92, v94, s41
	v_cndmask_b32_e64 v9, v93, v95, s41
	s_or_b32 s14, vcc_lo, s14
	s_and_not1_b32 s40, s40, exec_lo
	s_and_b32 s91, s41, exec_lo
	s_delay_alu instid0(SALU_CYCLE_1)
	s_or_b32 s40, s40, s91
	s_and_not1_b32 exec_lo, exec_lo, s14
	s_cbranch_execz .LBB4_2908
.LBB4_2904:                             ;   Parent Loop BB4_47 Depth=1
                                        ;     Parent Loop BB4_2777 Depth=2
                                        ;       Parent Loop BB4_2780 Depth=3
                                        ; =>      This Inner Loop Header: Depth=4
	s_clause 0x3
	flat_load_u16 v60, v[12:13] th:TH_LOAD_NT
	flat_load_u16 v61, v[12:13] offset:64 th:TH_LOAD_NT
	flat_load_u16 v62, v[12:13] offset:128 th:TH_LOAD_NT
	;; [unrolled: 1-line block ×3, first 2 shown]
	s_wait_xcnt 0x0
	s_and_saveexec_b32 s91, s41
	s_cbranch_execz .LBB4_2906
; %bb.2905:                             ;   in Loop: Header=BB4_2904 Depth=4
	s_clause 0x3
	flat_store_b16 v[10:11], v22 th:TH_STORE_NT
	flat_store_b16 v[10:11], v23 offset:64 th:TH_STORE_NT
	flat_store_b16 v[10:11], v43 offset:128 th:TH_STORE_NT
	;; [unrolled: 1-line block ×3, first 2 shown]
	s_clause 0x3
	flat_store_b16 v[8:9], v22 th:TH_STORE_NT
	flat_store_b16 v[8:9], v23 offset:64 th:TH_STORE_NT
	flat_store_b16 v[8:9], v43 offset:128 th:TH_STORE_NT
	;; [unrolled: 1-line block ×3, first 2 shown]
	s_wait_xcnt 0x4
	v_add_nc_u64_e32 v[10:11], v[10:11], v[98:99]
	s_wait_xcnt 0x0
	v_add_nc_u64_e32 v[8:9], v[8:9], v[98:99]
.LBB4_2906:                             ;   in Loop: Header=BB4_2904 Depth=4
	s_or_b32 exec_lo, exec_lo, s91
	v_dual_sub_nc_u32 v59, v59, v52 :: v_dual_mov_b32 v89, 0
	v_add_nc_u64_e32 v[12:13], v[12:13], v[98:99]
	v_mov_b64_e32 v[14:15], 0
	s_delay_alu instid0(VALU_DEP_3)
	v_cmp_lt_i32_e64 s41, 0, v59
	s_and_saveexec_b32 s91, s41
	s_cbranch_execz .LBB4_2903
; %bb.2907:                             ;   in Loop: Header=BB4_2904 Depth=4
	s_clause 0x3
	flat_load_u16 v22, v[12:13] th:TH_LOAD_NT
	flat_load_u16 v23, v[12:13] offset:64 th:TH_LOAD_NT
	flat_load_u16 v43, v[12:13] offset:128 th:TH_LOAD_NT
	;; [unrolled: 1-line block ×3, first 2 shown]
	s_wait_xcnt 0x0
	v_add_nc_u64_e32 v[12:13], 0x100, v[12:13]
	v_mov_b64_e32 v[14:15], v[82:83]
	v_mov_b32_e32 v89, v52
	s_branch .LBB4_2903
.LBB4_2908:                             ;   in Loop: Header=BB4_2780 Depth=3
	s_or_b32 exec_lo, exec_lo, s14
	s_delay_alu instid0(SALU_CYCLE_1)
	s_and_b32 s14, s40, exec_lo
.LBB4_2909:                             ;   in Loop: Header=BB4_2780 Depth=3
	s_or_b32 exec_lo, exec_lo, s13
	s_and_saveexec_b32 s13, s14
	s_cbranch_execz .LBB4_2911
; %bb.2910:                             ;   in Loop: Header=BB4_2780 Depth=3
	s_clause 0x3
	flat_store_b16 v[10:11], v22 th:TH_STORE_NT
	flat_store_b16 v[10:11], v23 offset:64 th:TH_STORE_NT
	flat_store_b16 v[10:11], v43 offset:128 th:TH_STORE_NT
	;; [unrolled: 1-line block ×3, first 2 shown]
	s_clause 0x3
	flat_store_b16 v[8:9], v22 th:TH_STORE_NT
	flat_store_b16 v[8:9], v23 offset:64 th:TH_STORE_NT
	flat_store_b16 v[8:9], v43 offset:128 th:TH_STORE_NT
	flat_store_b16 v[8:9], v58 offset:192 th:TH_STORE_NT
.LBB4_2911:                             ;   in Loop: Header=BB4_2780 Depth=3
	s_wait_xcnt 0x0
	s_or_b32 exec_lo, exec_lo, s13
	v_lshlrev_b32_e32 v8, 8, v21
	s_delay_alu instid0(VALU_DEP_1)
	v_cmp_ne_u32_e32 vcc_lo, v18, v8
	s_and_b32 exec_lo, exec_lo, vcc_lo
	s_cbranch_execz .LBB4_2926
; %bb.2912:                             ;   in Loop: Header=BB4_2780 Depth=3
	v_lshlrev_b32_e32 v9, 5, v59
	s_delay_alu instid0(VALU_DEP_1) | instskip(NEXT) | instid1(VALU_DEP_1)
	v_sub_nc_u32_e32 v9, v20, v9
	v_ashrrev_i32_e32 v10, 31, v9
	s_delay_alu instid0(VALU_DEP_1) | instskip(NEXT) | instid1(VALU_DEP_1)
	v_lshrrev_b32_e32 v10, 27, v10
	v_add_nc_u32_e32 v10, v9, v10
	s_delay_alu instid0(VALU_DEP_1) | instskip(NEXT) | instid1(VALU_DEP_1)
	v_and_b32_e32 v11, 0x7fffffe0, v10
	v_dual_lshlrev_b32 v10, 1, v10 :: v_dual_sub_nc_u32 v9, v9, v11
	s_delay_alu instid0(VALU_DEP_1) | instskip(NEXT) | instid1(VALU_DEP_2)
	v_and_b32_e32 v10, 0xffffffc0, v10
	v_lshlrev_b32_e32 v9, 1, v9
	s_delay_alu instid0(VALU_DEP_1) | instskip(NEXT) | instid1(VALU_DEP_1)
	v_add3_u32 v8, v10, v9, v8
	v_sub_nc_u32_e32 v20, v18, v8
	s_delay_alu instid0(VALU_DEP_1)
	v_cmp_lt_i32_e32 vcc_lo, 1, v20
	s_and_b32 exec_lo, exec_lo, vcc_lo
	s_cbranch_execz .LBB4_2926
; %bb.2913:                             ;   in Loop: Header=BB4_2780 Depth=3
	v_add_nc_u32_e32 v12, v8, v19
	s_mov_b32 s93, 0
	s_mov_b32 s91, 0
                                        ; implicit-def: $sgpr92
                                        ; implicit-def: $vgpr18
	s_delay_alu instid0(VALU_DEP_1) | instskip(NEXT) | instid1(VALU_DEP_1)
	v_ashrrev_i32_e32 v13, 31, v12
	v_add_nc_u64_e32 v[8:9], v[56:57], v[12:13]
	v_add_nc_u64_e32 v[10:11], v[16:17], v[12:13]
	;; [unrolled: 1-line block ×3, first 2 shown]
.LBB4_2914:                             ;   Parent Loop BB4_47 Depth=1
                                        ;     Parent Loop BB4_2777 Depth=2
                                        ;       Parent Loop BB4_2780 Depth=3
                                        ; =>      This Loop Header: Depth=4
                                        ;           Child Loop BB4_2916 Depth 5
                                        ;           Child Loop BB4_2921 Depth 5
	flat_load_u16 v14, v[12:13] th:TH_LOAD_NT
	s_wait_xcnt 0x0
	s_and_saveexec_b32 s94, s93
	s_cbranch_execz .LBB4_2918
; %bb.2915:                             ;   in Loop: Header=BB4_2914 Depth=4
	s_mov_b64 s[40:41], 0
	s_mov_b32 s93, -1
.LBB4_2916:                             ;   Parent Loop BB4_47 Depth=1
                                        ;     Parent Loop BB4_2777 Depth=2
                                        ;       Parent Loop BB4_2780 Depth=3
                                        ;         Parent Loop BB4_2914 Depth=4
                                        ; =>        This Inner Loop Header: Depth=5
	s_cmp_eq_u32 s40, 1
	s_cselect_b32 vcc_lo, -1, 0
	s_cmp_eq_u32 s40, 0
	s_wait_xcnt 0x0
	v_dual_cndmask_b32 v17, v9, v11 :: v_dual_cndmask_b32 v16, v8, v10
	s_cselect_b32 s13, -1, 0
	s_and_b32 s14, exec_lo, s93
	s_mov_b64 s[40:41], 1
	s_mov_b32 s93, 0
	v_add_nc_u64_e32 v[22:23], 64, v[16:17]
	flat_store_b16 v[16:17], v18 th:TH_STORE_NT
	v_dual_cndmask_b32 v11, v11, v23 :: v_dual_cndmask_b32 v10, v10, v22
	v_dual_cndmask_b32 v9, v9, v23, s13 :: v_dual_cndmask_b32 v8, v8, v22, s13
	s_mov_b32 vcc_lo, s14
	s_cbranch_vccnz .LBB4_2916
; %bb.2917:                             ;   in Loop: Header=BB4_2914 Depth=4
	s_delay_alu instid0(VALU_DEP_1)
	v_add_nc_u64_e32 v[8:9], v[8:9], v[86:87]
	v_add_nc_u64_e32 v[10:11], v[10:11], v[86:87]
.LBB4_2918:                             ;   in Loop: Header=BB4_2914 Depth=4
	s_wait_xcnt 0x0
	s_or_b32 exec_lo, exec_lo, s94
	v_sub_nc_u32_e32 v16, v20, v79
	v_add_nc_u64_e32 v[12:13], v[102:103], v[12:13]
	s_delay_alu instid0(VALU_DEP_2)
	v_cmp_lt_i32_e64 s93, 1, v16
	s_and_saveexec_b32 s13, s93
	s_cbranch_execz .LBB4_2920
; %bb.2919:                             ;   in Loop: Header=BB4_2914 Depth=4
	flat_load_u16 v18, v[12:13] th:TH_LOAD_NT
	s_wait_xcnt 0x0
	v_add_nc_u64_e32 v[12:13], 64, v[12:13]
.LBB4_2920:                             ;   in Loop: Header=BB4_2914 Depth=4
	s_or_b32 exec_lo, exec_lo, s13
	s_mov_b64 s[40:41], 0
	s_mov_b32 s94, -1
.LBB4_2921:                             ;   Parent Loop BB4_47 Depth=1
                                        ;     Parent Loop BB4_2777 Depth=2
                                        ;       Parent Loop BB4_2780 Depth=3
                                        ;         Parent Loop BB4_2914 Depth=4
                                        ; =>        This Inner Loop Header: Depth=5
	s_cmp_eq_u32 s40, 1
	s_cselect_b32 vcc_lo, -1, 0
	s_cmp_eq_u32 s40, 0
	s_wait_xcnt 0x0
	v_dual_cndmask_b32 v21, v9, v11 :: v_dual_cndmask_b32 v20, v8, v10
	s_cselect_b32 s13, -1, 0
	s_and_b32 s14, exec_lo, s94
	s_mov_b64 s[40:41], 1
	s_mov_b32 s94, 0
	v_add_nc_u64_e32 v[22:23], 64, v[20:21]
	s_wait_loadcnt_dscnt 0x0
	flat_store_b16 v[20:21], v14 th:TH_STORE_NT
	v_dual_cndmask_b32 v11, v11, v23 :: v_dual_cndmask_b32 v10, v10, v22
	v_dual_cndmask_b32 v9, v9, v23, s13 :: v_dual_cndmask_b32 v8, v8, v22, s13
	s_mov_b32 vcc_lo, s14
	s_cbranch_vccnz .LBB4_2921
; %bb.2922:                             ;   in Loop: Header=BB4_2914 Depth=4
	v_dual_cndmask_b32 v17, 0, v79, s93 :: v_dual_cndmask_b32 v22, 0, v86, s93
	v_cndmask_b32_e64 v23, 0, v87, s93
	s_wait_xcnt 0x0
	v_add_nc_u64_e32 v[14:15], v[10:11], v[86:87]
	s_delay_alu instid0(VALU_DEP_3) | instskip(SKIP_2) | instid1(VALU_DEP_4)
	v_sub_nc_u32_e32 v20, v16, v17
	v_add_nc_u64_e32 v[16:17], v[8:9], v[86:87]
	v_add_nc_u64_e32 v[12:13], v[12:13], v[22:23]
	v_dual_cndmask_b32 v11, v11, v15, s93 :: v_dual_cndmask_b32 v10, v10, v14, s93
	s_delay_alu instid0(VALU_DEP_4) | instskip(NEXT) | instid1(VALU_DEP_4)
	v_cmp_gt_i32_e32 vcc_lo, 2, v20
	v_dual_cndmask_b32 v9, v9, v17, s93 :: v_dual_cndmask_b32 v8, v8, v16, s93
	s_or_b32 s91, vcc_lo, s91
	s_and_not1_b32 s13, s92, exec_lo
	s_and_b32 s14, s93, exec_lo
	s_delay_alu instid0(SALU_CYCLE_1)
	s_or_b32 s92, s13, s14
	s_and_not1_b32 exec_lo, exec_lo, s91
	s_cbranch_execnz .LBB4_2914
; %bb.2923:                             ;   in Loop: Header=BB4_2780 Depth=3
	s_or_b32 exec_lo, exec_lo, s91
	s_delay_alu instid0(SALU_CYCLE_1)
	s_and_b32 exec_lo, exec_lo, s92
	s_cbranch_execz .LBB4_2926
; %bb.2924:                             ;   in Loop: Header=BB4_2780 Depth=3
	s_mov_b64 s[40:41], 0
	s_mov_b32 s91, -1
.LBB4_2925:                             ;   Parent Loop BB4_47 Depth=1
                                        ;     Parent Loop BB4_2777 Depth=2
                                        ;       Parent Loop BB4_2780 Depth=3
                                        ; =>      This Inner Loop Header: Depth=4
	s_cmp_eq_u32 s40, 1
	s_cselect_b32 vcc_lo, -1, 0
	s_cmp_eq_u32 s40, 0
	s_wait_xcnt 0x0
	v_dual_cndmask_b32 v9, v17, v15 :: v_dual_cndmask_b32 v8, v16, v14
	s_cselect_b32 s13, -1, 0
	s_and_b32 s14, exec_lo, s91
	s_mov_b64 s[40:41], 1
	s_mov_b32 s91, 0
	v_add_nc_u64_e32 v[10:11], 64, v[8:9]
	flat_store_b16 v[8:9], v18 th:TH_STORE_NT
	v_dual_cndmask_b32 v17, v17, v11, s13 :: v_dual_cndmask_b32 v16, v16, v10, s13
	v_dual_cndmask_b32 v15, v15, v11 :: v_dual_cndmask_b32 v14, v14, v10
	s_mov_b32 vcc_lo, s14
	s_cbranch_vccnz .LBB4_2925
.LBB4_2926:                             ;   in Loop: Header=BB4_2780 Depth=3
	s_wait_xcnt 0x0
	s_or_b32 exec_lo, exec_lo, s15
	s_mov_b32 s13, 0
.LBB4_2927:                             ;   in Loop: Header=BB4_2780 Depth=3
	s_delay_alu instid0(SALU_CYCLE_1)
	s_and_b32 vcc_lo, exec_lo, s13
	s_cbranch_vccz .LBB4_2941
; %bb.2928:                             ;   in Loop: Header=BB4_2780 Depth=3
	s_mov_b32 s13, -1
	s_and_saveexec_b32 s14, s10
	s_cbranch_execz .LBB4_2930
; %bb.2929:                             ;   in Loop: Header=BB4_2780 Depth=3
	ds_load_b32 v8, v0 offset:720
	s_wait_dscnt 0x0
	v_and_b32_e32 v8, 15, v8
	s_delay_alu instid0(VALU_DEP_1)
	v_cmp_eq_u32_e32 vcc_lo, 0, v8
	s_or_not1_b32 s13, vcc_lo, exec_lo
.LBB4_2930:                             ;   in Loop: Header=BB4_2780 Depth=3
	s_or_b32 exec_lo, exec_lo, s14
	s_and_saveexec_b32 s14, s7
	s_cbranch_execz .LBB4_2932
; %bb.2931:                             ;   in Loop: Header=BB4_2780 Depth=3
	ds_load_b32 v8, v0 offset:784
	s_wait_dscnt 0x0
	v_and_b32_e32 v8, 15, v8
	s_delay_alu instid0(VALU_DEP_1) | instskip(SKIP_3) | instid1(SALU_CYCLE_1)
	v_cmp_eq_u32_e32 vcc_lo, 0, v8
	s_and_b32 s15, s13, vcc_lo
	s_and_not1_b32 s13, s13, exec_lo
	s_and_b32 s15, s15, exec_lo
	s_or_b32 s13, s13, s15
.LBB4_2932:                             ;   in Loop: Header=BB4_2780 Depth=3
	s_or_b32 exec_lo, exec_lo, s14
	s_xor_b32 s13, s13, -1
	s_delay_alu instid0(SALU_CYCLE_1) | instskip(SKIP_1) | instid1(VALU_DEP_1)
	v_cndmask_b32_e64 v8, 0, 1, s13
	s_mov_b32 s13, -1
	v_cmp_ne_u32_e32 vcc_lo, 0, v8
	s_cbranch_vccz .LBB4_2942
; %bb.2933:                             ;   in Loop: Header=BB4_2780 Depth=3
	s_mov_b32 s14, -1
	v_mov_b32_e32 v14, 0
	s_cbranch_execnz .LBB4_2943
.LBB4_2934:                             ;   in Loop: Header=BB4_2780 Depth=3
	v_ashrrev_i32_e32 v8, 31, v41
	v_add_nc_u64_e32 v[58:59], v[56:57], v[70:71]
	s_mov_b32 s15, 0
	s_mov_b32 s13, exec_lo
                                        ; implicit-def: $vgpr12_vgpr13
	s_delay_alu instid0(VALU_DEP_2) | instskip(NEXT) | instid1(VALU_DEP_1)
	v_lshrrev_b32_e32 v8, 22, v8
	v_add_nc_u32_e32 v8, v41, v8
	s_delay_alu instid0(VALU_DEP_1) | instskip(NEXT) | instid1(VALU_DEP_1)
	v_ashrrev_i32_e32 v43, 10, v8
                                        ; implicit-def: $vgpr8_vgpr9
	v_sub_nc_u32_e32 v89, v43, v74
	s_delay_alu instid0(VALU_DEP_1)
	v_cmpx_lt_i32_e32 0, v89
	s_cbranch_execz .LBB4_2945
; %bb.2935:                             ;   in Loop: Header=BB4_2780 Depth=3
	v_add_nc_u64_e32 v[60:61], v[46:47], v[70:71]
	s_mov_b32 s41, 0
                                        ; implicit-def: $sgpr40
                                        ; implicit-def: $vgpr8_vgpr9
                                        ; implicit-def: $vgpr12_vgpr13
	s_branch .LBB4_2937
.LBB4_2936:                             ;   in Loop: Header=BB4_2937 Depth=4
	s_or_b32 exec_lo, exec_lo, s91
	s_delay_alu instid0(VALU_DEP_1) | instskip(NEXT) | instid1(VALU_DEP_3)
	v_sub_nc_u32_e32 v89, v89, v90
	v_add_nc_u64_e32 v[90:91], v[58:59], v[62:63]
	s_wait_loadcnt 0x1
	global_store_b128 v[58:59], v[16:19], off th:TH_STORE_NT
	s_wait_loadcnt 0x0
	global_store_b128 v[58:59], v[20:23], off offset:512 th:TH_STORE_NT
	v_add_nc_u64_e32 v[60:61], v[60:61], v[62:63]
	v_cmp_gt_i32_e32 vcc_lo, 1, v89
	s_wait_xcnt 0x0
	v_add_nc_u64_e32 v[58:59], 0x400, v[90:91]
	s_or_b32 s15, vcc_lo, s15
	s_and_not1_b32 s40, s40, exec_lo
	s_and_b32 s91, s41, exec_lo
	s_delay_alu instid0(SALU_CYCLE_1)
	s_or_b32 s40, s40, s91
	s_and_not1_b32 exec_lo, exec_lo, s15
	s_cbranch_execz .LBB4_2944
.LBB4_2937:                             ;   Parent Loop BB4_47 Depth=1
                                        ;     Parent Loop BB4_2777 Depth=2
                                        ;       Parent Loop BB4_2780 Depth=3
                                        ; =>      This Inner Loop Header: Depth=4
	s_clause 0x1
	global_load_b128 v[16:19], v[60:61], off th:TH_LOAD_NT
	global_load_b128 v[20:23], v[60:61], off offset:512 th:TH_LOAD_NT
	s_wait_xcnt 0x0
	s_and_saveexec_b32 s91, s41
	s_cbranch_execz .LBB4_2939
; %bb.2938:                             ;   in Loop: Header=BB4_2937 Depth=4
	v_add_nc_u64_e32 v[62:63], v[58:59], v[96:97]
	s_clause 0x1
	global_store_b128 v[58:59], v[8:11], off th:TH_STORE_NT
	global_store_b128 v[58:59], v[12:15], off offset:512 th:TH_STORE_NT
	s_wait_xcnt 0x0
	v_mov_b64_e32 v[58:59], v[62:63]
.LBB4_2939:                             ;   in Loop: Header=BB4_2937 Depth=4
	s_or_b32 exec_lo, exec_lo, s91
	v_dual_mov_b32 v90, 0 :: v_dual_sub_nc_u32 v89, v89, v52
	v_add_nc_u64_e32 v[60:61], v[60:61], v[96:97]
	v_mov_b64_e32 v[62:63], 0
	s_delay_alu instid0(VALU_DEP_3)
	v_cmp_lt_i32_e64 s41, 0, v89
	s_and_saveexec_b32 s91, s41
	s_cbranch_execz .LBB4_2936
; %bb.2940:                             ;   in Loop: Header=BB4_2937 Depth=4
	s_clause 0x1
	global_load_b128 v[8:11], v[60:61], off th:TH_LOAD_NT
	global_load_b128 v[12:15], v[60:61], off offset:512 th:TH_LOAD_NT
	s_wait_xcnt 0x0
	v_add_nc_u64_e32 v[60:61], 0x400, v[60:61]
	v_mov_b64_e32 v[62:63], v[80:81]
	v_mov_b32_e32 v90, v52
	s_branch .LBB4_2936
.LBB4_2941:                             ;   in Loop: Header=BB4_2780 Depth=3
	v_cmp_lt_i32_e64 s13, 0, v2
	s_and_saveexec_b32 s14, s2
	s_cbranch_execnz .LBB4_2985
	s_branch .LBB4_2869
.LBB4_2942:                             ;   in Loop: Header=BB4_2780 Depth=3
	s_mov_b32 s14, 0
	v_mov_b32_e32 v14, 0
	s_and_not1_b32 vcc_lo, exec_lo, s13
	s_cbranch_vccz .LBB4_2934
.LBB4_2943:                             ;   in Loop: Header=BB4_2780 Depth=3
	v_dual_mov_b32 v8, v0 :: v_dual_mov_b32 v15, v73
	s_and_saveexec_b32 s13, s14
	s_cbranch_execnz .LBB4_2964
	s_branch .LBB4_2984
.LBB4_2944:                             ;   in Loop: Header=BB4_2780 Depth=3
	s_or_b32 exec_lo, exec_lo, s15
	s_delay_alu instid0(SALU_CYCLE_1)
	s_and_b32 s15, s40, exec_lo
.LBB4_2945:                             ;   in Loop: Header=BB4_2780 Depth=3
	s_or_b32 exec_lo, exec_lo, s13
	s_and_saveexec_b32 s13, s15
	s_cbranch_execz .LBB4_2947
; %bb.2946:                             ;   in Loop: Header=BB4_2780 Depth=3
	s_clause 0x1
	global_store_b128 v[58:59], v[8:11], off th:TH_STORE_NT
	global_store_b128 v[58:59], v[12:15], off offset:512 th:TH_STORE_NT
.LBB4_2947:                             ;   in Loop: Header=BB4_2780 Depth=3
	s_wait_xcnt 0x0
	s_or_b32 exec_lo, exec_lo, s13
	v_lshlrev_b32_e32 v20, 10, v43
	s_mov_b32 s15, exec_lo
                                        ; implicit-def: $vgpr14
                                        ; implicit-def: $vgpr8
                                        ; implicit-def: $vgpr15
	s_delay_alu instid0(VALU_DEP_1)
	v_cmpx_ne_u32_e64 v41, v20
	s_cbranch_execz .LBB4_2963
; %bb.2948:                             ;   in Loop: Header=BB4_2780 Depth=3
	v_dual_lshlrev_b32 v8, 5, v89 :: v_dual_sub_nc_u32 v12, v41, v20
	s_mov_b32 s41, 0
	s_mov_b32 s40, exec_lo
	s_delay_alu instid0(VALU_DEP_1) | instskip(NEXT) | instid1(VALU_DEP_2)
	v_sub_nc_u32_e32 v8, v73, v8
	v_ashrrev_i32_e32 v11, 31, v12
	s_delay_alu instid0(VALU_DEP_2) | instskip(NEXT) | instid1(VALU_DEP_1)
	v_ashrrev_i32_e32 v9, 31, v8
	v_lshrrev_b32_e32 v9, 27, v9
	s_delay_alu instid0(VALU_DEP_1) | instskip(NEXT) | instid1(VALU_DEP_1)
	v_add_nc_u32_e32 v9, v8, v9
	v_and_b32_e32 v10, 0xffffffe0, v9
	s_delay_alu instid0(VALU_DEP_1) | instskip(NEXT) | instid1(VALU_DEP_1)
	v_dual_ashrrev_i32 v9, 5, v9 :: v_dual_sub_nc_u32 v21, v8, v10
	v_dual_lshrrev_b32 v8, 23, v11 :: v_dual_lshlrev_b32 v10, 4, v21
	s_delay_alu instid0(VALU_DEP_1) | instskip(NEXT) | instid1(VALU_DEP_2)
	v_add_nc_u32_e32 v8, v12, v8
	v_lshl_add_u32 v13, v9, 9, v10
	s_delay_alu instid0(VALU_DEP_2) | instskip(NEXT) | instid1(VALU_DEP_1)
	v_and_b32_e32 v22, 0xfffffe00, v8
	v_dual_add_nc_u32 v10, v13, v20 :: v_dual_sub_nc_u32 v23, v12, v22
	v_dual_ashrrev_i32 v8, 9, v8 :: v_dual_sub_nc_u32 v58, v12, v13
	s_delay_alu instid0(VALU_DEP_2) | instskip(NEXT) | instid1(VALU_DEP_3)
	v_ashrrev_i32_e32 v11, 31, v10
	v_cmp_lt_i32_e32 vcc_lo, 15, v23
	s_delay_alu instid0(VALU_DEP_2) | instskip(NEXT) | instid1(VALU_DEP_4)
	v_add_nc_u64_e32 v[16:17], v[10:11], v[56:57]
	v_add_co_ci_u32_e64 v8, null, 0, v8, vcc_lo
	s_delay_alu instid0(VALU_DEP_1)
	v_sub_nc_u32_e32 v43, v8, v9
                                        ; implicit-def: $vgpr8_vgpr9
	v_cmpx_lt_i32_e32 15, v58
	s_cbranch_execz .LBB4_2958
; %bb.2949:                             ;   in Loop: Header=BB4_2780 Depth=3
	v_add_nc_u64_e32 v[18:19], v[10:11], v[46:47]
	s_mov_b32 s92, 0
                                        ; implicit-def: $sgpr91
                                        ; implicit-def: $vgpr8_vgpr9
	s_branch .LBB4_2951
.LBB4_2950:                             ;   in Loop: Header=BB4_2951 Depth=4
	s_or_b32 exec_lo, exec_lo, s13
	s_delay_alu instid0(VALU_DEP_1) | instskip(SKIP_3) | instid1(SALU_CYCLE_1)
	v_cmp_gt_i32_e64 s13, 16, v58
	s_or_b32 s41, s13, s41
	s_and_not1_b32 s13, s91, exec_lo
	s_and_b32 s91, s92, exec_lo
	s_or_b32 s91, s13, s91
	s_and_not1_b32 exec_lo, exec_lo, s41
	s_cbranch_execz .LBB4_2957
.LBB4_2951:                             ;   Parent Loop BB4_47 Depth=1
                                        ;     Parent Loop BB4_2777 Depth=2
                                        ;       Parent Loop BB4_2780 Depth=3
                                        ; =>      This Inner Loop Header: Depth=4
	global_load_b128 v[12:15], v[18:19], off th:TH_LOAD_NT
	s_wait_xcnt 0x0
	s_and_saveexec_b32 s13, s92
	s_cbranch_execz .LBB4_2953
; %bb.2952:                             ;   in Loop: Header=BB4_2951 Depth=4
	v_add_nc_u64_e32 v[60:61], v[16:17], v[100:101]
	global_store_b128 v[16:17], v[8:11], off th:TH_STORE_NT
	s_wait_xcnt 0x0
	v_mov_b64_e32 v[16:17], v[60:61]
.LBB4_2953:                             ;   in Loop: Header=BB4_2951 Depth=4
	s_or_b32 exec_lo, exec_lo, s13
	v_sub_nc_u32_e32 v58, v58, v78
	v_add_nc_u64_e32 v[18:19], v[18:19], v[100:101]
	s_delay_alu instid0(VALU_DEP_2)
	v_cmp_lt_i32_e64 s92, 15, v58
	s_and_saveexec_b32 s13, s92
	s_cbranch_execz .LBB4_2955
; %bb.2954:                             ;   in Loop: Header=BB4_2951 Depth=4
	global_load_b128 v[8:11], v[18:19], off th:TH_LOAD_NT
	s_wait_xcnt 0x0
	v_add_nc_u64_e32 v[18:19], 0x200, v[18:19]
.LBB4_2955:                             ;   in Loop: Header=BB4_2951 Depth=4
	s_or_b32 exec_lo, exec_lo, s13
	s_wait_loadcnt 0x0
	global_store_b128 v[16:17], v[12:15], off th:TH_STORE_NT
	s_wait_xcnt 0x0
	v_add_nc_u64_e32 v[16:17], 0x200, v[16:17]
	v_sub_nc_u32_e32 v43, v43, v52
	s_and_saveexec_b32 s13, s92
	s_cbranch_execz .LBB4_2950
; %bb.2956:                             ;   in Loop: Header=BB4_2951 Depth=4
	v_add_nc_u64_e32 v[18:19], v[18:19], v[84:85]
	s_delay_alu instid0(VALU_DEP_3)
	v_add_nc_u64_e32 v[16:17], v[16:17], v[84:85]
	v_dual_sub_nc_u32 v43, v43, v52 :: v_dual_sub_nc_u32 v58, v58, v78
	s_branch .LBB4_2950
.LBB4_2957:                             ;   in Loop: Header=BB4_2780 Depth=3
	s_or_b32 exec_lo, exec_lo, s41
	s_delay_alu instid0(SALU_CYCLE_1)
	s_and_b32 s41, s91, exec_lo
.LBB4_2958:                             ;   in Loop: Header=BB4_2780 Depth=3
	s_or_b32 exec_lo, exec_lo, s40
	s_and_saveexec_b32 s13, s41
	s_cbranch_execz .LBB4_2960
; %bb.2959:                             ;   in Loop: Header=BB4_2780 Depth=3
	global_store_b128 v[16:17], v[8:11], off th:TH_STORE_NT
.LBB4_2960:                             ;   in Loop: Header=BB4_2780 Depth=3
	s_wait_xcnt 0x0
	s_or_b32 exec_lo, exec_lo, s13
	v_and_b32_e32 v9, 14, v41
	s_mov_b32 s41, s14
	s_mov_b32 s40, exec_lo
                                        ; implicit-def: $vgpr14
                                        ; implicit-def: $vgpr8
                                        ; implicit-def: $vgpr15
	s_delay_alu instid0(VALU_DEP_1) | instskip(NEXT) | instid1(VALU_DEP_1)
	v_cndmask_b32_e32 v41, v23, v9, vcc_lo
	v_cmpx_ne_u32_e32 0, v41
	s_cbranch_execz .LBB4_2962
; %bb.2961:                             ;   in Loop: Header=BB4_2780 Depth=3
	v_cmp_lt_i32_e64 s13, 0, v43
	s_or_b32 s41, s14, exec_lo
	v_dual_sub_nc_u32 v9, v23, v9 :: v_dual_cndmask_b32 v8, 0, v52, s13
	s_delay_alu instid0(VALU_DEP_1) | instskip(NEXT) | instid1(VALU_DEP_1)
	v_dual_cndmask_b32 v9, 0, v9 :: v_dual_sub_nc_u32 v8, v8, v43
	v_add3_u32 v14, v22, v20, v9
	s_delay_alu instid0(VALU_DEP_2) | instskip(NEXT) | instid1(VALU_DEP_1)
	v_lshl_add_u32 v8, v8, 5, v21
	v_ashrrev_i32_e32 v10, 31, v8
	s_delay_alu instid0(VALU_DEP_1) | instskip(NEXT) | instid1(VALU_DEP_1)
	v_lshrrev_b32_e32 v10, 27, v10
	v_add_nc_u32_e32 v10, v8, v10
	s_delay_alu instid0(VALU_DEP_1) | instskip(NEXT) | instid1(VALU_DEP_1)
	v_and_b32_e32 v10, 0xffffffe0, v10
	v_sub_nc_u32_e32 v15, v8, v10
.LBB4_2962:                             ;   in Loop: Header=BB4_2780 Depth=3
	s_or_b32 exec_lo, exec_lo, s40
	s_delay_alu instid0(SALU_CYCLE_1) | instskip(SKIP_1) | instid1(SALU_CYCLE_1)
	s_and_not1_b32 s13, s14, exec_lo
	s_and_b32 s14, s41, exec_lo
	s_or_b32 s14, s13, s14
.LBB4_2963:                             ;   in Loop: Header=BB4_2780 Depth=3
	s_or_b32 exec_lo, exec_lo, s15
	s_and_saveexec_b32 s13, s14
	s_cbranch_execz .LBB4_2984
.LBB4_2964:                             ;   in Loop: Header=BB4_2780 Depth=3
	s_delay_alu instid0(VALU_DEP_1) | instskip(SKIP_2) | instid1(VALU_DEP_1)
	v_ashrrev_i32_e32 v9, 31, v8
	s_mov_b32 s15, 0
	s_mov_b32 s14, exec_lo
                                        ; implicit-def: $vgpr17
                                        ; implicit-def: $vgpr18
                                        ; implicit-def: $vgpr19
                                        ; implicit-def: $vgpr20
	v_dual_lshlrev_b32 v11, 1, v15 :: v_dual_lshrrev_b32 v9, 27, v9
	s_delay_alu instid0(VALU_DEP_1) | instskip(SKIP_1) | instid1(VALU_DEP_1)
	v_add_nc_u32_e32 v8, v8, v9
	v_ashrrev_i32_e32 v9, 31, v41
	v_dual_lshrrev_b32 v9, 24, v9 :: v_dual_ashrrev_i32 v8, 5, v8
	s_delay_alu instid0(VALU_DEP_1) | instskip(NEXT) | instid1(VALU_DEP_1)
	v_lshlrev_b32_e32 v10, 8, v8
	v_add3_u32 v10, v14, v11, v10
	s_delay_alu instid0(VALU_DEP_1) | instskip(NEXT) | instid1(VALU_DEP_1)
	v_dual_add_nc_u32 v9, v41, v9 :: v_dual_ashrrev_i32 v11, 31, v10
	v_ashrrev_i32_e32 v16, 8, v9
	s_delay_alu instid0(VALU_DEP_1) | instskip(NEXT) | instid1(VALU_DEP_3)
	v_sub_nc_u32_e32 v21, v16, v8
	v_add_nc_u64_e32 v[8:9], v[56:57], v[10:11]
	s_delay_alu instid0(VALU_DEP_2)
	v_cmpx_lt_i32_e32 0, v21
	s_cbranch_execz .LBB4_2972
; %bb.2965:                             ;   in Loop: Header=BB4_2780 Depth=3
	v_add_nc_u64_e32 v[10:11], v[10:11], v[46:47]
	s_mov_b32 s41, 0
                                        ; implicit-def: $sgpr40
                                        ; implicit-def: $vgpr17
                                        ; implicit-def: $vgpr18
                                        ; implicit-def: $vgpr19
                                        ; implicit-def: $vgpr20
	s_branch .LBB4_2967
.LBB4_2966:                             ;   in Loop: Header=BB4_2967 Depth=4
	s_or_b32 exec_lo, exec_lo, s91
	s_delay_alu instid0(VALU_DEP_1) | instskip(NEXT) | instid1(VALU_DEP_3)
	v_sub_nc_u32_e32 v21, v21, v59
	v_add_nc_u64_e32 v[60:61], v[8:9], v[12:13]
	s_wait_loadcnt_dscnt 0x303
	flat_store_b16 v[8:9], v22 th:TH_STORE_NT
	s_wait_loadcnt_dscnt 0x203
	flat_store_b16 v[8:9], v23 offset:64 th:TH_STORE_NT
	s_wait_loadcnt_dscnt 0x103
	flat_store_b16 v[8:9], v43 offset:128 th:TH_STORE_NT
	;; [unrolled: 2-line block ×3, first 2 shown]
	v_add_nc_u64_e32 v[10:11], v[10:11], v[12:13]
	v_cmp_gt_i32_e32 vcc_lo, 1, v21
	s_wait_xcnt 0x0
	v_add_nc_u64_e32 v[8:9], 0x100, v[60:61]
	s_or_b32 s15, vcc_lo, s15
	s_and_not1_b32 s40, s40, exec_lo
	s_and_b32 s91, s41, exec_lo
	s_delay_alu instid0(SALU_CYCLE_1)
	s_or_b32 s40, s40, s91
	s_and_not1_b32 exec_lo, exec_lo, s15
	s_cbranch_execz .LBB4_2971
.LBB4_2967:                             ;   Parent Loop BB4_47 Depth=1
                                        ;     Parent Loop BB4_2777 Depth=2
                                        ;       Parent Loop BB4_2780 Depth=3
                                        ; =>      This Inner Loop Header: Depth=4
	s_clause 0x3
	flat_load_u16 v22, v[10:11] th:TH_LOAD_NT
	flat_load_u16 v23, v[10:11] offset:64 th:TH_LOAD_NT
	flat_load_u16 v43, v[10:11] offset:128 th:TH_LOAD_NT
	;; [unrolled: 1-line block ×3, first 2 shown]
	s_wait_xcnt 0x0
	s_and_saveexec_b32 s91, s41
	s_cbranch_execz .LBB4_2969
; %bb.2968:                             ;   in Loop: Header=BB4_2967 Depth=4
	s_clause 0x3
	flat_store_b16 v[8:9], v17 th:TH_STORE_NT
	flat_store_b16 v[8:9], v18 offset:64 th:TH_STORE_NT
	flat_store_b16 v[8:9], v19 offset:128 th:TH_STORE_NT
	;; [unrolled: 1-line block ×3, first 2 shown]
	s_wait_xcnt 0x0
	v_add_nc_u64_e32 v[8:9], v[8:9], v[98:99]
.LBB4_2969:                             ;   in Loop: Header=BB4_2967 Depth=4
	s_or_b32 exec_lo, exec_lo, s91
	v_dual_sub_nc_u32 v21, v21, v52 :: v_dual_mov_b32 v59, 0
	v_add_nc_u64_e32 v[10:11], v[10:11], v[98:99]
	v_mov_b64_e32 v[12:13], 0
	s_delay_alu instid0(VALU_DEP_3)
	v_cmp_lt_i32_e64 s41, 0, v21
	s_and_saveexec_b32 s91, s41
	s_cbranch_execz .LBB4_2966
; %bb.2970:                             ;   in Loop: Header=BB4_2967 Depth=4
	s_clause 0x3
	flat_load_u16 v17, v[10:11] th:TH_LOAD_NT
	flat_load_u16 v18, v[10:11] offset:64 th:TH_LOAD_NT
	flat_load_u16 v19, v[10:11] offset:128 th:TH_LOAD_NT
	;; [unrolled: 1-line block ×3, first 2 shown]
	s_wait_xcnt 0x0
	v_add_nc_u64_e32 v[10:11], 0x100, v[10:11]
	v_mov_b64_e32 v[12:13], v[82:83]
	v_mov_b32_e32 v59, v52
	s_branch .LBB4_2966
.LBB4_2971:                             ;   in Loop: Header=BB4_2780 Depth=3
	s_or_b32 exec_lo, exec_lo, s15
	s_delay_alu instid0(SALU_CYCLE_1)
	s_and_b32 s15, s40, exec_lo
.LBB4_2972:                             ;   in Loop: Header=BB4_2780 Depth=3
	s_or_b32 exec_lo, exec_lo, s14
	s_and_saveexec_b32 s14, s15
	s_cbranch_execz .LBB4_2974
; %bb.2973:                             ;   in Loop: Header=BB4_2780 Depth=3
	s_clause 0x3
	flat_store_b16 v[8:9], v17 th:TH_STORE_NT
	flat_store_b16 v[8:9], v18 offset:64 th:TH_STORE_NT
	flat_store_b16 v[8:9], v19 offset:128 th:TH_STORE_NT
	;; [unrolled: 1-line block ×3, first 2 shown]
.LBB4_2974:                             ;   in Loop: Header=BB4_2780 Depth=3
	s_wait_xcnt 0x0
	s_or_b32 exec_lo, exec_lo, s14
	v_lshlrev_b32_e32 v8, 8, v16
	s_delay_alu instid0(VALU_DEP_1)
	v_cmp_ne_u32_e32 vcc_lo, v41, v8
	s_and_b32 exec_lo, exec_lo, vcc_lo
	s_cbranch_execz .LBB4_2984
; %bb.2975:                             ;   in Loop: Header=BB4_2780 Depth=3
	v_lshlrev_b32_e32 v9, 5, v21
	s_delay_alu instid0(VALU_DEP_1) | instskip(NEXT) | instid1(VALU_DEP_1)
	v_sub_nc_u32_e32 v9, v15, v9
	v_ashrrev_i32_e32 v10, 31, v9
	s_delay_alu instid0(VALU_DEP_1) | instskip(NEXT) | instid1(VALU_DEP_1)
	v_lshrrev_b32_e32 v10, 27, v10
	v_add_nc_u32_e32 v10, v9, v10
	s_delay_alu instid0(VALU_DEP_1) | instskip(NEXT) | instid1(VALU_DEP_1)
	v_and_b32_e32 v11, 0x7fffffe0, v10
	v_dual_lshlrev_b32 v10, 1, v10 :: v_dual_sub_nc_u32 v9, v9, v11
	s_delay_alu instid0(VALU_DEP_1) | instskip(NEXT) | instid1(VALU_DEP_2)
	v_and_b32_e32 v10, 0xffffffc0, v10
	v_lshlrev_b32_e32 v9, 1, v9
	s_delay_alu instid0(VALU_DEP_1) | instskip(NEXT) | instid1(VALU_DEP_1)
	v_add3_u32 v8, v10, v9, v8
	v_sub_nc_u32_e32 v15, v41, v8
	s_delay_alu instid0(VALU_DEP_1)
	v_cmp_lt_i32_e32 vcc_lo, 1, v15
	s_and_b32 exec_lo, exec_lo, vcc_lo
	s_cbranch_execz .LBB4_2984
; %bb.2976:                             ;   in Loop: Header=BB4_2780 Depth=3
	v_add_nc_u32_e32 v10, v8, v14
	s_mov_b32 s40, 0
	s_mov_b32 s14, 0
                                        ; implicit-def: $sgpr15
                                        ; implicit-def: $vgpr14
	s_delay_alu instid0(VALU_DEP_1) | instskip(NEXT) | instid1(VALU_DEP_1)
	v_ashrrev_i32_e32 v11, 31, v10
	v_add_nc_u64_e32 v[8:9], v[56:57], v[10:11]
	v_add_nc_u64_e32 v[10:11], v[10:11], v[46:47]
	s_branch .LBB4_2978
.LBB4_2977:                             ;   in Loop: Header=BB4_2978 Depth=4
	s_or_b32 exec_lo, exec_lo, s41
	s_delay_alu instid0(VALU_DEP_1) | instskip(NEXT) | instid1(VALU_DEP_3)
	v_sub_nc_u32_e32 v15, v15, v17
	v_add_nc_u64_e32 v[18:19], v[8:9], v[12:13]
	s_wait_loadcnt_dscnt 0x0
	flat_store_b16 v[8:9], v16 th:TH_STORE_NT
	v_add_nc_u64_e32 v[10:11], v[10:11], v[12:13]
	v_cmp_gt_i32_e32 vcc_lo, 2, v15
	s_wait_xcnt 0x0
	v_add_nc_u64_e32 v[8:9], 64, v[18:19]
	s_or_b32 s14, vcc_lo, s14
	s_and_not1_b32 s15, s15, exec_lo
	s_and_b32 s41, s40, exec_lo
	s_delay_alu instid0(SALU_CYCLE_1)
	s_or_b32 s15, s15, s41
	s_and_not1_b32 exec_lo, exec_lo, s14
	s_cbranch_execz .LBB4_2982
.LBB4_2978:                             ;   Parent Loop BB4_47 Depth=1
                                        ;     Parent Loop BB4_2777 Depth=2
                                        ;       Parent Loop BB4_2780 Depth=3
                                        ; =>      This Inner Loop Header: Depth=4
	flat_load_u16 v16, v[10:11] th:TH_LOAD_NT
	s_wait_xcnt 0x0
	s_and_saveexec_b32 s41, s40
	s_cbranch_execz .LBB4_2980
; %bb.2979:                             ;   in Loop: Header=BB4_2978 Depth=4
	v_add_nc_u64_e32 v[12:13], v[8:9], v[102:103]
	flat_store_b16 v[8:9], v14 th:TH_STORE_NT
	s_wait_xcnt 0x0
	v_mov_b64_e32 v[8:9], v[12:13]
.LBB4_2980:                             ;   in Loop: Header=BB4_2978 Depth=4
	s_or_b32 exec_lo, exec_lo, s41
	v_dual_sub_nc_u32 v15, v15, v79 :: v_dual_mov_b32 v17, 0
	v_add_nc_u64_e32 v[10:11], v[10:11], v[102:103]
	v_mov_b64_e32 v[12:13], 0
	s_delay_alu instid0(VALU_DEP_3)
	v_cmp_lt_i32_e64 s40, 1, v15
	s_and_saveexec_b32 s41, s40
	s_cbranch_execz .LBB4_2977
; %bb.2981:                             ;   in Loop: Header=BB4_2978 Depth=4
	flat_load_u16 v14, v[10:11] th:TH_LOAD_NT
	s_wait_xcnt 0x0
	v_add_nc_u64_e32 v[10:11], 64, v[10:11]
	v_mov_b64_e32 v[12:13], v[86:87]
	v_mov_b32_e32 v17, v79
	s_branch .LBB4_2977
.LBB4_2982:                             ;   in Loop: Header=BB4_2780 Depth=3
	s_or_b32 exec_lo, exec_lo, s14
	s_delay_alu instid0(SALU_CYCLE_1)
	s_and_b32 exec_lo, exec_lo, s15
	s_cbranch_execz .LBB4_2984
; %bb.2983:                             ;   in Loop: Header=BB4_2780 Depth=3
	flat_store_b16 v[8:9], v14 th:TH_STORE_NT
.LBB4_2984:                             ;   in Loop: Header=BB4_2780 Depth=3
	s_wait_xcnt 0x0
	s_or_b32 exec_lo, exec_lo, s13
	v_cmp_lt_i32_e64 s13, 0, v2
	s_and_saveexec_b32 s14, s2
	s_cbranch_execz .LBB4_2869
.LBB4_2985:                             ;   in Loop: Header=BB4_2780 Depth=3
	s_and_saveexec_b32 s15, s3
	s_delay_alu instid0(SALU_CYCLE_1)
	s_xor_b32 s15, exec_lo, s15
	s_cbranch_execz .LBB4_3000
; %bb.2986:                             ;   in Loop: Header=BB4_2780 Depth=3
	s_and_saveexec_b32 s40, s6
	s_cbranch_execz .LBB4_2999
; %bb.2987:                             ;   in Loop: Header=BB4_2780 Depth=3
	s_mov_b32 s91, exec_lo
	s_mov_b32 s41, exec_lo
	v_mbcnt_lo_u32_b32 v2, s91, 0
	global_wb scope:SCOPE_DEV
	s_wait_storecnt 0x0
	s_wait_loadcnt_dscnt 0x0
	global_inv scope:SCOPE_DEV
	v_cmpx_eq_u32_e32 0, v2
	s_cbranch_execz .LBB4_2989
; %bb.2988:                             ;   in Loop: Header=BB4_2780 Depth=3
	s_bcnt1_i32_b32 s91, s91
	s_delay_alu instid0(SALU_CYCLE_1)
	v_mov_b32_e32 v2, s91
	s_wait_loadcnt 0x0
	ds_add_u64 v0, v[2:3]
	s_trap 2
.LBB4_2989:                             ;   in Loop: Header=BB4_2780 Depth=3
	s_or_b32 exec_lo, exec_lo, s41
	s_trap 2
	ds_load_b64 v[8:9], v0
	s_wait_dscnt 0x0
	v_add_nc_u64_e32 v[48:49], v[48:49], v[52:53]
	s_mov_b32 s41, exec_lo
	s_delay_alu instid0(VALU_DEP_1)
	v_cmpx_lt_u64_e64 v[8:9], v[48:49]
	s_cbranch_execz .LBB4_2998
; %bb.2990:                             ;   in Loop: Header=BB4_2780 Depth=3
	s_mov_b32 s91, 0
	s_mov_b32 s94, 0
                                        ; implicit-def: $sgpr92
                                        ; implicit-def: $sgpr93
	s_branch .LBB4_2992
.LBB4_2991:                             ;   in Loop: Header=BB4_2992 Depth=4
	s_or_b32 exec_lo, exec_lo, vcc_hi
	s_delay_alu instid0(SALU_CYCLE_1) | instskip(NEXT) | instid1(SALU_CYCLE_1)
	s_and_b32 s95, exec_lo, vcc_lo
	s_or_b32 s91, s95, s91
	s_and_not1_b32 s92, s92, exec_lo
	s_and_b32 s95, s93, exec_lo
	s_delay_alu instid0(SALU_CYCLE_1)
	s_or_b32 s92, s92, s95
	s_and_not1_b32 exec_lo, exec_lo, s91
	s_cbranch_execz .LBB4_2996
.LBB4_2992:                             ;   Parent Loop BB4_47 Depth=1
                                        ;     Parent Loop BB4_2777 Depth=2
                                        ;       Parent Loop BB4_2780 Depth=3
                                        ; =>      This Inner Loop Header: Depth=4
	s_add_co_i32 s94, s94, 1
	s_delay_alu instid0(SALU_CYCLE_1) | instskip(SKIP_1) | instid1(SALU_CYCLE_1)
	s_cmp_lg_u32 s94, 0x2710
	s_cselect_b32 s95, -1, 0
	s_and_b32 vcc_lo, exec_lo, s95
	s_cbranch_vccz .LBB4_2994
; %bb.2993:                             ;   in Loop: Header=BB4_2992 Depth=4
	s_mov_b32 vcc_lo, -1
	s_or_b32 s93, s93, exec_lo
	s_and_saveexec_b32 vcc_hi, s95
	s_cbranch_execz .LBB4_2991
	s_branch .LBB4_2995
.LBB4_2994:                             ;   in Loop: Header=BB4_2992 Depth=4
	s_trap 2
	ds_load_b64 v[8:9], v0
	s_and_not1_b32 s95, s95, exec_lo
	s_mov_b32 s94, 0
	s_wait_loadcnt_dscnt 0x0
	flat_load_b32 v2, v[8:9] scope:SCOPE_SYS
	s_wait_loadcnt_dscnt 0x0
	global_inv scope:SCOPE_SYS
	v_cmp_eq_u32_e32 vcc_lo, 0, v2
	s_and_b32 vcc_lo, vcc_lo, exec_lo
	s_delay_alu instid0(SALU_CYCLE_1)
	s_or_b32 s95, s95, vcc_lo
	s_mov_b32 vcc_lo, -1
	s_or_b32 s93, s93, exec_lo
	s_and_saveexec_b32 vcc_hi, s95
	s_cbranch_execz .LBB4_2991
.LBB4_2995:                             ;   in Loop: Header=BB4_2992 Depth=4
	s_sleep 1
	s_trap 2
	ds_load_b64 v[8:9], v0
	s_wait_dscnt 0x0
	s_and_not1_b32 s93, s93, exec_lo
	v_cmp_ge_u64_e32 vcc_lo, v[8:9], v[48:49]
	s_or_not1_b32 vcc_lo, vcc_lo, exec_lo
	s_branch .LBB4_2991
.LBB4_2996:                             ;   in Loop: Header=BB4_2780 Depth=3
	s_or_b32 exec_lo, exec_lo, s91
	s_and_saveexec_b32 s91, s92
	s_delay_alu instid0(SALU_CYCLE_1)
	s_xor_b32 s91, exec_lo, s91
	s_cbranch_execz .LBB4_2998
; %bb.2997:                             ;   in Loop: Header=BB4_2780 Depth=3
	ds_store_b32 v0, v75
	s_trap 2
.LBB4_2998:                             ;   in Loop: Header=BB4_2780 Depth=3
	s_or_b32 exec_lo, exec_lo, s41
	;;#ASMSTART
	s_wakeup
	;;#ASMEND
.LBB4_2999:                             ;   in Loop: Header=BB4_2780 Depth=3
	s_or_b32 exec_lo, exec_lo, s40
.LBB4_3000:                             ;   in Loop: Header=BB4_2780 Depth=3
	s_and_not1_saveexec_b32 s15, s15
	s_cbranch_execz .LBB4_3002
; %bb.3001:                             ;   in Loop: Header=BB4_2780 Depth=3
	global_wb scope:SCOPE_DEV
	s_wait_storecnt 0x0
	s_wait_loadcnt_dscnt 0x0
	global_inv scope:SCOPE_DEV
	s_barrier_signal -1
	s_barrier_wait -1
.LBB4_3002:                             ;   in Loop: Header=BB4_2780 Depth=3
	s_or_b32 exec_lo, exec_lo, s15
	s_delay_alu instid0(SALU_CYCLE_1) | instskip(SKIP_1) | instid1(SALU_CYCLE_1)
	s_or_b32 exec_lo, exec_lo, s14
                                        ; implicit-def: $vgpr2
	s_and_saveexec_b32 s14, s12
	s_xor_b32 s14, exec_lo, s14
	s_cbranch_execnz .LBB4_2870
.LBB4_3003:                             ;   in Loop: Header=BB4_2780 Depth=3
	s_and_not1_saveexec_b32 s13, s14
	s_cbranch_execz .LBB4_3022
.LBB4_3004:                             ;   in Loop: Header=BB4_2780 Depth=3
	s_and_saveexec_b32 s14, s3
	s_delay_alu instid0(SALU_CYCLE_1)
	s_xor_b32 s14, exec_lo, s14
	s_cbranch_execz .LBB4_3019
; %bb.3005:                             ;   in Loop: Header=BB4_2780 Depth=3
	s_and_saveexec_b32 s15, s6
	s_cbranch_execz .LBB4_3018
; %bb.3006:                             ;   in Loop: Header=BB4_2780 Depth=3
	s_mov_b32 s41, exec_lo
	s_mov_b32 s40, exec_lo
	v_mbcnt_lo_u32_b32 v2, s41, 0
	;;#ASMSTART
	s_waitcnt lgkmcnt(0) vmcnt(0)
	;;#ASMEND
	s_delay_alu instid0(VALU_DEP_1)
	v_cmpx_eq_u32_e32 0, v2
	s_cbranch_execz .LBB4_3008
; %bb.3007:                             ;   in Loop: Header=BB4_2780 Depth=3
	s_bcnt1_i32_b32 s41, s41
	s_delay_alu instid0(SALU_CYCLE_1)
	v_mov_b32_e32 v2, s41
	s_wait_storecnt 0x0
	s_wait_loadcnt_dscnt 0x0
	ds_add_u64 v0, v[2:3]
	s_trap 2
.LBB4_3008:                             ;   in Loop: Header=BB4_2780 Depth=3
	s_or_b32 exec_lo, exec_lo, s40
	s_trap 2
	ds_load_b64 v[8:9], v0
	s_wait_dscnt 0x0
	v_add_nc_u64_e32 v[48:49], v[48:49], v[52:53]
	s_mov_b32 s40, exec_lo
	s_delay_alu instid0(VALU_DEP_1)
	v_cmpx_lt_u64_e64 v[8:9], v[48:49]
	s_cbranch_execz .LBB4_3017
; %bb.3009:                             ;   in Loop: Header=BB4_2780 Depth=3
	s_mov_b32 s41, 0
	s_mov_b32 s93, 0
                                        ; implicit-def: $sgpr91
                                        ; implicit-def: $sgpr92
	s_branch .LBB4_3011
.LBB4_3010:                             ;   in Loop: Header=BB4_3011 Depth=4
	s_or_b32 exec_lo, exec_lo, s95
	s_delay_alu instid0(SALU_CYCLE_1) | instskip(NEXT) | instid1(SALU_CYCLE_1)
	s_and_b32 s94, exec_lo, vcc_lo
	s_or_b32 s41, s94, s41
	s_and_not1_b32 s91, s91, exec_lo
	s_and_b32 s94, s92, exec_lo
	s_delay_alu instid0(SALU_CYCLE_1)
	s_or_b32 s91, s91, s94
	s_and_not1_b32 exec_lo, exec_lo, s41
	s_cbranch_execz .LBB4_3015
.LBB4_3011:                             ;   Parent Loop BB4_47 Depth=1
                                        ;     Parent Loop BB4_2777 Depth=2
                                        ;       Parent Loop BB4_2780 Depth=3
                                        ; =>      This Inner Loop Header: Depth=4
	s_add_co_i32 s93, s93, 1
	s_delay_alu instid0(SALU_CYCLE_1) | instskip(SKIP_1) | instid1(SALU_CYCLE_1)
	s_cmp_lg_u32 s93, 0x2710
	s_cselect_b32 s94, -1, 0
	s_and_b32 vcc_lo, exec_lo, s94
	s_cbranch_vccz .LBB4_3013
; %bb.3012:                             ;   in Loop: Header=BB4_3011 Depth=4
	s_mov_b32 vcc_lo, -1
	s_or_b32 s92, s92, exec_lo
	s_and_saveexec_b32 s95, s94
	s_cbranch_execz .LBB4_3010
	s_branch .LBB4_3014
.LBB4_3013:                             ;   in Loop: Header=BB4_3011 Depth=4
	s_trap 2
	ds_load_b64 v[8:9], v0
	s_and_not1_b32 s94, s94, exec_lo
	s_mov_b32 s93, 0
	s_wait_storecnt 0x0
	s_wait_loadcnt_dscnt 0x0
	flat_load_b32 v2, v[8:9] scope:SCOPE_SYS
	s_wait_loadcnt_dscnt 0x0
	global_inv scope:SCOPE_SYS
	v_cmp_eq_u32_e32 vcc_lo, 0, v2
	s_and_b32 s95, vcc_lo, exec_lo
	s_delay_alu instid0(SALU_CYCLE_1)
	s_or_b32 s94, s94, s95
	s_mov_b32 vcc_lo, -1
	s_or_b32 s92, s92, exec_lo
	s_and_saveexec_b32 s95, s94
	s_cbranch_execz .LBB4_3010
.LBB4_3014:                             ;   in Loop: Header=BB4_3011 Depth=4
	s_sleep 1
	s_trap 2
	ds_load_b64 v[8:9], v0
	s_wait_dscnt 0x0
	s_and_not1_b32 s92, s92, exec_lo
	v_cmp_ge_u64_e32 vcc_lo, v[8:9], v[48:49]
	s_or_not1_b32 vcc_lo, vcc_lo, exec_lo
	s_branch .LBB4_3010
.LBB4_3015:                             ;   in Loop: Header=BB4_2780 Depth=3
	s_or_b32 exec_lo, exec_lo, s41
	s_and_saveexec_b32 s41, s91
	s_delay_alu instid0(SALU_CYCLE_1)
	s_xor_b32 s41, exec_lo, s41
	s_cbranch_execz .LBB4_3017
; %bb.3016:                             ;   in Loop: Header=BB4_2780 Depth=3
	ds_store_b32 v0, v75
	s_trap 2
.LBB4_3017:                             ;   in Loop: Header=BB4_2780 Depth=3
	s_or_b32 exec_lo, exec_lo, s40
	;;#ASMSTART
	s_wakeup
	;;#ASMEND
.LBB4_3018:                             ;   in Loop: Header=BB4_2780 Depth=3
	s_or_b32 exec_lo, exec_lo, s15
.LBB4_3019:                             ;   in Loop: Header=BB4_2780 Depth=3
	s_and_not1_saveexec_b32 s14, s14
	s_cbranch_execz .LBB4_3021
; %bb.3020:                             ;   in Loop: Header=BB4_2780 Depth=3
	;;#ASMSTART
	s_waitcnt lgkmcnt(0) vmcnt(0)
	;;#ASMEND
	s_barrier_signal -1
	s_barrier_wait -1
.LBB4_3021:                             ;   in Loop: Header=BB4_2780 Depth=3
	s_or_b32 exec_lo, exec_lo, s14
	v_and_b32_e32 v2, 16, v30
.LBB4_3022:                             ;   in Loop: Header=BB4_2780 Depth=3
	s_or_b32 exec_lo, exec_lo, s13
	s_delay_alu instid0(VALU_DEP_1) | instskip(SKIP_1) | instid1(SALU_CYCLE_1)
	v_cmp_ne_u32_e32 vcc_lo, 0, v2
	s_xor_b32 s13, s4, -1
	s_and_b32 s14, vcc_lo, s13
	s_delay_alu instid0(SALU_CYCLE_1)
	s_and_saveexec_b32 s13, s14
	s_cbranch_execz .LBB4_3024
; %bb.3023:                             ;   in Loop: Header=BB4_2780 Depth=3
	global_wb scope:SCOPE_SYS
	s_wait_storecnt 0x0
	s_wait_loadcnt_dscnt 0x0
	flat_store_b32 v[38:39], v75 scope:SCOPE_SYS
.LBB4_3024:                             ;   in Loop: Header=BB4_2780 Depth=3
	s_wait_xcnt 0x0
	s_or_b32 exec_lo, exec_lo, s13
	v_and_b32_e32 v2, 48, v30
	s_mov_b32 s13, exec_lo
	s_delay_alu instid0(VALU_DEP_1)
	v_cmpx_ne_u32_e32 0, v2
	s_cbranch_execz .LBB4_2779
; %bb.3025:                             ;   in Loop: Header=BB4_2780 Depth=3
	v_add_nc_u64_e32 v[114:115], 2, v[114:115]
	global_wb scope:SCOPE_SYS
	s_wait_storecnt 0x0
	s_wait_loadcnt_dscnt 0x0
	flat_store_b64 v[32:33], v[114:115] scope:SCOPE_SYS
	s_branch .LBB4_2779
.LBB4_3026:                             ;   in Loop: Header=BB4_2777 Depth=2
	s_or_b32 exec_lo, exec_lo, s88
.LBB4_3027:                             ;   in Loop: Header=BB4_2777 Depth=2
	s_delay_alu instid0(SALU_CYCLE_1) | instskip(NEXT) | instid1(SALU_CYCLE_1)
	s_or_b32 exec_lo, exec_lo, s27
	s_mov_b32 s14, exec_lo
	v_cmpx_gt_i32_e32 2, v2
	s_cbranch_execz .LBB4_3103
; %bb.3028:                             ;   in Loop: Header=BB4_2777 Depth=2
	v_cmp_eq_u32_e64 s27, 0, v2
	s_mov_b32 s15, 0
	s_branch .LBB4_3030
.LBB4_3029:                             ;   in Loop: Header=BB4_3030 Depth=3
	s_wait_xcnt 0x0
	s_or_b32 exec_lo, exec_lo, s13
	v_add_nc_u32_e32 v42, v40, v42
	s_mov_b32 s27, 0
	s_and_not1_b32 exec_lo, exec_lo, s15
	s_cbranch_execz .LBB4_3102
.LBB4_3030:                             ;   Parent Loop BB4_47 Depth=1
                                        ;     Parent Loop BB4_2777 Depth=2
                                        ; =>    This Loop Header: Depth=3
                                        ;         Child Loop BB4_3036 Depth 4
                                        ;         Child Loop BB4_3064 Depth 4
                                        ;         Child Loop BB4_3087 Depth 4
	s_delay_alu instid0(VALU_DEP_1) | instskip(SKIP_2) | instid1(VALU_DEP_2)
	v_sub_nc_u32_e32 v2, v88, v42
	v_and_b32_e32 v8, 12, v30
	s_mov_b32 s40, exec_lo
	v_min_i32_e32 v40, v40, v2
	s_delay_alu instid0(VALU_DEP_2)
	v_cmpx_ne_u32_e32 0, v8
	s_cbranch_execz .LBB4_3056
; %bb.3031:                             ;   in Loop: Header=BB4_3030 Depth=3
	v_and_b32_e32 v2, 8, v30
	v_add_nc_u64_e32 v[8:9], 2, v[114:115]
	s_mov_b32 s41, exec_lo
	s_wait_loadcnt_dscnt 0x1
	s_delay_alu instid0(VALU_DEP_2) | instskip(NEXT) | instid1(VALU_DEP_1)
	v_add_nc_u64_e32 v[10:11], v[50:51], v[2:3]
	v_cmpx_lt_u64_e64 v[10:11], v[8:9]
	s_cbranch_execz .LBB4_3043
; %bb.3032:                             ;   in Loop: Header=BB4_3030 Depth=3
	v_and_b32_e32 v10, 64, v30
	s_mov_b32 s88, 0
	s_mov_b32 s92, 0
                                        ; implicit-def: $sgpr89
                                        ; implicit-def: $sgpr90
                                        ; implicit-def: $sgpr91
	s_delay_alu instid0(VALU_DEP_1)
	v_cmp_eq_u32_e32 vcc_lo, 0, v10
	s_branch .LBB4_3036
.LBB4_3033:                             ;   in Loop: Header=BB4_3036 Depth=4
	s_wait_loadcnt_dscnt 0x0
	v_add_nc_u64_e32 v[12:13], v[50:51], v[2:3]
	s_or_b32 s95, s95, exec_lo
	s_delay_alu instid0(VALU_DEP_1)
	v_cmp_ge_u64_e64 s13, v[12:13], v[8:9]
	s_or_not1_b32 s94, s13, exec_lo
.LBB4_3034:                             ;   in Loop: Header=BB4_3036 Depth=4
	s_or_b32 exec_lo, exec_lo, s30
	s_delay_alu instid0(SALU_CYCLE_1)
	s_and_not1_b32 s13, s91, exec_lo
	s_and_b32 s91, s95, exec_lo
	s_and_not1_b32 s90, s90, exec_lo
	s_and_b32 s94, s94, exec_lo
	s_or_b32 s91, s13, s91
	s_or_b32 s90, s90, s94
.LBB4_3035:                             ;   in Loop: Header=BB4_3036 Depth=4
	s_or_b32 exec_lo, exec_lo, s93
	s_delay_alu instid0(SALU_CYCLE_1) | instskip(NEXT) | instid1(SALU_CYCLE_1)
	s_and_b32 s13, exec_lo, s90
	s_or_b32 s88, s13, s88
	s_and_not1_b32 s13, s89, exec_lo
	s_and_b32 s89, s91, exec_lo
	s_delay_alu instid0(SALU_CYCLE_1)
	s_or_b32 s89, s13, s89
	s_and_not1_b32 exec_lo, exec_lo, s88
	s_cbranch_execz .LBB4_3040
.LBB4_3036:                             ;   Parent Loop BB4_47 Depth=1
                                        ;     Parent Loop BB4_2777 Depth=2
                                        ;       Parent Loop BB4_3030 Depth=3
                                        ; =>      This Inner Loop Header: Depth=4
	s_sleep 1
	s_wait_loadcnt_dscnt 0x0
	flat_load_b64 v[50:51], v[32:33] scope:SCOPE_SYS
	s_or_b32 s91, s91, exec_lo
	s_or_b32 s90, s90, exec_lo
                                        ; implicit-def: $vgpr10
	s_wait_xcnt 0x0
	s_and_saveexec_b32 s93, vcc_lo
	s_cbranch_execz .LBB4_3035
; %bb.3037:                             ;   in Loop: Header=BB4_3036 Depth=4
	s_cmp_lt_i32 s92, 0x270f
	s_mov_b32 s94, -1
	s_cselect_b32 vcc_hi, -1, 0
	s_cmp_gt_i32 s92, 0x270e
	s_cbranch_scc0 .LBB4_3039
; %bb.3038:                             ;   in Loop: Header=BB4_3036 Depth=4
	s_trap 2
	ds_load_b64 v[10:11], v0
	s_and_not1_b32 s92, vcc_hi, exec_lo
	s_mov_b32 s95, 0
	s_wait_storecnt 0x0
	s_wait_loadcnt_dscnt 0x0
	flat_load_b32 v10, v[10:11] scope:SCOPE_SYS
	s_wait_loadcnt_dscnt 0x0
	global_inv scope:SCOPE_SYS
	v_cmp_eq_u32_e64 s13, 0, v10
	s_and_b32 s13, s13, exec_lo
	s_delay_alu instid0(SALU_CYCLE_1)
	s_or_b32 vcc_hi, s92, s13
	s_mov_b32 s92, 0
	s_and_saveexec_b32 s30, vcc_hi
	s_cbranch_execz .LBB4_3034
	s_branch .LBB4_3033
.LBB4_3039:                             ;   in Loop: Header=BB4_3036 Depth=4
	s_add_co_i32 s92, s92, 1
	s_mov_b32 s95, -1
                                        ; implicit-def: $vgpr10
	s_and_saveexec_b32 s30, vcc_hi
	s_cbranch_execz .LBB4_3034
	s_branch .LBB4_3033
.LBB4_3040:                             ;   in Loop: Header=BB4_3030 Depth=3
	s_or_b32 exec_lo, exec_lo, s88
	s_xor_b32 s13, s89, -1
	s_delay_alu instid0(SALU_CYCLE_1) | instskip(NEXT) | instid1(SALU_CYCLE_1)
	s_and_saveexec_b32 s88, s13
	s_xor_b32 s13, exec_lo, s88
	s_cbranch_execz .LBB4_3042
; %bb.3041:                             ;   in Loop: Header=BB4_3030 Depth=3
	v_or_b32_e32 v30, 64, v30
	s_wait_storecnt 0x0
	s_wait_loadcnt_dscnt 0x0
	ds_store_b32 v0, v10
	s_trap 2
.LBB4_3042:                             ;   in Loop: Header=BB4_3030 Depth=3
	s_or_b32 exec_lo, exec_lo, s13
.LBB4_3043:                             ;   in Loop: Header=BB4_3030 Depth=3
	s_delay_alu instid0(SALU_CYCLE_1) | instskip(SKIP_2) | instid1(VALU_DEP_1)
	s_or_b32 exec_lo, exec_lo, s41
	v_and_b32_e32 v10, 0x108, v30
	;;#ASMSTART
	s_wakeup
	;;#ASMEND
	v_cmp_ne_u32_e32 vcc_lo, 0x108, v10
                                        ; implicit-def: $vgpr10_vgpr11
	s_and_saveexec_b32 s13, vcc_lo
	s_delay_alu instid0(SALU_CYCLE_1)
	s_xor_b32 s13, exec_lo, s13
; %bb.3044:                             ;   in Loop: Header=BB4_3030 Depth=3
	v_dual_mov_b32 v11, v3 :: v_dual_bitop2_b32 v10, 7, v114 bitop3:0x40
                                        ; implicit-def: $vgpr114_vgpr115
; %bb.3045:                             ;   in Loop: Header=BB4_3030 Depth=3
	s_and_not1_saveexec_b32 s13, s13
	s_cbranch_execz .LBB4_3047
; %bb.3046:                             ;   in Loop: Header=BB4_3030 Depth=3
	v_dual_ashrrev_i32 v41, 31, v40 :: v_dual_bitop2_b32 v10, 7, v114 bitop3:0x40
	v_mov_b32_e32 v11, v3
	s_delay_alu instid0(VALU_DEP_2) | instskip(NEXT) | instid1(VALU_DEP_3)
	v_mad_nc_u64_u32 v[12:13], v10, 24, v[6:7]
	v_lshlrev_b64_e32 v[14:15], 1, v[40:41]
	flat_store_b64 v[12:13], v[14:15] offset:8
.LBB4_3047:                             ;   in Loop: Header=BB4_3030 Depth=3
	s_wait_xcnt 0x0
	s_or_b32 exec_lo, exec_lo, s13
	v_and_b32_e32 v12, 0x100, v30
	s_mov_b32 s13, -1
	s_delay_alu instid0(VALU_DEP_1)
	v_cmp_ne_u32_e32 vcc_lo, 0, v12
                                        ; implicit-def: $vgpr12_vgpr13
	s_and_saveexec_b32 s41, vcc_lo
	s_cbranch_execz .LBB4_3051
; %bb.3048:                             ;   in Loop: Header=BB4_3030 Depth=3
	v_mad_nc_u64_u32 v[14:15], v10, 24, v[6:7]
	s_delay_alu instid0(VALU_DEP_1)
	v_mad_u32 v15, v11, 24, v15
	flat_load_b32 v12, v[14:15]
	s_wait_loadcnt_dscnt 0x0
	v_cmp_eq_u32_e64 s13, 1, v12
	v_cmp_ne_u32_e32 vcc_lo, 1, v12
                                        ; implicit-def: $vgpr12_vgpr13
	s_wait_xcnt 0x0
	s_and_saveexec_b32 s88, s13
	s_cbranch_execz .LBB4_3050
; %bb.3049:                             ;   in Loop: Header=BB4_3030 Depth=3
	flat_load_b32 v12, v[14:15] offset:4 scope:SCOPE_SYS
	s_wait_loadcnt_dscnt 0x0
	v_ashrrev_i32_e32 v13, 31, v12
	s_delay_alu instid0(VALU_DEP_1)
	v_lshrrev_b64 v[12:13], 1, v[12:13]
.LBB4_3050:                             ;   in Loop: Header=BB4_3030 Depth=3
	s_wait_xcnt 0x0
	s_or_b32 exec_lo, exec_lo, s88
	s_delay_alu instid0(SALU_CYCLE_1)
	s_or_not1_b32 s13, vcc_lo, exec_lo
.LBB4_3051:                             ;   in Loop: Header=BB4_3030 Depth=3
	s_or_b32 exec_lo, exec_lo, s41
	s_and_saveexec_b32 s41, s13
; %bb.3052:                             ;   in Loop: Header=BB4_3030 Depth=3
	v_mul_u64_e32 v[12:13], v[10:11], v[34:35]
; %bb.3053:                             ;   in Loop: Header=BB4_3030 Depth=3
	s_or_b32 exec_lo, exec_lo, s41
	v_cmp_eq_u32_e32 vcc_lo, 0, v2
	v_and_b32_e32 v14, 0x2000, v30
	s_delay_alu instid0(VALU_DEP_3) | instskip(SKIP_2) | instid1(VALU_DEP_1)
	v_lshl_add_u64 v[10:11], v[12:13], 1, v[36:37]
	s_mov_b32 s13, exec_lo
	v_cndmask_b32_e32 v2, 0xd0, v77, vcc_lo
	v_add_nc_u32_e32 v2, v0, v2
	ds_store_b64 v2, v[10:11] offset:584
	v_cmpx_ne_u32_e32 0, v14
	s_cbranch_execz .LBB4_3055
; %bb.3054:                             ;   in Loop: Header=BB4_3030 Depth=3
	ds_load_b64 v[10:11], v0 offset:872
	s_wait_dscnt 0x0
	v_add_nc_u64_e32 v[10:11], 1, v[10:11]
	ds_store_b64 v0, v[10:11] offset:872
.LBB4_3055:                             ;   in Loop: Header=BB4_3030 Depth=3
	s_or_b32 exec_lo, exec_lo, s13
	v_mov_b64_e32 v[114:115], v[8:9]
.LBB4_3056:                             ;   in Loop: Header=BB4_3030 Depth=3
	s_or_b32 exec_lo, exec_lo, s40
	s_xor_b32 s13, s27, -1
	s_delay_alu instid0(SALU_CYCLE_1) | instskip(NEXT) | instid1(SALU_CYCLE_1)
	s_and_b32 s13, exec_lo, s13
	s_or_b32 s15, s13, s15
	s_and_saveexec_b32 s13, s2
	s_cbranch_execz .LBB4_3075
; %bb.3057:                             ;   in Loop: Header=BB4_3030 Depth=3
	s_and_saveexec_b32 s27, s3
	s_delay_alu instid0(SALU_CYCLE_1)
	s_xor_b32 s27, exec_lo, s27
	s_cbranch_execz .LBB4_3072
; %bb.3058:                             ;   in Loop: Header=BB4_3030 Depth=3
	s_and_saveexec_b32 s40, s6
	s_cbranch_execz .LBB4_3071
; %bb.3059:                             ;   in Loop: Header=BB4_3030 Depth=3
	s_mov_b32 s88, exec_lo
	s_mov_b32 s41, exec_lo
	v_mbcnt_lo_u32_b32 v2, s88, 0
	global_wb scope:SCOPE_DEV
	s_wait_storecnt 0x0
	s_wait_loadcnt_dscnt 0x0
	global_inv scope:SCOPE_DEV
	v_cmpx_eq_u32_e32 0, v2
	s_cbranch_execz .LBB4_3061
; %bb.3060:                             ;   in Loop: Header=BB4_3030 Depth=3
	s_bcnt1_i32_b32 s88, s88
	s_delay_alu instid0(SALU_CYCLE_1)
	v_mov_b32_e32 v2, s88
	s_wait_loadcnt 0x0
	ds_add_u64 v0, v[2:3]
	s_trap 2
.LBB4_3061:                             ;   in Loop: Header=BB4_3030 Depth=3
	s_or_b32 exec_lo, exec_lo, s41
	s_trap 2
	ds_load_b64 v[8:9], v0
	s_wait_dscnt 0x0
	v_add_nc_u64_e32 v[48:49], v[48:49], v[52:53]
	s_mov_b32 s41, exec_lo
	s_delay_alu instid0(VALU_DEP_1)
	v_cmpx_lt_u64_e64 v[8:9], v[48:49]
	s_cbranch_execz .LBB4_3070
; %bb.3062:                             ;   in Loop: Header=BB4_3030 Depth=3
	s_mov_b32 s88, 0
	s_mov_b32 s91, 0
                                        ; implicit-def: $sgpr89
                                        ; implicit-def: $sgpr90
	s_branch .LBB4_3064
.LBB4_3063:                             ;   in Loop: Header=BB4_3064 Depth=4
	s_or_b32 exec_lo, exec_lo, s93
	s_delay_alu instid0(SALU_CYCLE_1) | instskip(NEXT) | instid1(SALU_CYCLE_1)
	s_and_b32 s92, exec_lo, s94
	s_or_b32 s88, s92, s88
	s_and_not1_b32 s89, s89, exec_lo
	s_and_b32 s92, s90, exec_lo
	s_delay_alu instid0(SALU_CYCLE_1)
	s_or_b32 s89, s89, s92
	s_and_not1_b32 exec_lo, exec_lo, s88
	s_cbranch_execz .LBB4_3068
.LBB4_3064:                             ;   Parent Loop BB4_47 Depth=1
                                        ;     Parent Loop BB4_2777 Depth=2
                                        ;       Parent Loop BB4_3030 Depth=3
                                        ; =>      This Inner Loop Header: Depth=4
	s_add_co_i32 s91, s91, 1
	s_delay_alu instid0(SALU_CYCLE_1) | instskip(SKIP_1) | instid1(SALU_CYCLE_1)
	s_cmp_lg_u32 s91, 0x2710
	s_cselect_b32 s92, -1, 0
	s_and_b32 vcc_lo, exec_lo, s92
	s_cbranch_vccz .LBB4_3066
; %bb.3065:                             ;   in Loop: Header=BB4_3064 Depth=4
	s_mov_b32 s94, -1
	s_or_b32 s90, s90, exec_lo
	s_and_saveexec_b32 s93, s92
	s_cbranch_execz .LBB4_3063
	s_branch .LBB4_3067
.LBB4_3066:                             ;   in Loop: Header=BB4_3064 Depth=4
	s_trap 2
	ds_load_b64 v[8:9], v0
	s_and_not1_b32 s92, s92, exec_lo
	s_mov_b32 s91, 0
	s_wait_loadcnt_dscnt 0x0
	flat_load_b32 v2, v[8:9] scope:SCOPE_SYS
	s_wait_loadcnt_dscnt 0x0
	global_inv scope:SCOPE_SYS
	v_cmp_eq_u32_e32 vcc_lo, 0, v2
	s_and_b32 s93, vcc_lo, exec_lo
	s_delay_alu instid0(SALU_CYCLE_1)
	s_or_b32 s92, s92, s93
	s_mov_b32 s94, -1
	s_or_b32 s90, s90, exec_lo
	s_and_saveexec_b32 s93, s92
	s_cbranch_execz .LBB4_3063
.LBB4_3067:                             ;   in Loop: Header=BB4_3064 Depth=4
	s_sleep 1
	s_trap 2
	ds_load_b64 v[8:9], v0
	s_wait_dscnt 0x0
	s_and_not1_b32 s90, s90, exec_lo
	v_cmp_ge_u64_e32 vcc_lo, v[8:9], v[48:49]
	s_or_not1_b32 s94, vcc_lo, exec_lo
	s_branch .LBB4_3063
.LBB4_3068:                             ;   in Loop: Header=BB4_3030 Depth=3
	s_or_b32 exec_lo, exec_lo, s88
	s_and_saveexec_b32 s88, s89
	s_delay_alu instid0(SALU_CYCLE_1)
	s_xor_b32 s88, exec_lo, s88
	s_cbranch_execz .LBB4_3070
; %bb.3069:                             ;   in Loop: Header=BB4_3030 Depth=3
	ds_store_b32 v0, v75
	s_trap 2
.LBB4_3070:                             ;   in Loop: Header=BB4_3030 Depth=3
	s_or_b32 exec_lo, exec_lo, s41
	;;#ASMSTART
	s_wakeup
	;;#ASMEND
.LBB4_3071:                             ;   in Loop: Header=BB4_3030 Depth=3
	s_or_b32 exec_lo, exec_lo, s40
.LBB4_3072:                             ;   in Loop: Header=BB4_3030 Depth=3
	s_and_not1_saveexec_b32 s27, s27
	s_cbranch_execz .LBB4_3074
; %bb.3073:                             ;   in Loop: Header=BB4_3030 Depth=3
	global_wb scope:SCOPE_DEV
	s_wait_storecnt 0x0
	s_wait_loadcnt_dscnt 0x0
	global_inv scope:SCOPE_DEV
	s_barrier_signal -1
	s_barrier_wait -1
.LBB4_3074:                             ;   in Loop: Header=BB4_3030 Depth=3
	s_or_b32 exec_lo, exec_lo, s27
.LBB4_3075:                             ;   in Loop: Header=BB4_3030 Depth=3
	s_delay_alu instid0(SALU_CYCLE_1) | instskip(SKIP_1) | instid1(SALU_CYCLE_1)
	s_or_b32 exec_lo, exec_lo, s13
                                        ; implicit-def: $vgpr2
	s_and_saveexec_b32 s13, s12
	s_xor_b32 s27, exec_lo, s13
	s_cbranch_execz .LBB4_3079
; %bb.3076:                             ;   in Loop: Header=BB4_3030 Depth=3
	s_trap 2
	ds_load_b32 v2, v0
	v_cmp_lt_i32_e32 vcc_lo, 0, v40
	s_wait_dscnt 0x0
	v_readfirstlane_b32 s13, v2
	v_and_b32_e32 v2, 16, v30
	s_cmp_eq_u32 s13, 0
	s_delay_alu instid0(VALU_DEP_1) | instskip(SKIP_3) | instid1(SALU_CYCLE_1)
	v_cmp_ne_u32_e64 s13, 0, v2
	s_cselect_b32 s40, -1, 0
	v_and_b32_e32 v2, 16, v30
	s_and_b32 s40, vcc_lo, s40
	s_and_b32 s40, s13, s40
	s_delay_alu instid0(SALU_CYCLE_1)
	s_and_saveexec_b32 s13, s40
	s_cbranch_execz .LBB4_3078
; %bb.3077:                             ;   in Loop: Header=BB4_3030 Depth=3
	v_mov_b32_e32 v2, 1
	global_wb scope:SCOPE_SYS
	s_wait_loadcnt 0x0
	s_wait_storecnt 0x0
	global_inv scope:SCOPE_SYS
.LBB4_3078:                             ;   in Loop: Header=BB4_3030 Depth=3
	s_or_b32 exec_lo, exec_lo, s13
	s_and_not1_saveexec_b32 s13, s27
	s_cbranch_execz .LBB4_3098
	s_branch .LBB4_3080
.LBB4_3079:                             ;   in Loop: Header=BB4_3030 Depth=3
	s_and_not1_saveexec_b32 s13, s27
	s_cbranch_execz .LBB4_3098
.LBB4_3080:                             ;   in Loop: Header=BB4_3030 Depth=3
	s_and_saveexec_b32 s27, s3
	s_delay_alu instid0(SALU_CYCLE_1)
	s_xor_b32 s27, exec_lo, s27
	s_cbranch_execz .LBB4_3095
; %bb.3081:                             ;   in Loop: Header=BB4_3030 Depth=3
	s_and_saveexec_b32 s40, s6
	s_cbranch_execz .LBB4_3094
; %bb.3082:                             ;   in Loop: Header=BB4_3030 Depth=3
	s_mov_b32 s88, exec_lo
	s_mov_b32 s41, exec_lo
	v_mbcnt_lo_u32_b32 v2, s88, 0
	;;#ASMSTART
	s_waitcnt lgkmcnt(0) vmcnt(0)
	;;#ASMEND
	s_delay_alu instid0(VALU_DEP_1)
	v_cmpx_eq_u32_e32 0, v2
	s_cbranch_execz .LBB4_3084
; %bb.3083:                             ;   in Loop: Header=BB4_3030 Depth=3
	s_bcnt1_i32_b32 s88, s88
	s_delay_alu instid0(SALU_CYCLE_1)
	v_mov_b32_e32 v2, s88
	s_wait_storecnt 0x0
	s_wait_loadcnt_dscnt 0x0
	ds_add_u64 v0, v[2:3]
	s_trap 2
.LBB4_3084:                             ;   in Loop: Header=BB4_3030 Depth=3
	s_or_b32 exec_lo, exec_lo, s41
	s_trap 2
	ds_load_b64 v[8:9], v0
	s_wait_dscnt 0x0
	v_add_nc_u64_e32 v[48:49], v[48:49], v[52:53]
	s_mov_b32 s41, exec_lo
	s_delay_alu instid0(VALU_DEP_1)
	v_cmpx_lt_u64_e64 v[8:9], v[48:49]
	s_cbranch_execz .LBB4_3093
; %bb.3085:                             ;   in Loop: Header=BB4_3030 Depth=3
	s_mov_b32 s88, 0
	s_mov_b32 s91, 0
                                        ; implicit-def: $sgpr89
                                        ; implicit-def: $sgpr90
	s_branch .LBB4_3087
.LBB4_3086:                             ;   in Loop: Header=BB4_3087 Depth=4
	s_or_b32 exec_lo, exec_lo, s93
	s_delay_alu instid0(SALU_CYCLE_1) | instskip(NEXT) | instid1(SALU_CYCLE_1)
	s_and_b32 s92, exec_lo, s94
	s_or_b32 s88, s92, s88
	s_and_not1_b32 s89, s89, exec_lo
	s_and_b32 s92, s90, exec_lo
	s_delay_alu instid0(SALU_CYCLE_1)
	s_or_b32 s89, s89, s92
	s_and_not1_b32 exec_lo, exec_lo, s88
	s_cbranch_execz .LBB4_3091
.LBB4_3087:                             ;   Parent Loop BB4_47 Depth=1
                                        ;     Parent Loop BB4_2777 Depth=2
                                        ;       Parent Loop BB4_3030 Depth=3
                                        ; =>      This Inner Loop Header: Depth=4
	s_add_co_i32 s91, s91, 1
	s_delay_alu instid0(SALU_CYCLE_1) | instskip(SKIP_1) | instid1(SALU_CYCLE_1)
	s_cmp_lg_u32 s91, 0x2710
	s_cselect_b32 s92, -1, 0
	s_and_b32 vcc_lo, exec_lo, s92
	s_cbranch_vccz .LBB4_3089
; %bb.3088:                             ;   in Loop: Header=BB4_3087 Depth=4
	s_mov_b32 s94, -1
	s_or_b32 s90, s90, exec_lo
	s_and_saveexec_b32 s93, s92
	s_cbranch_execz .LBB4_3086
	s_branch .LBB4_3090
.LBB4_3089:                             ;   in Loop: Header=BB4_3087 Depth=4
	s_trap 2
	ds_load_b64 v[8:9], v0
	s_and_not1_b32 s92, s92, exec_lo
	s_mov_b32 s91, 0
	s_wait_storecnt 0x0
	s_wait_loadcnt_dscnt 0x0
	flat_load_b32 v2, v[8:9] scope:SCOPE_SYS
	s_wait_loadcnt_dscnt 0x0
	global_inv scope:SCOPE_SYS
	v_cmp_eq_u32_e32 vcc_lo, 0, v2
	s_and_b32 s93, vcc_lo, exec_lo
	s_delay_alu instid0(SALU_CYCLE_1)
	s_or_b32 s92, s92, s93
	s_mov_b32 s94, -1
	s_or_b32 s90, s90, exec_lo
	s_and_saveexec_b32 s93, s92
	s_cbranch_execz .LBB4_3086
.LBB4_3090:                             ;   in Loop: Header=BB4_3087 Depth=4
	s_sleep 1
	s_trap 2
	ds_load_b64 v[8:9], v0
	s_wait_dscnt 0x0
	s_and_not1_b32 s90, s90, exec_lo
	v_cmp_ge_u64_e32 vcc_lo, v[8:9], v[48:49]
	s_or_not1_b32 s94, vcc_lo, exec_lo
	s_branch .LBB4_3086
.LBB4_3091:                             ;   in Loop: Header=BB4_3030 Depth=3
	s_or_b32 exec_lo, exec_lo, s88
	s_and_saveexec_b32 s88, s89
	s_delay_alu instid0(SALU_CYCLE_1)
	s_xor_b32 s88, exec_lo, s88
	s_cbranch_execz .LBB4_3093
; %bb.3092:                             ;   in Loop: Header=BB4_3030 Depth=3
	ds_store_b32 v0, v75
	s_trap 2
.LBB4_3093:                             ;   in Loop: Header=BB4_3030 Depth=3
	s_or_b32 exec_lo, exec_lo, s41
	;;#ASMSTART
	s_wakeup
	;;#ASMEND
.LBB4_3094:                             ;   in Loop: Header=BB4_3030 Depth=3
	s_or_b32 exec_lo, exec_lo, s40
.LBB4_3095:                             ;   in Loop: Header=BB4_3030 Depth=3
	s_and_not1_saveexec_b32 s27, s27
	s_cbranch_execz .LBB4_3097
; %bb.3096:                             ;   in Loop: Header=BB4_3030 Depth=3
	;;#ASMSTART
	s_waitcnt lgkmcnt(0) vmcnt(0)
	;;#ASMEND
	s_barrier_signal -1
	s_barrier_wait -1
.LBB4_3097:                             ;   in Loop: Header=BB4_3030 Depth=3
	s_or_b32 exec_lo, exec_lo, s27
	v_and_b32_e32 v2, 16, v30
.LBB4_3098:                             ;   in Loop: Header=BB4_3030 Depth=3
	s_or_b32 exec_lo, exec_lo, s13
	s_delay_alu instid0(VALU_DEP_1) | instskip(SKIP_1) | instid1(SALU_CYCLE_1)
	v_cmp_ne_u32_e32 vcc_lo, 0, v2
	s_xor_b32 s13, s4, -1
	s_and_b32 s27, vcc_lo, s13
	s_delay_alu instid0(SALU_CYCLE_1)
	s_and_saveexec_b32 s13, s27
	s_cbranch_execz .LBB4_3100
; %bb.3099:                             ;   in Loop: Header=BB4_3030 Depth=3
	global_wb scope:SCOPE_SYS
	s_wait_storecnt 0x0
	s_wait_loadcnt_dscnt 0x0
	flat_store_b32 v[38:39], v75 scope:SCOPE_SYS
.LBB4_3100:                             ;   in Loop: Header=BB4_3030 Depth=3
	s_wait_xcnt 0x0
	s_or_b32 exec_lo, exec_lo, s13
	v_and_b32_e32 v2, 48, v30
	s_mov_b32 s13, exec_lo
	s_delay_alu instid0(VALU_DEP_1)
	v_cmpx_ne_u32_e32 0, v2
	s_cbranch_execz .LBB4_3029
; %bb.3101:                             ;   in Loop: Header=BB4_3030 Depth=3
	v_add_nc_u64_e32 v[114:115], 2, v[114:115]
	global_wb scope:SCOPE_SYS
	s_wait_storecnt 0x0
	s_wait_loadcnt_dscnt 0x0
	flat_store_b64 v[32:33], v[114:115] scope:SCOPE_SYS
	s_branch .LBB4_3029
.LBB4_3102:                             ;   in Loop: Header=BB4_2777 Depth=2
	s_or_b32 exec_lo, exec_lo, s15
.LBB4_3103:                             ;   in Loop: Header=BB4_2777 Depth=2
	s_delay_alu instid0(SALU_CYCLE_1)
	s_or_b32 exec_lo, exec_lo, s14
	s_add_co_i32 s13, s18, 1
	s_cmp_eq_u32 s18, s76
	s_cbranch_scc1 .LBB4_3105
; %bb.3104:                             ;   in Loop: Header=BB4_2777 Depth=2
	s_mov_b32 s18, s13
	s_branch .LBB4_2777
.LBB4_3105:                             ;   in Loop: Header=BB4_47 Depth=1
	v_mul_u64_e32 v[8:9], s[28:29], v[112:113]
	s_delay_alu instid0(VALU_DEP_1) | instskip(SKIP_1) | instid1(VALU_DEP_2)
	v_sub_nc_u64_e32 v[10:11], v[116:117], v[8:9]
	v_mov_b32_e32 v116, 0
	v_min_i64 v[10:11], v[112:113], v[10:11]
	s_delay_alu instid0(VALU_DEP_1) | instskip(SKIP_1) | instid1(VALU_DEP_2)
	v_max_i32_e32 v58, 0, v10
	v_cmp_lt_i32_e32 vcc_lo, 0, v10
	v_add_nc_u32_e32 v2, 31, v58
	s_and_b32 s13, s77, vcc_lo
	s_delay_alu instid0(VALU_DEP_1) | instskip(NEXT) | instid1(VALU_DEP_1)
	v_lshrrev_b32_e32 v2, 1, v2
	v_and_b32_e32 v11, 0x3ffffff0, v2
	s_delay_alu instid0(VALU_DEP_1)
	v_dual_mov_b32 v2, 0 :: v_dual_max_i32 v59, s45, v11
	s_and_saveexec_b32 s14, s13
	s_cbranch_execz .LBB4_3274
; %bb.3106:                             ;   in Loop: Header=BB4_47 Depth=1
	v_add_nc_u64_e32 v[8:9], v[8:9], v[118:119]
	v_mov_b32_e32 v116, 0
	s_mov_b32 s27, 1
	s_mov_b32 s18, -1
	s_mov_b32 s15, 0
	s_delay_alu instid0(VALU_DEP_2)
	v_lshlrev_b64_e32 v[118:119], 1, v[8:9]
	s_branch .LBB4_3108
.LBB4_3107:                             ;   in Loop: Header=BB4_3108 Depth=2
	s_wait_xcnt 0x0
	s_or_b32 exec_lo, exec_lo, s13
	v_dual_add_nc_u32 v116, v59, v116 :: v_dual_mov_b32 v2, s27
	s_xor_b32 s13, s18, -1
	s_mov_b32 s18, 0
	s_mov_b32 s27, 2
	s_delay_alu instid0(VALU_DEP_1) | instskip(SKIP_1) | instid1(SALU_CYCLE_1)
	v_cmp_ge_i32_e32 vcc_lo, v116, v58
	s_or_b32 s13, s13, vcc_lo
	s_and_b32 s13, exec_lo, s13
	s_delay_alu instid0(SALU_CYCLE_1) | instskip(NEXT) | instid1(SALU_CYCLE_1)
	s_or_b32 s15, s13, s15
	s_and_not1_b32 exec_lo, exec_lo, s15
	s_cbranch_execz .LBB4_3273
.LBB4_3108:                             ;   Parent Loop BB4_47 Depth=1
                                        ; =>  This Loop Header: Depth=2
                                        ;       Child Loop BB4_3116 Depth 3
                                        ;       Child Loop BB4_3140 Depth 3
	;; [unrolled: 1-line block ×9, first 2 shown]
	s_and_saveexec_b32 s13, s0
	s_cbranch_execz .LBB4_3110
; %bb.3109:                             ;   in Loop: Header=BB4_3108 Depth=2
	s_trap 2
	ds_load_b128 v[8:11], v0
	s_wait_dscnt 0x0
	v_cmp_ne_u64_e32 vcc_lo, 0, v[10:11]
	v_ashrrev_i32_e32 v117, 31, v116
	v_add_nc_u64_e32 v[14:15], v[10:11], v[118:119]
	v_add_nc_u64_e32 v[8:9], v[8:9], v[118:119]
	s_delay_alu instid0(VALU_DEP_3) | instskip(NEXT) | instid1(VALU_DEP_1)
	v_lshlrev_b64_e32 v[12:13], 1, v[116:117]
	v_add_nc_u64_e32 v[14:15], v[14:15], v[12:13]
	s_delay_alu instid0(VALU_DEP_3) | instskip(NEXT) | instid1(VALU_DEP_2)
	v_add_nc_u64_e32 v[8:9], v[8:9], v[12:13]
	v_dual_cndmask_b32 v11, 0, v15 :: v_dual_cndmask_b32 v10, 0, v14
	ds_store_b64 v0, v[8:9]
	ds_store_b64 v0, v[10:11]
.LBB4_3110:                             ;   in Loop: Header=BB4_3108 Depth=2
	s_or_b32 exec_lo, exec_lo, s13
	v_and_b32_e32 v2, 4, v30
	s_mov_b32 s40, exec_lo
	s_delay_alu instid0(VALU_DEP_1)
	v_cmpx_ne_u32_e32 0, v2
	s_cbranch_execz .LBB4_3132
; %bb.3111:                             ;   in Loop: Header=BB4_3108 Depth=2
	v_add_nc_u64_e32 v[8:9], 2, v[114:115]
	s_mov_b32 s41, exec_lo
	s_wait_loadcnt_dscnt 0x1
	s_delay_alu instid0(VALU_DEP_1)
	v_cmpx_lt_u64_e64 v[50:51], v[8:9]
	s_cbranch_execz .LBB4_3123
; %bb.3112:                             ;   in Loop: Header=BB4_3108 Depth=2
	v_and_b32_e32 v2, 64, v30
	s_mov_b32 s88, 0
	s_mov_b32 s92, 0
                                        ; implicit-def: $sgpr89
                                        ; implicit-def: $sgpr90
                                        ; implicit-def: $sgpr91
	s_delay_alu instid0(VALU_DEP_1)
	v_cmp_eq_u32_e32 vcc_lo, 0, v2
	s_branch .LBB4_3116
.LBB4_3113:                             ;   in Loop: Header=BB4_3116 Depth=3
	s_wait_loadcnt_dscnt 0x0
	v_cmp_ge_u64_e64 s13, v[50:51], v[8:9]
	s_or_b32 s95, s95, exec_lo
	s_or_not1_b32 s94, s13, exec_lo
.LBB4_3114:                             ;   in Loop: Header=BB4_3116 Depth=3
	s_or_b32 exec_lo, exec_lo, s30
	s_delay_alu instid0(SALU_CYCLE_1)
	s_and_not1_b32 s13, s91, exec_lo
	s_and_b32 s91, s95, exec_lo
	s_and_not1_b32 s90, s90, exec_lo
	s_and_b32 s94, s94, exec_lo
	s_or_b32 s91, s13, s91
	s_or_b32 s90, s90, s94
.LBB4_3115:                             ;   in Loop: Header=BB4_3116 Depth=3
	s_or_b32 exec_lo, exec_lo, s93
	s_delay_alu instid0(SALU_CYCLE_1) | instskip(NEXT) | instid1(SALU_CYCLE_1)
	s_and_b32 s13, exec_lo, s90
	s_or_b32 s88, s13, s88
	s_and_not1_b32 s13, s89, exec_lo
	s_and_b32 s89, s91, exec_lo
	s_delay_alu instid0(SALU_CYCLE_1)
	s_or_b32 s89, s13, s89
	s_and_not1_b32 exec_lo, exec_lo, s88
	s_cbranch_execz .LBB4_3120
.LBB4_3116:                             ;   Parent Loop BB4_47 Depth=1
                                        ;     Parent Loop BB4_3108 Depth=2
                                        ; =>    This Inner Loop Header: Depth=3
	s_sleep 1
	s_wait_loadcnt_dscnt 0x0
	flat_load_b64 v[50:51], v[32:33] scope:SCOPE_SYS
	s_or_b32 s91, s91, exec_lo
	s_or_b32 s90, s90, exec_lo
                                        ; implicit-def: $vgpr2
	s_wait_xcnt 0x0
	s_and_saveexec_b32 s93, vcc_lo
	s_cbranch_execz .LBB4_3115
; %bb.3117:                             ;   in Loop: Header=BB4_3116 Depth=3
	s_cmp_lt_i32 s92, 0x270f
	s_mov_b32 s94, -1
	s_cselect_b32 vcc_hi, -1, 0
	s_cmp_gt_i32 s92, 0x270e
	s_cbranch_scc0 .LBB4_3119
; %bb.3118:                             ;   in Loop: Header=BB4_3116 Depth=3
	s_trap 2
	ds_load_b64 v[10:11], v0
	s_and_not1_b32 s92, vcc_hi, exec_lo
	s_mov_b32 s95, 0
	s_wait_storecnt 0x0
	s_wait_loadcnt_dscnt 0x0
	flat_load_b32 v2, v[10:11] scope:SCOPE_SYS
	s_wait_loadcnt_dscnt 0x0
	global_inv scope:SCOPE_SYS
	v_cmp_eq_u32_e64 s13, 0, v2
	s_and_b32 s13, s13, exec_lo
	s_delay_alu instid0(SALU_CYCLE_1)
	s_or_b32 vcc_hi, s92, s13
	s_mov_b32 s92, 0
	s_wait_xcnt 0x0
	s_and_saveexec_b32 s30, vcc_hi
	s_cbranch_execz .LBB4_3114
	s_branch .LBB4_3113
.LBB4_3119:                             ;   in Loop: Header=BB4_3116 Depth=3
	s_add_co_i32 s92, s92, 1
	s_mov_b32 s95, -1
                                        ; implicit-def: $vgpr2
	s_and_saveexec_b32 s30, vcc_hi
	s_cbranch_execz .LBB4_3114
	s_branch .LBB4_3113
.LBB4_3120:                             ;   in Loop: Header=BB4_3108 Depth=2
	s_or_b32 exec_lo, exec_lo, s88
	s_xor_b32 s13, s89, -1
	s_delay_alu instid0(SALU_CYCLE_1) | instskip(NEXT) | instid1(SALU_CYCLE_1)
	s_and_saveexec_b32 s88, s13
	s_xor_b32 s13, exec_lo, s88
	s_cbranch_execz .LBB4_3122
; %bb.3121:                             ;   in Loop: Header=BB4_3108 Depth=2
	v_or_b32_e32 v30, 64, v30
	s_wait_storecnt 0x0
	s_wait_loadcnt_dscnt 0x0
	ds_store_b32 v0, v2
	s_trap 2
.LBB4_3122:                             ;   in Loop: Header=BB4_3108 Depth=2
	s_or_b32 exec_lo, exec_lo, s13
.LBB4_3123:                             ;   in Loop: Header=BB4_3108 Depth=2
	s_delay_alu instid0(SALU_CYCLE_1) | instskip(SKIP_3) | instid1(VALU_DEP_1)
	s_or_b32 exec_lo, exec_lo, s41
	v_and_b32_e32 v2, 0x100, v30
	s_mov_b32 s13, -1
	;;#ASMSTART
	s_wakeup
	;;#ASMEND
                                        ; implicit-def: $vgpr10_vgpr11
	v_cmp_ne_u32_e32 vcc_lo, 0, v2
	v_and_b32_e32 v2, 7, v114
	s_and_saveexec_b32 s41, vcc_lo
	s_cbranch_execz .LBB4_3127
; %bb.3124:                             ;   in Loop: Header=BB4_3108 Depth=2
	s_delay_alu instid0(VALU_DEP_1)
	v_mad_nc_u64_u32 v[12:13], v2, 24, v[6:7]
	flat_load_b32 v10, v[12:13]
	s_wait_loadcnt_dscnt 0x0
	v_cmp_eq_u32_e64 s13, 1, v10
	v_cmp_ne_u32_e32 vcc_lo, 1, v10
                                        ; implicit-def: $vgpr10_vgpr11
	s_wait_xcnt 0x0
	s_and_saveexec_b32 s88, s13
	s_cbranch_execz .LBB4_3126
; %bb.3125:                             ;   in Loop: Header=BB4_3108 Depth=2
	flat_load_b32 v10, v[12:13] offset:4 scope:SCOPE_SYS
	s_wait_loadcnt_dscnt 0x0
	v_ashrrev_i32_e32 v11, 31, v10
	s_delay_alu instid0(VALU_DEP_1)
	v_lshrrev_b64 v[10:11], 1, v[10:11]
.LBB4_3126:                             ;   in Loop: Header=BB4_3108 Depth=2
	s_wait_xcnt 0x0
	s_or_b32 exec_lo, exec_lo, s88
	s_delay_alu instid0(SALU_CYCLE_1)
	s_or_not1_b32 s13, vcc_lo, exec_lo
.LBB4_3127:                             ;   in Loop: Header=BB4_3108 Depth=2
	s_or_b32 exec_lo, exec_lo, s41
	s_and_saveexec_b32 s41, s13
; %bb.3128:                             ;   in Loop: Header=BB4_3108 Depth=2
	v_mul_u64_e32 v[10:11], v[2:3], v[34:35]
; %bb.3129:                             ;   in Loop: Header=BB4_3108 Depth=2
	s_or_b32 exec_lo, exec_lo, s41
	v_and_b32_e32 v2, 0x2000, v30
	s_delay_alu instid0(VALU_DEP_2)
	v_lshl_add_u64 v[10:11], v[10:11], 1, v[36:37]
	s_mov_b32 s13, exec_lo
	ds_store_b64 v0, v[10:11] offset:720
	v_cmpx_ne_u32_e32 0, v2
	s_cbranch_execz .LBB4_3131
; %bb.3130:                             ;   in Loop: Header=BB4_3108 Depth=2
	ds_load_b64 v[10:11], v0 offset:872
	s_wait_dscnt 0x0
	v_add_nc_u64_e32 v[10:11], 1, v[10:11]
	ds_store_b64 v0, v[10:11] offset:872
.LBB4_3131:                             ;   in Loop: Header=BB4_3108 Depth=2
	s_or_b32 exec_lo, exec_lo, s13
	v_mov_b64_e32 v[114:115], v[8:9]
.LBB4_3132:                             ;   in Loop: Header=BB4_3108 Depth=2
	s_or_b32 exec_lo, exec_lo, s40
	s_and_saveexec_b32 s13, s2
	s_cbranch_execz .LBB4_3151
; %bb.3133:                             ;   in Loop: Header=BB4_3108 Depth=2
	s_and_saveexec_b32 s40, s3
	s_delay_alu instid0(SALU_CYCLE_1)
	s_xor_b32 s40, exec_lo, s40
	s_cbranch_execz .LBB4_3148
; %bb.3134:                             ;   in Loop: Header=BB4_3108 Depth=2
	s_and_saveexec_b32 s41, s6
	s_cbranch_execz .LBB4_3147
; %bb.3135:                             ;   in Loop: Header=BB4_3108 Depth=2
	s_mov_b32 s89, exec_lo
	s_mov_b32 s88, exec_lo
	v_mbcnt_lo_u32_b32 v2, s89, 0
	global_wb scope:SCOPE_DEV
	s_wait_storecnt 0x0
	s_wait_loadcnt_dscnt 0x0
	global_inv scope:SCOPE_DEV
	v_cmpx_eq_u32_e32 0, v2
	s_cbranch_execz .LBB4_3137
; %bb.3136:                             ;   in Loop: Header=BB4_3108 Depth=2
	s_bcnt1_i32_b32 s89, s89
	s_delay_alu instid0(SALU_CYCLE_1)
	v_mov_b32_e32 v2, s89
	s_wait_loadcnt 0x0
	ds_add_u64 v0, v[2:3]
	s_trap 2
.LBB4_3137:                             ;   in Loop: Header=BB4_3108 Depth=2
	s_or_b32 exec_lo, exec_lo, s88
	s_trap 2
	ds_load_b64 v[8:9], v0
	s_wait_dscnt 0x0
	v_add_nc_u64_e32 v[48:49], v[48:49], v[52:53]
	s_mov_b32 s88, exec_lo
	s_delay_alu instid0(VALU_DEP_1)
	v_cmpx_lt_u64_e64 v[8:9], v[48:49]
	s_cbranch_execz .LBB4_3146
; %bb.3138:                             ;   in Loop: Header=BB4_3108 Depth=2
	s_mov_b32 s89, 0
	s_mov_b32 s92, 0
                                        ; implicit-def: $sgpr90
                                        ; implicit-def: $sgpr91
	s_branch .LBB4_3140
.LBB4_3139:                             ;   in Loop: Header=BB4_3140 Depth=3
	s_or_b32 exec_lo, exec_lo, s94
	s_delay_alu instid0(SALU_CYCLE_1) | instskip(NEXT) | instid1(SALU_CYCLE_1)
	s_and_b32 s93, exec_lo, s95
	s_or_b32 s89, s93, s89
	s_and_not1_b32 s90, s90, exec_lo
	s_and_b32 s93, s91, exec_lo
	s_delay_alu instid0(SALU_CYCLE_1)
	s_or_b32 s90, s90, s93
	s_and_not1_b32 exec_lo, exec_lo, s89
	s_cbranch_execz .LBB4_3144
.LBB4_3140:                             ;   Parent Loop BB4_47 Depth=1
                                        ;     Parent Loop BB4_3108 Depth=2
                                        ; =>    This Inner Loop Header: Depth=3
	s_add_co_i32 s92, s92, 1
	s_delay_alu instid0(SALU_CYCLE_1) | instskip(SKIP_1) | instid1(SALU_CYCLE_1)
	s_cmp_lg_u32 s92, 0x2710
	s_cselect_b32 s93, -1, 0
	s_and_b32 vcc_lo, exec_lo, s93
	s_cbranch_vccz .LBB4_3142
; %bb.3141:                             ;   in Loop: Header=BB4_3140 Depth=3
	s_mov_b32 s95, -1
	s_or_b32 s91, s91, exec_lo
	s_and_saveexec_b32 s94, s93
	s_cbranch_execz .LBB4_3139
	s_branch .LBB4_3143
.LBB4_3142:                             ;   in Loop: Header=BB4_3140 Depth=3
	s_trap 2
	ds_load_b64 v[8:9], v0
	s_and_not1_b32 s93, s93, exec_lo
	s_mov_b32 s92, 0
	s_wait_loadcnt_dscnt 0x0
	flat_load_b32 v2, v[8:9] scope:SCOPE_SYS
	s_wait_loadcnt_dscnt 0x0
	global_inv scope:SCOPE_SYS
	v_cmp_eq_u32_e32 vcc_lo, 0, v2
	s_and_b32 s94, vcc_lo, exec_lo
	s_delay_alu instid0(SALU_CYCLE_1)
	s_or_b32 s93, s93, s94
	s_mov_b32 s95, -1
	s_or_b32 s91, s91, exec_lo
	s_wait_xcnt 0x0
	s_and_saveexec_b32 s94, s93
	s_cbranch_execz .LBB4_3139
.LBB4_3143:                             ;   in Loop: Header=BB4_3140 Depth=3
	s_sleep 1
	s_trap 2
	ds_load_b64 v[8:9], v0
	s_wait_dscnt 0x0
	s_and_not1_b32 s91, s91, exec_lo
	v_cmp_ge_u64_e32 vcc_lo, v[8:9], v[48:49]
	s_or_not1_b32 s95, vcc_lo, exec_lo
	s_branch .LBB4_3139
.LBB4_3144:                             ;   in Loop: Header=BB4_3108 Depth=2
	s_or_b32 exec_lo, exec_lo, s89
	s_and_saveexec_b32 s89, s90
	s_delay_alu instid0(SALU_CYCLE_1)
	s_xor_b32 s89, exec_lo, s89
	s_cbranch_execz .LBB4_3146
; %bb.3145:                             ;   in Loop: Header=BB4_3108 Depth=2
	ds_store_b32 v0, v75
	s_trap 2
.LBB4_3146:                             ;   in Loop: Header=BB4_3108 Depth=2
	s_or_b32 exec_lo, exec_lo, s88
	;;#ASMSTART
	s_wakeup
	;;#ASMEND
.LBB4_3147:                             ;   in Loop: Header=BB4_3108 Depth=2
	s_or_b32 exec_lo, exec_lo, s41
.LBB4_3148:                             ;   in Loop: Header=BB4_3108 Depth=2
	s_and_not1_saveexec_b32 s40, s40
	s_cbranch_execz .LBB4_3150
; %bb.3149:                             ;   in Loop: Header=BB4_3108 Depth=2
	global_wb scope:SCOPE_DEV
	s_wait_storecnt 0x0
	s_wait_loadcnt_dscnt 0x0
	global_inv scope:SCOPE_DEV
	s_barrier_signal -1
	s_barrier_wait -1
.LBB4_3150:                             ;   in Loop: Header=BB4_3108 Depth=2
	s_or_b32 exec_lo, exec_lo, s40
.LBB4_3151:                             ;   in Loop: Header=BB4_3108 Depth=2
	s_delay_alu instid0(SALU_CYCLE_1) | instskip(SKIP_4) | instid1(VALU_DEP_1)
	s_or_b32 exec_lo, exec_lo, s13
	s_trap 2
	ds_load_b32 v8, v0
	v_and_b32_e32 v2, 0x4000, v30
	s_xor_b32 s13, s1, -1
	v_cmp_ne_u32_e32 vcc_lo, 0, v2
	s_and_b32 s40, s13, vcc_lo
	s_delay_alu instid0(SALU_CYCLE_1)
	s_and_saveexec_b32 s13, s40
	s_cbranch_execz .LBB4_3170
; %bb.3152:                             ;   in Loop: Header=BB4_3108 Depth=2
	s_and_saveexec_b32 s40, s3
	s_delay_alu instid0(SALU_CYCLE_1)
	s_xor_b32 s40, exec_lo, s40
	s_cbranch_execz .LBB4_3167
; %bb.3153:                             ;   in Loop: Header=BB4_3108 Depth=2
	s_and_saveexec_b32 s41, s6
	s_cbranch_execz .LBB4_3166
; %bb.3154:                             ;   in Loop: Header=BB4_3108 Depth=2
	s_mov_b32 s89, exec_lo
	s_mov_b32 s88, exec_lo
	v_mbcnt_lo_u32_b32 v2, s89, 0
	global_wb scope:SCOPE_DEV
	s_wait_storecnt 0x0
	s_wait_loadcnt_dscnt 0x0
	global_inv scope:SCOPE_DEV
	v_cmpx_eq_u32_e32 0, v2
	s_cbranch_execz .LBB4_3156
; %bb.3155:                             ;   in Loop: Header=BB4_3108 Depth=2
	s_bcnt1_i32_b32 s89, s89
	s_delay_alu instid0(SALU_CYCLE_1)
	v_mov_b32_e32 v2, s89
	s_wait_loadcnt 0x0
	ds_add_u64 v0, v[2:3]
	s_trap 2
.LBB4_3156:                             ;   in Loop: Header=BB4_3108 Depth=2
	s_or_b32 exec_lo, exec_lo, s88
	s_trap 2
	ds_load_b64 v[10:11], v0
	s_wait_dscnt 0x0
	v_add_nc_u64_e32 v[48:49], v[48:49], v[52:53]
	s_mov_b32 s88, exec_lo
	s_delay_alu instid0(VALU_DEP_1)
	v_cmpx_lt_u64_e64 v[10:11], v[48:49]
	s_cbranch_execz .LBB4_3165
; %bb.3157:                             ;   in Loop: Header=BB4_3108 Depth=2
	s_mov_b32 s89, 0
	s_mov_b32 s92, 0
                                        ; implicit-def: $sgpr90
                                        ; implicit-def: $sgpr91
	s_branch .LBB4_3159
.LBB4_3158:                             ;   in Loop: Header=BB4_3159 Depth=3
	s_or_b32 exec_lo, exec_lo, s94
	s_delay_alu instid0(SALU_CYCLE_1) | instskip(NEXT) | instid1(SALU_CYCLE_1)
	s_and_b32 s93, exec_lo, s95
	s_or_b32 s89, s93, s89
	s_and_not1_b32 s90, s90, exec_lo
	s_and_b32 s93, s91, exec_lo
	s_delay_alu instid0(SALU_CYCLE_1)
	s_or_b32 s90, s90, s93
	s_and_not1_b32 exec_lo, exec_lo, s89
	s_cbranch_execz .LBB4_3163
.LBB4_3159:                             ;   Parent Loop BB4_47 Depth=1
                                        ;     Parent Loop BB4_3108 Depth=2
                                        ; =>    This Inner Loop Header: Depth=3
	s_add_co_i32 s92, s92, 1
	s_delay_alu instid0(SALU_CYCLE_1) | instskip(SKIP_1) | instid1(SALU_CYCLE_1)
	s_cmp_lg_u32 s92, 0x2710
	s_cselect_b32 s93, -1, 0
	s_and_b32 vcc_lo, exec_lo, s93
	s_cbranch_vccz .LBB4_3161
; %bb.3160:                             ;   in Loop: Header=BB4_3159 Depth=3
	s_mov_b32 s95, -1
	s_or_b32 s91, s91, exec_lo
	s_and_saveexec_b32 s94, s93
	s_cbranch_execz .LBB4_3158
	s_branch .LBB4_3162
.LBB4_3161:                             ;   in Loop: Header=BB4_3159 Depth=3
	s_trap 2
	ds_load_b64 v[10:11], v0
	s_and_not1_b32 s93, s93, exec_lo
	s_mov_b32 s92, 0
	s_wait_loadcnt_dscnt 0x0
	flat_load_b32 v2, v[10:11] scope:SCOPE_SYS
	s_wait_loadcnt_dscnt 0x0
	global_inv scope:SCOPE_SYS
	v_cmp_eq_u32_e32 vcc_lo, 0, v2
	s_and_b32 s94, vcc_lo, exec_lo
	s_delay_alu instid0(SALU_CYCLE_1)
	s_or_b32 s93, s93, s94
	s_mov_b32 s95, -1
	s_or_b32 s91, s91, exec_lo
	s_wait_xcnt 0x0
	s_and_saveexec_b32 s94, s93
	s_cbranch_execz .LBB4_3158
.LBB4_3162:                             ;   in Loop: Header=BB4_3159 Depth=3
	s_sleep 1
	s_trap 2
	ds_load_b64 v[10:11], v0
	s_wait_dscnt 0x0
	s_and_not1_b32 s91, s91, exec_lo
	v_cmp_ge_u64_e32 vcc_lo, v[10:11], v[48:49]
	s_or_not1_b32 s95, vcc_lo, exec_lo
	s_branch .LBB4_3158
.LBB4_3163:                             ;   in Loop: Header=BB4_3108 Depth=2
	s_or_b32 exec_lo, exec_lo, s89
	s_and_saveexec_b32 s89, s90
	s_delay_alu instid0(SALU_CYCLE_1)
	s_xor_b32 s89, exec_lo, s89
	s_cbranch_execz .LBB4_3165
; %bb.3164:                             ;   in Loop: Header=BB4_3108 Depth=2
	ds_store_b32 v0, v75
	s_trap 2
.LBB4_3165:                             ;   in Loop: Header=BB4_3108 Depth=2
	s_or_b32 exec_lo, exec_lo, s88
	;;#ASMSTART
	s_wakeup
	;;#ASMEND
.LBB4_3166:                             ;   in Loop: Header=BB4_3108 Depth=2
	s_or_b32 exec_lo, exec_lo, s41
.LBB4_3167:                             ;   in Loop: Header=BB4_3108 Depth=2
	s_and_not1_saveexec_b32 s40, s40
	s_cbranch_execz .LBB4_3169
; %bb.3168:                             ;   in Loop: Header=BB4_3108 Depth=2
	global_wb scope:SCOPE_DEV
	s_wait_storecnt 0x0
	s_wait_loadcnt_dscnt 0x0
	global_inv scope:SCOPE_DEV
	s_barrier_signal -1
	s_barrier_wait -1
.LBB4_3169:                             ;   in Loop: Header=BB4_3108 Depth=2
	s_or_b32 exec_lo, exec_lo, s40
.LBB4_3170:                             ;   in Loop: Header=BB4_3108 Depth=2
	s_delay_alu instid0(SALU_CYCLE_1) | instskip(SKIP_4) | instid1(VALU_DEP_1)
	s_or_b32 exec_lo, exec_lo, s13
	s_trap 2
	s_wait_dscnt 0x1
	ds_load_b64 v[40:41], v0
	v_sub_nc_u32_e32 v2, v58, v116
	v_min_i32_e32 v59, v59, v2
	s_wait_dscnt 0x0
	v_cmp_eq_u64_e32 vcc_lo, 0, v[40:41]
	s_cbranch_vccnz .LBB4_3178
; %bb.3171:                             ;   in Loop: Header=BB4_3108 Depth=2
	s_trap 2
	ds_load_b64 v[42:43], v0
	s_wait_dscnt 0x0
	v_cmp_eq_u64_e32 vcc_lo, 0, v[42:43]
	s_cbranch_vccnz .LBB4_3178
; %bb.3172:                             ;   in Loop: Header=BB4_3108 Depth=2
	s_mov_b32 s13, -1
	s_and_saveexec_b32 s40, s10
	s_cbranch_execz .LBB4_3174
; %bb.3173:                             ;   in Loop: Header=BB4_3108 Depth=2
	ds_load_b32 v2, v0 offset:720
	s_wait_dscnt 0x0
	v_and_b32_e32 v2, 15, v2
	s_delay_alu instid0(VALU_DEP_1)
	v_cmp_eq_u32_e32 vcc_lo, 0, v2
	s_or_not1_b32 s13, vcc_lo, exec_lo
.LBB4_3174:                             ;   in Loop: Header=BB4_3108 Depth=2
	s_or_b32 exec_lo, exec_lo, s40
	s_and_saveexec_b32 s40, s7
	s_cbranch_execz .LBB4_3176
; %bb.3175:                             ;   in Loop: Header=BB4_3108 Depth=2
	ds_load_b32 v2, v0 offset:784
	s_wait_dscnt 0x0
	v_and_b32_e32 v2, 15, v2
	s_delay_alu instid0(VALU_DEP_1) | instskip(SKIP_3) | instid1(SALU_CYCLE_1)
	v_cmp_eq_u32_e32 vcc_lo, 0, v2
	s_and_b32 s41, s13, vcc_lo
	s_and_not1_b32 s13, s13, exec_lo
	s_and_b32 s41, s41, exec_lo
	s_or_b32 s13, s13, s41
.LBB4_3176:                             ;   in Loop: Header=BB4_3108 Depth=2
	s_or_b32 exec_lo, exec_lo, s40
	s_xor_b32 s13, s13, -1
	s_mov_b32 s41, -1
	v_cndmask_b32_e64 v2, 0, 1, s13
	v_cmp_eq_u32_e64 s13, 0, v8
	s_delay_alu instid0(VALU_DEP_2)
	v_cmp_ne_u32_e32 vcc_lo, 0, v2
	s_cbranch_vccz .LBB4_3183
; %bb.3177:                             ;   in Loop: Header=BB4_3108 Depth=2
	s_mov_b32 s41, 0
	s_mov_b32 s40, -1
	s_branch .LBB4_3184
.LBB4_3178:                             ;   in Loop: Header=BB4_3108 Depth=2
	s_mov_b32 s13, 0
	s_and_saveexec_b32 s40, s2
	s_cbranch_execnz .LBB4_3234
.LBB4_3179:                             ;   in Loop: Header=BB4_3108 Depth=2
	s_or_b32 exec_lo, exec_lo, s40
	s_and_saveexec_b32 s40, s12
	s_delay_alu instid0(SALU_CYCLE_1)
	s_xor_b32 s40, exec_lo, s40
	s_cbranch_execz .LBB4_3252
.LBB4_3180:                             ;   in Loop: Header=BB4_3108 Depth=2
	v_and_b32_e32 v2, 16, v30
	s_delay_alu instid0(VALU_DEP_1) | instskip(SKIP_1) | instid1(SALU_CYCLE_1)
	v_cmp_ne_u32_e32 vcc_lo, 0, v2
	s_and_b32 s41, vcc_lo, s13
	s_and_saveexec_b32 s13, s41
	s_cbranch_execz .LBB4_3182
; %bb.3181:                             ;   in Loop: Header=BB4_3108 Depth=2
	global_wb scope:SCOPE_SYS
	s_wait_storecnt 0x0
	s_wait_loadcnt_dscnt 0x0
	global_inv scope:SCOPE_SYS
.LBB4_3182:                             ;   in Loop: Header=BB4_3108 Depth=2
	s_or_b32 exec_lo, exec_lo, s13
	s_and_not1_saveexec_b32 s13, s40
	s_cbranch_execz .LBB4_3271
	s_branch .LBB4_3253
.LBB4_3183:                             ;   in Loop: Header=BB4_3108 Depth=2
	s_mov_b32 s40, 0
.LBB4_3184:                             ;   in Loop: Header=BB4_3108 Depth=2
	v_dual_cndmask_b32 v2, 0, v59, s13 :: v_dual_mov_b32 v14, 0
	s_and_not1_b32 vcc_lo, exec_lo, s41
	s_delay_alu instid0(VALU_DEP_1)
	v_lshlrev_b32_e32 v117, 1, v2
	s_cbranch_vccnz .LBB4_3192
; %bb.3185:                             ;   in Loop: Header=BB4_3108 Depth=2
	s_delay_alu instid0(VALU_DEP_1) | instskip(SKIP_3) | instid1(VALU_DEP_2)
	v_ashrrev_i32_e32 v8, 31, v117
	v_add_nc_u64_e32 v[44:45], v[42:43], v[70:71]
	s_mov_b32 s41, 0
	s_mov_b32 s13, exec_lo
                                        ; implicit-def: $vgpr12_vgpr13
	v_lshrrev_b32_e32 v8, 22, v8
	s_delay_alu instid0(VALU_DEP_1) | instskip(NEXT) | instid1(VALU_DEP_1)
	v_add_nc_u32_e32 v8, v117, v8
	v_ashrrev_i32_e32 v60, 10, v8
                                        ; implicit-def: $vgpr8_vgpr9
	s_delay_alu instid0(VALU_DEP_1) | instskip(NEXT) | instid1(VALU_DEP_1)
	v_sub_nc_u32_e32 v61, v60, v74
	v_cmpx_lt_i32_e32 0, v61
	s_cbranch_execz .LBB4_3194
; %bb.3186:                             ;   in Loop: Header=BB4_3108 Depth=2
	v_add_nc_u64_e32 v[46:47], v[40:41], v[70:71]
	s_mov_b32 s89, 0
                                        ; implicit-def: $sgpr88
                                        ; implicit-def: $vgpr8_vgpr9
                                        ; implicit-def: $vgpr12_vgpr13
	s_branch .LBB4_3188
.LBB4_3187:                             ;   in Loop: Header=BB4_3188 Depth=3
	s_or_b32 exec_lo, exec_lo, s90
	s_delay_alu instid0(VALU_DEP_1) | instskip(NEXT) | instid1(VALU_DEP_3)
	v_sub_nc_u32_e32 v61, v61, v62
	v_add_nc_u64_e32 v[62:63], v[44:45], v[56:57]
	s_wait_loadcnt 0x1
	global_store_b128 v[44:45], v[16:19], off th:TH_STORE_NT
	s_wait_loadcnt 0x0
	global_store_b128 v[44:45], v[20:23], off offset:512 th:TH_STORE_NT
	v_add_nc_u64_e32 v[46:47], v[46:47], v[56:57]
	v_cmp_gt_i32_e32 vcc_lo, 1, v61
	s_wait_xcnt 0x0
	v_add_nc_u64_e32 v[44:45], 0x400, v[62:63]
	s_or_b32 s41, vcc_lo, s41
	s_and_not1_b32 s88, s88, exec_lo
	s_and_b32 s90, s89, exec_lo
	s_delay_alu instid0(SALU_CYCLE_1)
	s_or_b32 s88, s88, s90
	s_and_not1_b32 exec_lo, exec_lo, s41
	s_cbranch_execz .LBB4_3193
.LBB4_3188:                             ;   Parent Loop BB4_47 Depth=1
                                        ;     Parent Loop BB4_3108 Depth=2
                                        ; =>    This Inner Loop Header: Depth=3
	s_clause 0x1
	global_load_b128 v[16:19], v[46:47], off th:TH_LOAD_NT
	global_load_b128 v[20:23], v[46:47], off offset:512 th:TH_LOAD_NT
	s_wait_xcnt 0x0
	s_and_saveexec_b32 s90, s89
	s_cbranch_execz .LBB4_3190
; %bb.3189:                             ;   in Loop: Header=BB4_3188 Depth=3
	v_add_nc_u64_e32 v[56:57], v[44:45], v[96:97]
	s_clause 0x1
	global_store_b128 v[44:45], v[8:11], off th:TH_STORE_NT
	global_store_b128 v[44:45], v[12:15], off offset:512 th:TH_STORE_NT
	s_wait_xcnt 0x0
	v_mov_b64_e32 v[44:45], v[56:57]
.LBB4_3190:                             ;   in Loop: Header=BB4_3188 Depth=3
	s_or_b32 exec_lo, exec_lo, s90
	v_dual_mov_b32 v62, 0 :: v_dual_sub_nc_u32 v61, v61, v52
	v_add_nc_u64_e32 v[46:47], v[46:47], v[96:97]
	v_mov_b64_e32 v[56:57], 0
	s_delay_alu instid0(VALU_DEP_3)
	v_cmp_lt_i32_e64 s89, 0, v61
	s_and_saveexec_b32 s90, s89
	s_cbranch_execz .LBB4_3187
; %bb.3191:                             ;   in Loop: Header=BB4_3188 Depth=3
	s_clause 0x1
	global_load_b128 v[8:11], v[46:47], off th:TH_LOAD_NT
	global_load_b128 v[12:15], v[46:47], off offset:512 th:TH_LOAD_NT
	s_wait_xcnt 0x0
	v_add_nc_u64_e32 v[46:47], 0x400, v[46:47]
	v_mov_b64_e32 v[56:57], v[80:81]
	v_mov_b32_e32 v62, v52
	s_branch .LBB4_3187
.LBB4_3192:                             ;   in Loop: Header=BB4_3108 Depth=2
	v_dual_mov_b32 v8, v0 :: v_dual_mov_b32 v15, v73
	s_and_saveexec_b32 s13, s40
	s_cbranch_execnz .LBB4_3213
	s_branch .LBB4_3233
.LBB4_3193:                             ;   in Loop: Header=BB4_3108 Depth=2
	s_or_b32 exec_lo, exec_lo, s41
	s_delay_alu instid0(SALU_CYCLE_1)
	s_and_b32 s41, s88, exec_lo
.LBB4_3194:                             ;   in Loop: Header=BB4_3108 Depth=2
	s_or_b32 exec_lo, exec_lo, s13
	s_and_saveexec_b32 s13, s41
	s_cbranch_execz .LBB4_3196
; %bb.3195:                             ;   in Loop: Header=BB4_3108 Depth=2
	s_clause 0x1
	global_store_b128 v[44:45], v[8:11], off th:TH_STORE_NT
	global_store_b128 v[44:45], v[12:15], off offset:512 th:TH_STORE_NT
.LBB4_3196:                             ;   in Loop: Header=BB4_3108 Depth=2
	s_wait_xcnt 0x0
	s_or_b32 exec_lo, exec_lo, s13
	v_lshlrev_b32_e32 v20, 10, v60
	s_mov_b32 s41, exec_lo
                                        ; implicit-def: $vgpr14
                                        ; implicit-def: $vgpr8
                                        ; implicit-def: $vgpr15
	s_delay_alu instid0(VALU_DEP_1)
	v_cmpx_ne_u32_e64 v117, v20
	s_cbranch_execz .LBB4_3212
; %bb.3197:                             ;   in Loop: Header=BB4_3108 Depth=2
	v_dual_lshlrev_b32 v8, 5, v61 :: v_dual_sub_nc_u32 v12, v117, v20
	s_mov_b32 s89, 0
	s_mov_b32 s88, exec_lo
	s_delay_alu instid0(VALU_DEP_1) | instskip(NEXT) | instid1(VALU_DEP_2)
	v_sub_nc_u32_e32 v8, v73, v8
	v_ashrrev_i32_e32 v11, 31, v12
	s_delay_alu instid0(VALU_DEP_2) | instskip(NEXT) | instid1(VALU_DEP_1)
	v_ashrrev_i32_e32 v9, 31, v8
	v_lshrrev_b32_e32 v9, 27, v9
	s_delay_alu instid0(VALU_DEP_1) | instskip(NEXT) | instid1(VALU_DEP_1)
	v_add_nc_u32_e32 v9, v8, v9
	v_and_b32_e32 v10, 0xffffffe0, v9
	s_delay_alu instid0(VALU_DEP_1) | instskip(NEXT) | instid1(VALU_DEP_1)
	v_dual_ashrrev_i32 v9, 5, v9 :: v_dual_sub_nc_u32 v21, v8, v10
	v_dual_lshrrev_b32 v8, 23, v11 :: v_dual_lshlrev_b32 v10, 4, v21
	s_delay_alu instid0(VALU_DEP_1) | instskip(NEXT) | instid1(VALU_DEP_2)
	v_add_nc_u32_e32 v8, v12, v8
	v_lshl_add_u32 v13, v9, 9, v10
	s_delay_alu instid0(VALU_DEP_2) | instskip(NEXT) | instid1(VALU_DEP_1)
	v_and_b32_e32 v22, 0xfffffe00, v8
	v_dual_add_nc_u32 v10, v13, v20 :: v_dual_sub_nc_u32 v23, v12, v22
	v_dual_ashrrev_i32 v8, 9, v8 :: v_dual_sub_nc_u32 v45, v12, v13
	s_delay_alu instid0(VALU_DEP_2) | instskip(NEXT) | instid1(VALU_DEP_3)
	v_ashrrev_i32_e32 v11, 31, v10
	v_cmp_lt_i32_e32 vcc_lo, 15, v23
	s_delay_alu instid0(VALU_DEP_2) | instskip(NEXT) | instid1(VALU_DEP_4)
	v_add_nc_u64_e32 v[16:17], v[10:11], v[42:43]
	v_add_co_ci_u32_e64 v8, null, 0, v8, vcc_lo
	s_delay_alu instid0(VALU_DEP_1)
	v_sub_nc_u32_e32 v44, v8, v9
                                        ; implicit-def: $vgpr8_vgpr9
	v_cmpx_lt_i32_e32 15, v45
	s_cbranch_execz .LBB4_3207
; %bb.3198:                             ;   in Loop: Header=BB4_3108 Depth=2
	v_add_nc_u64_e32 v[18:19], v[10:11], v[40:41]
	s_mov_b32 s91, 0
                                        ; implicit-def: $sgpr90
                                        ; implicit-def: $vgpr8_vgpr9
	s_branch .LBB4_3200
.LBB4_3199:                             ;   in Loop: Header=BB4_3200 Depth=3
	s_or_b32 exec_lo, exec_lo, s13
	s_delay_alu instid0(VALU_DEP_1) | instskip(SKIP_3) | instid1(SALU_CYCLE_1)
	v_cmp_gt_i32_e64 s13, 16, v45
	s_or_b32 s89, s13, s89
	s_and_not1_b32 s13, s90, exec_lo
	s_and_b32 s90, s91, exec_lo
	s_or_b32 s90, s13, s90
	s_and_not1_b32 exec_lo, exec_lo, s89
	s_cbranch_execz .LBB4_3206
.LBB4_3200:                             ;   Parent Loop BB4_47 Depth=1
                                        ;     Parent Loop BB4_3108 Depth=2
                                        ; =>    This Inner Loop Header: Depth=3
	global_load_b128 v[12:15], v[18:19], off th:TH_LOAD_NT
	s_wait_xcnt 0x0
	s_and_saveexec_b32 s13, s91
	s_cbranch_execz .LBB4_3202
; %bb.3201:                             ;   in Loop: Header=BB4_3200 Depth=3
	v_add_nc_u64_e32 v[46:47], v[16:17], v[100:101]
	global_store_b128 v[16:17], v[8:11], off th:TH_STORE_NT
	s_wait_xcnt 0x0
	v_mov_b64_e32 v[16:17], v[46:47]
.LBB4_3202:                             ;   in Loop: Header=BB4_3200 Depth=3
	s_or_b32 exec_lo, exec_lo, s13
	v_sub_nc_u32_e32 v45, v45, v78
	v_add_nc_u64_e32 v[18:19], v[18:19], v[100:101]
	s_delay_alu instid0(VALU_DEP_2)
	v_cmp_lt_i32_e64 s91, 15, v45
	s_and_saveexec_b32 s13, s91
	s_cbranch_execz .LBB4_3204
; %bb.3203:                             ;   in Loop: Header=BB4_3200 Depth=3
	global_load_b128 v[8:11], v[18:19], off th:TH_LOAD_NT
	s_wait_xcnt 0x0
	v_add_nc_u64_e32 v[18:19], 0x200, v[18:19]
.LBB4_3204:                             ;   in Loop: Header=BB4_3200 Depth=3
	s_or_b32 exec_lo, exec_lo, s13
	s_wait_loadcnt 0x0
	global_store_b128 v[16:17], v[12:15], off th:TH_STORE_NT
	s_wait_xcnt 0x0
	v_add_nc_u64_e32 v[16:17], 0x200, v[16:17]
	v_sub_nc_u32_e32 v44, v44, v52
	s_and_saveexec_b32 s13, s91
	s_cbranch_execz .LBB4_3199
; %bb.3205:                             ;   in Loop: Header=BB4_3200 Depth=3
	v_add_nc_u64_e32 v[18:19], v[18:19], v[84:85]
	s_delay_alu instid0(VALU_DEP_3)
	v_add_nc_u64_e32 v[16:17], v[16:17], v[84:85]
	v_dual_sub_nc_u32 v44, v44, v52 :: v_dual_sub_nc_u32 v45, v45, v78
	s_branch .LBB4_3199
.LBB4_3206:                             ;   in Loop: Header=BB4_3108 Depth=2
	s_or_b32 exec_lo, exec_lo, s89
	s_delay_alu instid0(SALU_CYCLE_1)
	s_and_b32 s89, s90, exec_lo
.LBB4_3207:                             ;   in Loop: Header=BB4_3108 Depth=2
	s_or_b32 exec_lo, exec_lo, s88
	s_and_saveexec_b32 s13, s89
	s_cbranch_execz .LBB4_3209
; %bb.3208:                             ;   in Loop: Header=BB4_3108 Depth=2
	global_store_b128 v[16:17], v[8:11], off th:TH_STORE_NT
.LBB4_3209:                             ;   in Loop: Header=BB4_3108 Depth=2
	s_wait_xcnt 0x0
	s_or_b32 exec_lo, exec_lo, s13
	v_and_b32_e32 v9, 14, v117
	s_mov_b32 s89, s40
	s_mov_b32 s88, exec_lo
                                        ; implicit-def: $vgpr14
                                        ; implicit-def: $vgpr8
                                        ; implicit-def: $vgpr15
	s_delay_alu instid0(VALU_DEP_1) | instskip(NEXT) | instid1(VALU_DEP_1)
	v_cndmask_b32_e32 v117, v23, v9, vcc_lo
	v_cmpx_ne_u32_e32 0, v117
	s_cbranch_execz .LBB4_3211
; %bb.3210:                             ;   in Loop: Header=BB4_3108 Depth=2
	v_cmp_lt_i32_e64 s13, 0, v44
	s_or_b32 s89, s40, exec_lo
	v_dual_sub_nc_u32 v9, v23, v9 :: v_dual_cndmask_b32 v8, 0, v52, s13
	s_delay_alu instid0(VALU_DEP_1) | instskip(NEXT) | instid1(VALU_DEP_1)
	v_dual_cndmask_b32 v9, 0, v9 :: v_dual_sub_nc_u32 v8, v8, v44
	v_add3_u32 v14, v22, v20, v9
	s_delay_alu instid0(VALU_DEP_2) | instskip(NEXT) | instid1(VALU_DEP_1)
	v_lshl_add_u32 v8, v8, 5, v21
	v_ashrrev_i32_e32 v10, 31, v8
	s_delay_alu instid0(VALU_DEP_1) | instskip(NEXT) | instid1(VALU_DEP_1)
	v_lshrrev_b32_e32 v10, 27, v10
	v_add_nc_u32_e32 v10, v8, v10
	s_delay_alu instid0(VALU_DEP_1) | instskip(NEXT) | instid1(VALU_DEP_1)
	v_and_b32_e32 v10, 0xffffffe0, v10
	v_sub_nc_u32_e32 v15, v8, v10
.LBB4_3211:                             ;   in Loop: Header=BB4_3108 Depth=2
	s_or_b32 exec_lo, exec_lo, s88
	s_delay_alu instid0(SALU_CYCLE_1) | instskip(SKIP_1) | instid1(SALU_CYCLE_1)
	s_and_not1_b32 s13, s40, exec_lo
	s_and_b32 s40, s89, exec_lo
	s_or_b32 s40, s13, s40
.LBB4_3212:                             ;   in Loop: Header=BB4_3108 Depth=2
	s_or_b32 exec_lo, exec_lo, s41
	s_and_saveexec_b32 s13, s40
	s_cbranch_execz .LBB4_3233
.LBB4_3213:                             ;   in Loop: Header=BB4_3108 Depth=2
	s_delay_alu instid0(VALU_DEP_1) | instskip(SKIP_2) | instid1(VALU_DEP_1)
	v_ashrrev_i32_e32 v9, 31, v8
	s_mov_b32 s41, 0
	s_mov_b32 s40, exec_lo
                                        ; implicit-def: $vgpr17
                                        ; implicit-def: $vgpr18
                                        ; implicit-def: $vgpr19
                                        ; implicit-def: $vgpr20
	v_dual_lshlrev_b32 v11, 1, v15 :: v_dual_lshrrev_b32 v9, 27, v9
	s_delay_alu instid0(VALU_DEP_1) | instskip(SKIP_1) | instid1(VALU_DEP_1)
	v_add_nc_u32_e32 v8, v8, v9
	v_ashrrev_i32_e32 v9, 31, v117
	v_dual_lshrrev_b32 v9, 24, v9 :: v_dual_ashrrev_i32 v8, 5, v8
	s_delay_alu instid0(VALU_DEP_1) | instskip(NEXT) | instid1(VALU_DEP_1)
	v_lshlrev_b32_e32 v10, 8, v8
	v_add3_u32 v10, v14, v11, v10
	s_delay_alu instid0(VALU_DEP_1) | instskip(NEXT) | instid1(VALU_DEP_1)
	v_dual_add_nc_u32 v9, v117, v9 :: v_dual_ashrrev_i32 v11, 31, v10
	v_ashrrev_i32_e32 v16, 8, v9
	s_delay_alu instid0(VALU_DEP_1) | instskip(NEXT) | instid1(VALU_DEP_3)
	v_sub_nc_u32_e32 v21, v16, v8
	v_add_nc_u64_e32 v[8:9], v[42:43], v[10:11]
	s_delay_alu instid0(VALU_DEP_2)
	v_cmpx_lt_i32_e32 0, v21
	s_cbranch_execz .LBB4_3221
; %bb.3214:                             ;   in Loop: Header=BB4_3108 Depth=2
	v_add_nc_u64_e32 v[10:11], v[10:11], v[40:41]
	s_mov_b32 s89, 0
                                        ; implicit-def: $sgpr88
                                        ; implicit-def: $vgpr17
                                        ; implicit-def: $vgpr18
                                        ; implicit-def: $vgpr19
                                        ; implicit-def: $vgpr20
	s_branch .LBB4_3216
.LBB4_3215:                             ;   in Loop: Header=BB4_3216 Depth=3
	s_or_b32 exec_lo, exec_lo, s90
	s_delay_alu instid0(VALU_DEP_1) | instskip(NEXT) | instid1(VALU_DEP_3)
	v_sub_nc_u32_e32 v21, v21, v46
	v_add_nc_u64_e32 v[46:47], v[8:9], v[12:13]
	s_wait_loadcnt_dscnt 0x303
	flat_store_b16 v[8:9], v22 th:TH_STORE_NT
	s_wait_loadcnt_dscnt 0x203
	flat_store_b16 v[8:9], v23 offset:64 th:TH_STORE_NT
	s_wait_loadcnt_dscnt 0x103
	flat_store_b16 v[8:9], v44 offset:128 th:TH_STORE_NT
	;; [unrolled: 2-line block ×3, first 2 shown]
	v_add_nc_u64_e32 v[10:11], v[10:11], v[12:13]
	v_cmp_gt_i32_e32 vcc_lo, 1, v21
	s_wait_xcnt 0x0
	v_add_nc_u64_e32 v[8:9], 0x100, v[46:47]
	s_or_b32 s41, vcc_lo, s41
	s_and_not1_b32 s88, s88, exec_lo
	s_and_b32 s90, s89, exec_lo
	s_delay_alu instid0(SALU_CYCLE_1)
	s_or_b32 s88, s88, s90
	s_and_not1_b32 exec_lo, exec_lo, s41
	s_cbranch_execz .LBB4_3220
.LBB4_3216:                             ;   Parent Loop BB4_47 Depth=1
                                        ;     Parent Loop BB4_3108 Depth=2
                                        ; =>    This Inner Loop Header: Depth=3
	s_clause 0x3
	flat_load_u16 v22, v[10:11] th:TH_LOAD_NT
	flat_load_u16 v23, v[10:11] offset:64 th:TH_LOAD_NT
	flat_load_u16 v44, v[10:11] offset:128 th:TH_LOAD_NT
	;; [unrolled: 1-line block ×3, first 2 shown]
	s_wait_xcnt 0x0
	s_and_saveexec_b32 s90, s89
	s_cbranch_execz .LBB4_3218
; %bb.3217:                             ;   in Loop: Header=BB4_3216 Depth=3
	s_clause 0x3
	flat_store_b16 v[8:9], v17 th:TH_STORE_NT
	flat_store_b16 v[8:9], v18 offset:64 th:TH_STORE_NT
	flat_store_b16 v[8:9], v19 offset:128 th:TH_STORE_NT
	;; [unrolled: 1-line block ×3, first 2 shown]
	s_wait_xcnt 0x0
	v_add_nc_u64_e32 v[8:9], v[8:9], v[98:99]
.LBB4_3218:                             ;   in Loop: Header=BB4_3216 Depth=3
	s_or_b32 exec_lo, exec_lo, s90
	v_dual_mov_b32 v46, 0 :: v_dual_sub_nc_u32 v21, v21, v52
	v_add_nc_u64_e32 v[10:11], v[10:11], v[98:99]
	v_mov_b64_e32 v[12:13], 0
	s_delay_alu instid0(VALU_DEP_3)
	v_cmp_lt_i32_e64 s89, 0, v21
	s_and_saveexec_b32 s90, s89
	s_cbranch_execz .LBB4_3215
; %bb.3219:                             ;   in Loop: Header=BB4_3216 Depth=3
	s_clause 0x3
	flat_load_u16 v17, v[10:11] th:TH_LOAD_NT
	flat_load_u16 v18, v[10:11] offset:64 th:TH_LOAD_NT
	flat_load_u16 v19, v[10:11] offset:128 th:TH_LOAD_NT
	;; [unrolled: 1-line block ×3, first 2 shown]
	s_wait_xcnt 0x0
	v_add_nc_u64_e32 v[10:11], 0x100, v[10:11]
	v_mov_b64_e32 v[12:13], v[82:83]
	v_mov_b32_e32 v46, v52
	s_branch .LBB4_3215
.LBB4_3220:                             ;   in Loop: Header=BB4_3108 Depth=2
	s_or_b32 exec_lo, exec_lo, s41
	s_delay_alu instid0(SALU_CYCLE_1)
	s_and_b32 s41, s88, exec_lo
.LBB4_3221:                             ;   in Loop: Header=BB4_3108 Depth=2
	s_or_b32 exec_lo, exec_lo, s40
	s_and_saveexec_b32 s40, s41
	s_cbranch_execz .LBB4_3223
; %bb.3222:                             ;   in Loop: Header=BB4_3108 Depth=2
	s_clause 0x3
	flat_store_b16 v[8:9], v17 th:TH_STORE_NT
	flat_store_b16 v[8:9], v18 offset:64 th:TH_STORE_NT
	flat_store_b16 v[8:9], v19 offset:128 th:TH_STORE_NT
	;; [unrolled: 1-line block ×3, first 2 shown]
.LBB4_3223:                             ;   in Loop: Header=BB4_3108 Depth=2
	s_wait_xcnt 0x0
	s_or_b32 exec_lo, exec_lo, s40
	v_lshlrev_b32_e32 v8, 8, v16
	s_delay_alu instid0(VALU_DEP_1)
	v_cmp_ne_u32_e32 vcc_lo, v117, v8
	s_and_b32 exec_lo, exec_lo, vcc_lo
	s_cbranch_execz .LBB4_3233
; %bb.3224:                             ;   in Loop: Header=BB4_3108 Depth=2
	v_lshlrev_b32_e32 v9, 5, v21
	s_delay_alu instid0(VALU_DEP_1) | instskip(NEXT) | instid1(VALU_DEP_1)
	v_sub_nc_u32_e32 v9, v15, v9
	v_ashrrev_i32_e32 v10, 31, v9
	s_delay_alu instid0(VALU_DEP_1) | instskip(NEXT) | instid1(VALU_DEP_1)
	v_lshrrev_b32_e32 v10, 27, v10
	v_add_nc_u32_e32 v10, v9, v10
	s_delay_alu instid0(VALU_DEP_1) | instskip(NEXT) | instid1(VALU_DEP_1)
	v_and_b32_e32 v11, 0x7fffffe0, v10
	v_dual_lshlrev_b32 v10, 1, v10 :: v_dual_sub_nc_u32 v9, v9, v11
	s_delay_alu instid0(VALU_DEP_1) | instskip(NEXT) | instid1(VALU_DEP_2)
	v_and_b32_e32 v10, 0xffffffc0, v10
	v_lshlrev_b32_e32 v9, 1, v9
	s_delay_alu instid0(VALU_DEP_1) | instskip(NEXT) | instid1(VALU_DEP_1)
	v_add3_u32 v8, v10, v9, v8
	v_sub_nc_u32_e32 v15, v117, v8
	s_delay_alu instid0(VALU_DEP_1)
	v_cmp_lt_i32_e32 vcc_lo, 1, v15
	s_and_b32 exec_lo, exec_lo, vcc_lo
	s_cbranch_execz .LBB4_3233
; %bb.3225:                             ;   in Loop: Header=BB4_3108 Depth=2
	v_add_nc_u32_e32 v10, v8, v14
	s_mov_b32 s88, 0
	s_mov_b32 s40, 0
                                        ; implicit-def: $sgpr41
                                        ; implicit-def: $vgpr14
	s_delay_alu instid0(VALU_DEP_1) | instskip(NEXT) | instid1(VALU_DEP_1)
	v_ashrrev_i32_e32 v11, 31, v10
	v_add_nc_u64_e32 v[8:9], v[42:43], v[10:11]
	v_add_nc_u64_e32 v[10:11], v[10:11], v[40:41]
	s_branch .LBB4_3227
.LBB4_3226:                             ;   in Loop: Header=BB4_3227 Depth=3
	s_or_b32 exec_lo, exec_lo, s89
	s_delay_alu instid0(VALU_DEP_1) | instskip(NEXT) | instid1(VALU_DEP_3)
	v_sub_nc_u32_e32 v15, v15, v17
	v_add_nc_u64_e32 v[18:19], v[8:9], v[12:13]
	s_wait_loadcnt_dscnt 0x0
	flat_store_b16 v[8:9], v16 th:TH_STORE_NT
	v_add_nc_u64_e32 v[10:11], v[10:11], v[12:13]
	v_cmp_gt_i32_e32 vcc_lo, 2, v15
	s_wait_xcnt 0x0
	v_add_nc_u64_e32 v[8:9], 64, v[18:19]
	s_or_b32 s40, vcc_lo, s40
	s_and_not1_b32 s41, s41, exec_lo
	s_and_b32 s89, s88, exec_lo
	s_delay_alu instid0(SALU_CYCLE_1)
	s_or_b32 s41, s41, s89
	s_and_not1_b32 exec_lo, exec_lo, s40
	s_cbranch_execz .LBB4_3231
.LBB4_3227:                             ;   Parent Loop BB4_47 Depth=1
                                        ;     Parent Loop BB4_3108 Depth=2
                                        ; =>    This Inner Loop Header: Depth=3
	flat_load_u16 v16, v[10:11] th:TH_LOAD_NT
	s_wait_xcnt 0x0
	s_and_saveexec_b32 s89, s88
	s_cbranch_execz .LBB4_3229
; %bb.3228:                             ;   in Loop: Header=BB4_3227 Depth=3
	v_add_nc_u64_e32 v[12:13], v[8:9], v[102:103]
	flat_store_b16 v[8:9], v14 th:TH_STORE_NT
	s_wait_xcnt 0x0
	v_mov_b64_e32 v[8:9], v[12:13]
.LBB4_3229:                             ;   in Loop: Header=BB4_3227 Depth=3
	s_or_b32 exec_lo, exec_lo, s89
	v_dual_sub_nc_u32 v15, v15, v79 :: v_dual_mov_b32 v17, 0
	v_add_nc_u64_e32 v[10:11], v[10:11], v[102:103]
	v_mov_b64_e32 v[12:13], 0
	s_delay_alu instid0(VALU_DEP_3)
	v_cmp_lt_i32_e64 s88, 1, v15
	s_and_saveexec_b32 s89, s88
	s_cbranch_execz .LBB4_3226
; %bb.3230:                             ;   in Loop: Header=BB4_3227 Depth=3
	flat_load_u16 v14, v[10:11] th:TH_LOAD_NT
	s_wait_xcnt 0x0
	v_add_nc_u64_e32 v[10:11], 64, v[10:11]
	v_mov_b64_e32 v[12:13], v[86:87]
	v_mov_b32_e32 v17, v79
	s_branch .LBB4_3226
.LBB4_3231:                             ;   in Loop: Header=BB4_3108 Depth=2
	s_or_b32 exec_lo, exec_lo, s40
	s_delay_alu instid0(SALU_CYCLE_1)
	s_and_b32 exec_lo, exec_lo, s41
	s_cbranch_execz .LBB4_3233
; %bb.3232:                             ;   in Loop: Header=BB4_3108 Depth=2
	flat_store_b16 v[8:9], v14 th:TH_STORE_NT
.LBB4_3233:                             ;   in Loop: Header=BB4_3108 Depth=2
	s_wait_xcnt 0x0
	s_or_b32 exec_lo, exec_lo, s13
	v_cmp_lt_i32_e64 s13, 0, v2
	s_and_saveexec_b32 s40, s2
	s_cbranch_execz .LBB4_3179
.LBB4_3234:                             ;   in Loop: Header=BB4_3108 Depth=2
	s_and_saveexec_b32 s41, s3
	s_delay_alu instid0(SALU_CYCLE_1)
	s_xor_b32 s41, exec_lo, s41
	s_cbranch_execz .LBB4_3249
; %bb.3235:                             ;   in Loop: Header=BB4_3108 Depth=2
	s_and_saveexec_b32 s88, s6
	s_cbranch_execz .LBB4_3248
; %bb.3236:                             ;   in Loop: Header=BB4_3108 Depth=2
	s_mov_b32 s90, exec_lo
	s_mov_b32 s89, exec_lo
	v_mbcnt_lo_u32_b32 v2, s90, 0
	global_wb scope:SCOPE_DEV
	s_wait_storecnt 0x0
	s_wait_loadcnt_dscnt 0x0
	global_inv scope:SCOPE_DEV
	v_cmpx_eq_u32_e32 0, v2
	s_cbranch_execz .LBB4_3238
; %bb.3237:                             ;   in Loop: Header=BB4_3108 Depth=2
	s_bcnt1_i32_b32 s90, s90
	s_delay_alu instid0(SALU_CYCLE_1)
	v_mov_b32_e32 v2, s90
	s_wait_loadcnt 0x0
	ds_add_u64 v0, v[2:3]
	s_trap 2
.LBB4_3238:                             ;   in Loop: Header=BB4_3108 Depth=2
	s_or_b32 exec_lo, exec_lo, s89
	s_trap 2
	ds_load_b64 v[8:9], v0
	s_wait_dscnt 0x0
	v_add_nc_u64_e32 v[48:49], v[48:49], v[52:53]
	s_mov_b32 s89, exec_lo
	s_delay_alu instid0(VALU_DEP_1)
	v_cmpx_lt_u64_e64 v[8:9], v[48:49]
	s_cbranch_execz .LBB4_3247
; %bb.3239:                             ;   in Loop: Header=BB4_3108 Depth=2
	s_mov_b32 s90, 0
	s_mov_b32 s93, 0
                                        ; implicit-def: $sgpr91
                                        ; implicit-def: $sgpr92
	s_branch .LBB4_3241
.LBB4_3240:                             ;   in Loop: Header=BB4_3241 Depth=3
	s_or_b32 exec_lo, exec_lo, s95
	s_delay_alu instid0(SALU_CYCLE_1) | instskip(NEXT) | instid1(SALU_CYCLE_1)
	s_and_b32 s94, exec_lo, vcc_lo
	s_or_b32 s90, s94, s90
	s_and_not1_b32 s91, s91, exec_lo
	s_and_b32 s94, s92, exec_lo
	s_delay_alu instid0(SALU_CYCLE_1)
	s_or_b32 s91, s91, s94
	s_and_not1_b32 exec_lo, exec_lo, s90
	s_cbranch_execz .LBB4_3245
.LBB4_3241:                             ;   Parent Loop BB4_47 Depth=1
                                        ;     Parent Loop BB4_3108 Depth=2
                                        ; =>    This Inner Loop Header: Depth=3
	s_add_co_i32 s93, s93, 1
	s_delay_alu instid0(SALU_CYCLE_1) | instskip(SKIP_1) | instid1(SALU_CYCLE_1)
	s_cmp_lg_u32 s93, 0x2710
	s_cselect_b32 s94, -1, 0
	s_and_b32 vcc_lo, exec_lo, s94
	s_cbranch_vccz .LBB4_3243
; %bb.3242:                             ;   in Loop: Header=BB4_3241 Depth=3
	s_mov_b32 vcc_lo, -1
	s_or_b32 s92, s92, exec_lo
	s_and_saveexec_b32 s95, s94
	s_cbranch_execz .LBB4_3240
	s_branch .LBB4_3244
.LBB4_3243:                             ;   in Loop: Header=BB4_3241 Depth=3
	s_trap 2
	ds_load_b64 v[8:9], v0
	s_and_not1_b32 s94, s94, exec_lo
	s_mov_b32 s93, 0
	s_wait_loadcnt_dscnt 0x0
	flat_load_b32 v2, v[8:9] scope:SCOPE_SYS
	s_wait_loadcnt_dscnt 0x0
	global_inv scope:SCOPE_SYS
	v_cmp_eq_u32_e32 vcc_lo, 0, v2
	s_and_b32 s95, vcc_lo, exec_lo
	s_delay_alu instid0(SALU_CYCLE_1)
	s_or_b32 s94, s94, s95
	s_mov_b32 vcc_lo, -1
	s_or_b32 s92, s92, exec_lo
	s_and_saveexec_b32 s95, s94
	s_cbranch_execz .LBB4_3240
.LBB4_3244:                             ;   in Loop: Header=BB4_3241 Depth=3
	s_sleep 1
	s_trap 2
	ds_load_b64 v[8:9], v0
	s_wait_dscnt 0x0
	s_and_not1_b32 s92, s92, exec_lo
	v_cmp_ge_u64_e32 vcc_lo, v[8:9], v[48:49]
	s_or_not1_b32 vcc_lo, vcc_lo, exec_lo
	s_branch .LBB4_3240
.LBB4_3245:                             ;   in Loop: Header=BB4_3108 Depth=2
	s_or_b32 exec_lo, exec_lo, s90
	s_and_saveexec_b32 s90, s91
	s_delay_alu instid0(SALU_CYCLE_1)
	s_xor_b32 s90, exec_lo, s90
	s_cbranch_execz .LBB4_3247
; %bb.3246:                             ;   in Loop: Header=BB4_3108 Depth=2
	ds_store_b32 v0, v75
	s_trap 2
.LBB4_3247:                             ;   in Loop: Header=BB4_3108 Depth=2
	s_or_b32 exec_lo, exec_lo, s89
	;;#ASMSTART
	s_wakeup
	;;#ASMEND
.LBB4_3248:                             ;   in Loop: Header=BB4_3108 Depth=2
	s_or_b32 exec_lo, exec_lo, s88
.LBB4_3249:                             ;   in Loop: Header=BB4_3108 Depth=2
	s_and_not1_saveexec_b32 s41, s41
	s_cbranch_execz .LBB4_3251
; %bb.3250:                             ;   in Loop: Header=BB4_3108 Depth=2
	global_wb scope:SCOPE_DEV
	s_wait_storecnt 0x0
	s_wait_loadcnt_dscnt 0x0
	global_inv scope:SCOPE_DEV
	s_barrier_signal -1
	s_barrier_wait -1
.LBB4_3251:                             ;   in Loop: Header=BB4_3108 Depth=2
	s_or_b32 exec_lo, exec_lo, s41
	s_delay_alu instid0(SALU_CYCLE_1) | instskip(SKIP_1) | instid1(SALU_CYCLE_1)
	s_or_b32 exec_lo, exec_lo, s40
	s_and_saveexec_b32 s40, s12
	s_xor_b32 s40, exec_lo, s40
	s_cbranch_execnz .LBB4_3180
.LBB4_3252:                             ;   in Loop: Header=BB4_3108 Depth=2
	s_and_not1_saveexec_b32 s13, s40
	s_cbranch_execz .LBB4_3271
.LBB4_3253:                             ;   in Loop: Header=BB4_3108 Depth=2
	s_and_saveexec_b32 s40, s3
	s_delay_alu instid0(SALU_CYCLE_1)
	s_xor_b32 s40, exec_lo, s40
	s_cbranch_execz .LBB4_3268
; %bb.3254:                             ;   in Loop: Header=BB4_3108 Depth=2
	s_and_saveexec_b32 s41, s6
	s_cbranch_execz .LBB4_3267
; %bb.3255:                             ;   in Loop: Header=BB4_3108 Depth=2
	s_mov_b32 s89, exec_lo
	s_mov_b32 s88, exec_lo
	v_mbcnt_lo_u32_b32 v2, s89, 0
	;;#ASMSTART
	s_waitcnt lgkmcnt(0) vmcnt(0)
	;;#ASMEND
	s_delay_alu instid0(VALU_DEP_1)
	v_cmpx_eq_u32_e32 0, v2
	s_cbranch_execz .LBB4_3257
; %bb.3256:                             ;   in Loop: Header=BB4_3108 Depth=2
	s_bcnt1_i32_b32 s89, s89
	s_delay_alu instid0(SALU_CYCLE_1)
	v_mov_b32_e32 v2, s89
	s_wait_storecnt 0x0
	s_wait_loadcnt_dscnt 0x0
	ds_add_u64 v0, v[2:3]
	s_trap 2
.LBB4_3257:                             ;   in Loop: Header=BB4_3108 Depth=2
	s_or_b32 exec_lo, exec_lo, s88
	s_trap 2
	ds_load_b64 v[8:9], v0
	s_wait_dscnt 0x0
	v_add_nc_u64_e32 v[48:49], v[48:49], v[52:53]
	s_mov_b32 s88, exec_lo
	s_delay_alu instid0(VALU_DEP_1)
	v_cmpx_lt_u64_e64 v[8:9], v[48:49]
	s_cbranch_execz .LBB4_3266
; %bb.3258:                             ;   in Loop: Header=BB4_3108 Depth=2
	s_mov_b32 s89, 0
	s_mov_b32 s92, 0
                                        ; implicit-def: $sgpr90
                                        ; implicit-def: $sgpr91
	s_branch .LBB4_3260
.LBB4_3259:                             ;   in Loop: Header=BB4_3260 Depth=3
	s_or_b32 exec_lo, exec_lo, s94
	s_delay_alu instid0(SALU_CYCLE_1) | instskip(NEXT) | instid1(SALU_CYCLE_1)
	s_and_b32 s93, exec_lo, s95
	s_or_b32 s89, s93, s89
	s_and_not1_b32 s90, s90, exec_lo
	s_and_b32 s93, s91, exec_lo
	s_delay_alu instid0(SALU_CYCLE_1)
	s_or_b32 s90, s90, s93
	s_and_not1_b32 exec_lo, exec_lo, s89
	s_cbranch_execz .LBB4_3264
.LBB4_3260:                             ;   Parent Loop BB4_47 Depth=1
                                        ;     Parent Loop BB4_3108 Depth=2
                                        ; =>    This Inner Loop Header: Depth=3
	s_add_co_i32 s92, s92, 1
	s_delay_alu instid0(SALU_CYCLE_1) | instskip(SKIP_1) | instid1(SALU_CYCLE_1)
	s_cmp_lg_u32 s92, 0x2710
	s_cselect_b32 s93, -1, 0
	s_and_b32 vcc_lo, exec_lo, s93
	s_cbranch_vccz .LBB4_3262
; %bb.3261:                             ;   in Loop: Header=BB4_3260 Depth=3
	s_mov_b32 s95, -1
	s_or_b32 s91, s91, exec_lo
	s_and_saveexec_b32 s94, s93
	s_cbranch_execz .LBB4_3259
	s_branch .LBB4_3263
.LBB4_3262:                             ;   in Loop: Header=BB4_3260 Depth=3
	s_trap 2
	ds_load_b64 v[8:9], v0
	s_and_not1_b32 s93, s93, exec_lo
	s_mov_b32 s92, 0
	s_wait_storecnt 0x0
	s_wait_loadcnt_dscnt 0x0
	flat_load_b32 v2, v[8:9] scope:SCOPE_SYS
	s_wait_loadcnt_dscnt 0x0
	global_inv scope:SCOPE_SYS
	v_cmp_eq_u32_e32 vcc_lo, 0, v2
	s_and_b32 s94, vcc_lo, exec_lo
	s_delay_alu instid0(SALU_CYCLE_1)
	s_or_b32 s93, s93, s94
	s_mov_b32 s95, -1
	s_or_b32 s91, s91, exec_lo
	s_and_saveexec_b32 s94, s93
	s_cbranch_execz .LBB4_3259
.LBB4_3263:                             ;   in Loop: Header=BB4_3260 Depth=3
	s_sleep 1
	s_trap 2
	ds_load_b64 v[8:9], v0
	s_wait_dscnt 0x0
	s_and_not1_b32 s91, s91, exec_lo
	v_cmp_ge_u64_e32 vcc_lo, v[8:9], v[48:49]
	s_or_not1_b32 s95, vcc_lo, exec_lo
	s_branch .LBB4_3259
.LBB4_3264:                             ;   in Loop: Header=BB4_3108 Depth=2
	s_or_b32 exec_lo, exec_lo, s89
	s_and_saveexec_b32 s89, s90
	s_delay_alu instid0(SALU_CYCLE_1)
	s_xor_b32 s89, exec_lo, s89
	s_cbranch_execz .LBB4_3266
; %bb.3265:                             ;   in Loop: Header=BB4_3108 Depth=2
	ds_store_b32 v0, v75
	s_trap 2
.LBB4_3266:                             ;   in Loop: Header=BB4_3108 Depth=2
	s_or_b32 exec_lo, exec_lo, s88
	;;#ASMSTART
	s_wakeup
	;;#ASMEND
.LBB4_3267:                             ;   in Loop: Header=BB4_3108 Depth=2
	s_or_b32 exec_lo, exec_lo, s41
.LBB4_3268:                             ;   in Loop: Header=BB4_3108 Depth=2
	s_and_not1_saveexec_b32 s40, s40
	s_cbranch_execz .LBB4_3270
; %bb.3269:                             ;   in Loop: Header=BB4_3108 Depth=2
	;;#ASMSTART
	s_waitcnt lgkmcnt(0) vmcnt(0)
	;;#ASMEND
	s_barrier_signal -1
	s_barrier_wait -1
.LBB4_3270:                             ;   in Loop: Header=BB4_3108 Depth=2
	s_or_b32 exec_lo, exec_lo, s40
.LBB4_3271:                             ;   in Loop: Header=BB4_3108 Depth=2
	s_delay_alu instid0(SALU_CYCLE_1) | instskip(SKIP_2) | instid1(VALU_DEP_1)
	s_or_b32 exec_lo, exec_lo, s13
	v_and_b32_e32 v2, 32, v30
	s_mov_b32 s13, exec_lo
	v_cmpx_ne_u32_e32 0, v2
	s_cbranch_execz .LBB4_3107
; %bb.3272:                             ;   in Loop: Header=BB4_3108 Depth=2
	v_add_nc_u64_e32 v[114:115], 2, v[114:115]
	global_wb scope:SCOPE_SYS
	s_wait_storecnt 0x0
	s_wait_loadcnt_dscnt 0x0
	flat_store_b64 v[32:33], v[114:115] scope:SCOPE_SYS
	s_branch .LBB4_3107
.LBB4_3273:                             ;   in Loop: Header=BB4_47 Depth=1
	s_or_b32 exec_lo, exec_lo, s15
.LBB4_3274:                             ;   in Loop: Header=BB4_47 Depth=1
	s_delay_alu instid0(SALU_CYCLE_1) | instskip(NEXT) | instid1(SALU_CYCLE_1)
	s_or_b32 exec_lo, exec_lo, s14
	s_mov_b32 s14, exec_lo
	v_cmpx_gt_i32_e32 2, v2
	s_cbranch_execz .LBB4_46
; %bb.3275:                             ;   in Loop: Header=BB4_47 Depth=1
	v_cmp_eq_u32_e64 s18, 0, v2
	s_mov_b32 s15, 0
	s_branch .LBB4_3277
.LBB4_3276:                             ;   in Loop: Header=BB4_3277 Depth=2
	s_wait_xcnt 0x0
	s_or_b32 exec_lo, exec_lo, s13
	v_add_nc_u32_e32 v116, v59, v116
	s_mov_b32 s18, 0
	s_and_not1_b32 exec_lo, exec_lo, s15
	s_cbranch_execz .LBB4_45
.LBB4_3277:                             ;   Parent Loop BB4_47 Depth=1
                                        ; =>  This Loop Header: Depth=2
                                        ;       Child Loop BB4_3283 Depth 3
                                        ;       Child Loop BB4_3307 Depth 3
	;; [unrolled: 1-line block ×3, first 2 shown]
	v_and_b32_e32 v2, 4, v30
	s_mov_b32 s27, exec_lo
	s_delay_alu instid0(VALU_DEP_1)
	v_cmpx_ne_u32_e32 0, v2
	s_cbranch_execz .LBB4_3299
; %bb.3278:                             ;   in Loop: Header=BB4_3277 Depth=2
	v_add_nc_u64_e32 v[8:9], 2, v[114:115]
	s_mov_b32 s40, exec_lo
	s_wait_loadcnt_dscnt 0x1
	s_delay_alu instid0(VALU_DEP_1)
	v_cmpx_lt_u64_e64 v[50:51], v[8:9]
	s_cbranch_execz .LBB4_3290
; %bb.3279:                             ;   in Loop: Header=BB4_3277 Depth=2
	v_and_b32_e32 v2, 64, v30
	s_mov_b32 s41, 0
	s_mov_b32 s91, 0
                                        ; implicit-def: $sgpr88
                                        ; implicit-def: $sgpr89
                                        ; implicit-def: $sgpr90
	s_delay_alu instid0(VALU_DEP_1)
	v_cmp_eq_u32_e32 vcc_lo, 0, v2
	s_branch .LBB4_3283
.LBB4_3280:                             ;   in Loop: Header=BB4_3283 Depth=3
	s_wait_loadcnt_dscnt 0x0
	v_cmp_ge_u64_e64 s13, v[50:51], v[8:9]
	s_or_b32 s94, s94, exec_lo
	s_or_not1_b32 s93, s13, exec_lo
.LBB4_3281:                             ;   in Loop: Header=BB4_3283 Depth=3
	s_or_b32 exec_lo, exec_lo, vcc_hi
	s_delay_alu instid0(SALU_CYCLE_1)
	s_and_not1_b32 s13, s90, exec_lo
	s_and_b32 s90, s94, exec_lo
	s_and_not1_b32 s89, s89, exec_lo
	s_and_b32 s93, s93, exec_lo
	s_or_b32 s90, s13, s90
	s_or_b32 s89, s89, s93
.LBB4_3282:                             ;   in Loop: Header=BB4_3283 Depth=3
	s_or_b32 exec_lo, exec_lo, s92
	s_delay_alu instid0(SALU_CYCLE_1) | instskip(NEXT) | instid1(SALU_CYCLE_1)
	s_and_b32 s13, exec_lo, s89
	s_or_b32 s41, s13, s41
	s_and_not1_b32 s13, s88, exec_lo
	s_and_b32 s88, s90, exec_lo
	s_delay_alu instid0(SALU_CYCLE_1)
	s_or_b32 s88, s13, s88
	s_and_not1_b32 exec_lo, exec_lo, s41
	s_cbranch_execz .LBB4_3287
.LBB4_3283:                             ;   Parent Loop BB4_47 Depth=1
                                        ;     Parent Loop BB4_3277 Depth=2
                                        ; =>    This Inner Loop Header: Depth=3
	s_sleep 1
	s_wait_loadcnt_dscnt 0x0
	flat_load_b64 v[50:51], v[32:33] scope:SCOPE_SYS
	s_or_b32 s90, s90, exec_lo
	s_or_b32 s89, s89, exec_lo
                                        ; implicit-def: $vgpr2
	s_wait_xcnt 0x0
	s_and_saveexec_b32 s92, vcc_lo
	s_cbranch_execz .LBB4_3282
; %bb.3284:                             ;   in Loop: Header=BB4_3283 Depth=3
	s_cmp_lt_i32 s91, 0x270f
	s_mov_b32 s93, -1
	s_cselect_b32 s95, -1, 0
	s_cmp_gt_i32 s91, 0x270e
	s_cbranch_scc0 .LBB4_3286
; %bb.3285:                             ;   in Loop: Header=BB4_3283 Depth=3
	s_trap 2
	ds_load_b64 v[10:11], v0
	s_and_not1_b32 s91, s95, exec_lo
	s_mov_b32 s94, 0
	s_wait_storecnt 0x0
	s_wait_loadcnt_dscnt 0x0
	flat_load_b32 v2, v[10:11] scope:SCOPE_SYS
	s_wait_loadcnt_dscnt 0x0
	global_inv scope:SCOPE_SYS
	v_cmp_eq_u32_e64 s13, 0, v2
	s_and_b32 s13, s13, exec_lo
	s_delay_alu instid0(SALU_CYCLE_1)
	s_or_b32 s95, s91, s13
	s_mov_b32 s91, 0
	s_and_saveexec_b32 vcc_hi, s95
	s_cbranch_execz .LBB4_3281
	s_branch .LBB4_3280
.LBB4_3286:                             ;   in Loop: Header=BB4_3283 Depth=3
	s_add_co_i32 s91, s91, 1
	s_mov_b32 s94, -1
                                        ; implicit-def: $vgpr2
	s_and_saveexec_b32 vcc_hi, s95
	s_cbranch_execz .LBB4_3281
	s_branch .LBB4_3280
.LBB4_3287:                             ;   in Loop: Header=BB4_3277 Depth=2
	s_or_b32 exec_lo, exec_lo, s41
	s_xor_b32 s13, s88, -1
	s_delay_alu instid0(SALU_CYCLE_1) | instskip(NEXT) | instid1(SALU_CYCLE_1)
	s_and_saveexec_b32 s41, s13
	s_xor_b32 s13, exec_lo, s41
	s_cbranch_execz .LBB4_3289
; %bb.3288:                             ;   in Loop: Header=BB4_3277 Depth=2
	v_or_b32_e32 v30, 64, v30
	s_wait_storecnt 0x0
	s_wait_loadcnt_dscnt 0x0
	ds_store_b32 v0, v2
	s_trap 2
.LBB4_3289:                             ;   in Loop: Header=BB4_3277 Depth=2
	s_or_b32 exec_lo, exec_lo, s13
.LBB4_3290:                             ;   in Loop: Header=BB4_3277 Depth=2
	s_delay_alu instid0(SALU_CYCLE_1) | instskip(SKIP_3) | instid1(VALU_DEP_1)
	s_or_b32 exec_lo, exec_lo, s40
	v_and_b32_e32 v2, 0x100, v30
	s_mov_b32 s13, -1
	;;#ASMSTART
	s_wakeup
	;;#ASMEND
                                        ; implicit-def: $vgpr10_vgpr11
	v_cmp_ne_u32_e32 vcc_lo, 0, v2
	v_and_b32_e32 v2, 7, v114
	s_and_saveexec_b32 s40, vcc_lo
	s_cbranch_execz .LBB4_3294
; %bb.3291:                             ;   in Loop: Header=BB4_3277 Depth=2
	s_delay_alu instid0(VALU_DEP_1)
	v_mad_nc_u64_u32 v[12:13], v2, 24, v[6:7]
	flat_load_b32 v10, v[12:13]
	s_wait_loadcnt_dscnt 0x0
	v_cmp_eq_u32_e64 s13, 1, v10
	v_cmp_ne_u32_e32 vcc_lo, 1, v10
                                        ; implicit-def: $vgpr10_vgpr11
	s_wait_xcnt 0x0
	s_and_saveexec_b32 s41, s13
	s_cbranch_execz .LBB4_3293
; %bb.3292:                             ;   in Loop: Header=BB4_3277 Depth=2
	flat_load_b32 v10, v[12:13] offset:4 scope:SCOPE_SYS
	s_wait_loadcnt_dscnt 0x0
	v_ashrrev_i32_e32 v11, 31, v10
	s_delay_alu instid0(VALU_DEP_1)
	v_lshrrev_b64 v[10:11], 1, v[10:11]
.LBB4_3293:                             ;   in Loop: Header=BB4_3277 Depth=2
	s_wait_xcnt 0x0
	s_or_b32 exec_lo, exec_lo, s41
	s_delay_alu instid0(SALU_CYCLE_1)
	s_or_not1_b32 s13, vcc_lo, exec_lo
.LBB4_3294:                             ;   in Loop: Header=BB4_3277 Depth=2
	s_or_b32 exec_lo, exec_lo, s40
	s_and_saveexec_b32 s40, s13
; %bb.3295:                             ;   in Loop: Header=BB4_3277 Depth=2
	v_mul_u64_e32 v[10:11], v[2:3], v[34:35]
; %bb.3296:                             ;   in Loop: Header=BB4_3277 Depth=2
	s_or_b32 exec_lo, exec_lo, s40
	v_and_b32_e32 v2, 0x2000, v30
	s_delay_alu instid0(VALU_DEP_2)
	v_lshl_add_u64 v[10:11], v[10:11], 1, v[36:37]
	s_mov_b32 s13, exec_lo
	ds_store_b64 v0, v[10:11] offset:720
	v_cmpx_ne_u32_e32 0, v2
	s_cbranch_execz .LBB4_3298
; %bb.3297:                             ;   in Loop: Header=BB4_3277 Depth=2
	ds_load_b64 v[10:11], v0 offset:872
	s_wait_dscnt 0x0
	v_add_nc_u64_e32 v[10:11], 1, v[10:11]
	ds_store_b64 v0, v[10:11] offset:872
.LBB4_3298:                             ;   in Loop: Header=BB4_3277 Depth=2
	s_or_b32 exec_lo, exec_lo, s13
	v_mov_b64_e32 v[114:115], v[8:9]
.LBB4_3299:                             ;   in Loop: Header=BB4_3277 Depth=2
	s_or_b32 exec_lo, exec_lo, s27
	s_xor_b32 s13, s18, -1
	s_delay_alu instid0(SALU_CYCLE_1) | instskip(NEXT) | instid1(SALU_CYCLE_1)
	s_and_b32 s13, exec_lo, s13
	s_or_b32 s15, s13, s15
	s_and_saveexec_b32 s13, s2
	s_cbranch_execz .LBB4_3318
; %bb.3300:                             ;   in Loop: Header=BB4_3277 Depth=2
	s_and_saveexec_b32 s18, s3
	s_delay_alu instid0(SALU_CYCLE_1)
	s_xor_b32 s18, exec_lo, s18
	s_cbranch_execz .LBB4_3315
; %bb.3301:                             ;   in Loop: Header=BB4_3277 Depth=2
	s_and_saveexec_b32 s27, s6
	s_cbranch_execz .LBB4_3314
; %bb.3302:                             ;   in Loop: Header=BB4_3277 Depth=2
	s_mov_b32 s41, exec_lo
	s_mov_b32 s40, exec_lo
	v_mbcnt_lo_u32_b32 v2, s41, 0
	global_wb scope:SCOPE_DEV
	s_wait_storecnt 0x0
	s_wait_loadcnt_dscnt 0x0
	global_inv scope:SCOPE_DEV
	v_cmpx_eq_u32_e32 0, v2
	s_cbranch_execz .LBB4_3304
; %bb.3303:                             ;   in Loop: Header=BB4_3277 Depth=2
	s_bcnt1_i32_b32 s41, s41
	s_delay_alu instid0(SALU_CYCLE_1)
	v_mov_b32_e32 v2, s41
	s_wait_loadcnt 0x0
	ds_add_u64 v0, v[2:3]
	s_trap 2
.LBB4_3304:                             ;   in Loop: Header=BB4_3277 Depth=2
	s_or_b32 exec_lo, exec_lo, s40
	s_trap 2
	ds_load_b64 v[8:9], v0
	s_wait_dscnt 0x0
	v_add_nc_u64_e32 v[48:49], v[48:49], v[52:53]
	s_mov_b32 s40, exec_lo
	s_delay_alu instid0(VALU_DEP_1)
	v_cmpx_lt_u64_e64 v[8:9], v[48:49]
	s_cbranch_execz .LBB4_3313
; %bb.3305:                             ;   in Loop: Header=BB4_3277 Depth=2
	s_mov_b32 s41, 0
	s_mov_b32 s90, 0
                                        ; implicit-def: $sgpr88
                                        ; implicit-def: $sgpr89
	s_branch .LBB4_3307
.LBB4_3306:                             ;   in Loop: Header=BB4_3307 Depth=3
	s_or_b32 exec_lo, exec_lo, s92
	s_delay_alu instid0(SALU_CYCLE_1) | instskip(NEXT) | instid1(SALU_CYCLE_1)
	s_and_b32 s91, exec_lo, s93
	s_or_b32 s41, s91, s41
	s_and_not1_b32 s88, s88, exec_lo
	s_and_b32 s91, s89, exec_lo
	s_delay_alu instid0(SALU_CYCLE_1)
	s_or_b32 s88, s88, s91
	s_and_not1_b32 exec_lo, exec_lo, s41
	s_cbranch_execz .LBB4_3311
.LBB4_3307:                             ;   Parent Loop BB4_47 Depth=1
                                        ;     Parent Loop BB4_3277 Depth=2
                                        ; =>    This Inner Loop Header: Depth=3
	s_add_co_i32 s90, s90, 1
	s_delay_alu instid0(SALU_CYCLE_1) | instskip(SKIP_1) | instid1(SALU_CYCLE_1)
	s_cmp_lg_u32 s90, 0x2710
	s_cselect_b32 s91, -1, 0
	s_and_b32 vcc_lo, exec_lo, s91
	s_cbranch_vccz .LBB4_3309
; %bb.3308:                             ;   in Loop: Header=BB4_3307 Depth=3
	s_mov_b32 s93, -1
	s_or_b32 s89, s89, exec_lo
	s_and_saveexec_b32 s92, s91
	s_cbranch_execz .LBB4_3306
	s_branch .LBB4_3310
.LBB4_3309:                             ;   in Loop: Header=BB4_3307 Depth=3
	s_trap 2
	ds_load_b64 v[8:9], v0
	s_and_not1_b32 s91, s91, exec_lo
	s_mov_b32 s90, 0
	s_wait_loadcnt_dscnt 0x0
	flat_load_b32 v2, v[8:9] scope:SCOPE_SYS
	s_wait_loadcnt_dscnt 0x0
	global_inv scope:SCOPE_SYS
	v_cmp_eq_u32_e32 vcc_lo, 0, v2
	s_and_b32 s92, vcc_lo, exec_lo
	s_delay_alu instid0(SALU_CYCLE_1)
	s_or_b32 s91, s91, s92
	s_mov_b32 s93, -1
	s_or_b32 s89, s89, exec_lo
	s_and_saveexec_b32 s92, s91
	s_cbranch_execz .LBB4_3306
.LBB4_3310:                             ;   in Loop: Header=BB4_3307 Depth=3
	s_sleep 1
	s_trap 2
	ds_load_b64 v[8:9], v0
	s_wait_dscnt 0x0
	s_and_not1_b32 s89, s89, exec_lo
	v_cmp_ge_u64_e32 vcc_lo, v[8:9], v[48:49]
	s_or_not1_b32 s93, vcc_lo, exec_lo
	s_branch .LBB4_3306
.LBB4_3311:                             ;   in Loop: Header=BB4_3277 Depth=2
	s_or_b32 exec_lo, exec_lo, s41
	s_and_saveexec_b32 s41, s88
	s_delay_alu instid0(SALU_CYCLE_1)
	s_xor_b32 s41, exec_lo, s41
	s_cbranch_execz .LBB4_3313
; %bb.3312:                             ;   in Loop: Header=BB4_3277 Depth=2
	ds_store_b32 v0, v75
	s_trap 2
.LBB4_3313:                             ;   in Loop: Header=BB4_3277 Depth=2
	s_or_b32 exec_lo, exec_lo, s40
	;;#ASMSTART
	s_wakeup
	;;#ASMEND
.LBB4_3314:                             ;   in Loop: Header=BB4_3277 Depth=2
	s_or_b32 exec_lo, exec_lo, s27
.LBB4_3315:                             ;   in Loop: Header=BB4_3277 Depth=2
	s_and_not1_saveexec_b32 s18, s18
	s_cbranch_execz .LBB4_3317
; %bb.3316:                             ;   in Loop: Header=BB4_3277 Depth=2
	global_wb scope:SCOPE_DEV
	s_wait_storecnt 0x0
	s_wait_loadcnt_dscnt 0x0
	global_inv scope:SCOPE_DEV
	s_barrier_signal -1
	s_barrier_wait -1
.LBB4_3317:                             ;   in Loop: Header=BB4_3277 Depth=2
	s_or_b32 exec_lo, exec_lo, s18
.LBB4_3318:                             ;   in Loop: Header=BB4_3277 Depth=2
	s_delay_alu instid0(SALU_CYCLE_1) | instskip(SKIP_1) | instid1(VALU_DEP_1)
	s_or_b32 exec_lo, exec_lo, s13
	v_sub_nc_u32_e32 v2, v58, v116
	v_min_i32_e32 v59, v59, v2
	s_and_saveexec_b32 s13, s12
	s_delay_alu instid0(SALU_CYCLE_1)
	s_xor_b32 s18, exec_lo, s13
	s_cbranch_execz .LBB4_3322
; %bb.3319:                             ;   in Loop: Header=BB4_3277 Depth=2
	s_trap 2
	ds_load_b32 v2, v0
	v_cmp_lt_i32_e32 vcc_lo, 0, v59
	s_wait_dscnt 0x0
	v_readfirstlane_b32 s13, v2
	v_and_b32_e32 v2, 16, v30
	s_cmp_eq_u32 s13, 0
	s_delay_alu instid0(VALU_DEP_1) | instskip(SKIP_1) | instid1(SALU_CYCLE_1)
	v_cmp_ne_u32_e64 s13, 0, v2
	s_cselect_b32 s27, -1, 0
	s_and_b32 s27, vcc_lo, s27
	s_delay_alu instid0(SALU_CYCLE_1) | instskip(NEXT) | instid1(SALU_CYCLE_1)
	s_and_b32 s27, s13, s27
	s_and_saveexec_b32 s13, s27
	s_cbranch_execz .LBB4_3321
; %bb.3320:                             ;   in Loop: Header=BB4_3277 Depth=2
	global_wb scope:SCOPE_SYS
	s_wait_loadcnt 0x0
	s_wait_storecnt 0x0
	global_inv scope:SCOPE_SYS
.LBB4_3321:                             ;   in Loop: Header=BB4_3277 Depth=2
	s_or_b32 exec_lo, exec_lo, s13
.LBB4_3322:                             ;   in Loop: Header=BB4_3277 Depth=2
	s_and_not1_saveexec_b32 s13, s18
	s_cbranch_execz .LBB4_3341
; %bb.3323:                             ;   in Loop: Header=BB4_3277 Depth=2
	s_and_saveexec_b32 s18, s3
	s_delay_alu instid0(SALU_CYCLE_1)
	s_xor_b32 s18, exec_lo, s18
	s_cbranch_execz .LBB4_3338
; %bb.3324:                             ;   in Loop: Header=BB4_3277 Depth=2
	s_and_saveexec_b32 s27, s6
	s_cbranch_execz .LBB4_3337
; %bb.3325:                             ;   in Loop: Header=BB4_3277 Depth=2
	s_mov_b32 s41, exec_lo
	s_mov_b32 s40, exec_lo
	v_mbcnt_lo_u32_b32 v2, s41, 0
	;;#ASMSTART
	s_waitcnt lgkmcnt(0) vmcnt(0)
	;;#ASMEND
	s_delay_alu instid0(VALU_DEP_1)
	v_cmpx_eq_u32_e32 0, v2
	s_cbranch_execz .LBB4_3327
; %bb.3326:                             ;   in Loop: Header=BB4_3277 Depth=2
	s_bcnt1_i32_b32 s41, s41
	s_delay_alu instid0(SALU_CYCLE_1)
	v_mov_b32_e32 v2, s41
	s_wait_storecnt 0x0
	s_wait_loadcnt_dscnt 0x0
	ds_add_u64 v0, v[2:3]
	s_trap 2
.LBB4_3327:                             ;   in Loop: Header=BB4_3277 Depth=2
	s_or_b32 exec_lo, exec_lo, s40
	s_trap 2
	ds_load_b64 v[8:9], v0
	s_wait_dscnt 0x0
	v_add_nc_u64_e32 v[48:49], v[48:49], v[52:53]
	s_mov_b32 s40, exec_lo
	s_delay_alu instid0(VALU_DEP_1)
	v_cmpx_lt_u64_e64 v[8:9], v[48:49]
	s_cbranch_execz .LBB4_3336
; %bb.3328:                             ;   in Loop: Header=BB4_3277 Depth=2
	s_mov_b32 s41, 0
	s_mov_b32 s90, 0
                                        ; implicit-def: $sgpr88
                                        ; implicit-def: $sgpr89
	s_branch .LBB4_3330
.LBB4_3329:                             ;   in Loop: Header=BB4_3330 Depth=3
	s_or_b32 exec_lo, exec_lo, s92
	s_delay_alu instid0(SALU_CYCLE_1) | instskip(NEXT) | instid1(SALU_CYCLE_1)
	s_and_b32 s91, exec_lo, s93
	s_or_b32 s41, s91, s41
	s_and_not1_b32 s88, s88, exec_lo
	s_and_b32 s91, s89, exec_lo
	s_delay_alu instid0(SALU_CYCLE_1)
	s_or_b32 s88, s88, s91
	s_and_not1_b32 exec_lo, exec_lo, s41
	s_cbranch_execz .LBB4_3334
.LBB4_3330:                             ;   Parent Loop BB4_47 Depth=1
                                        ;     Parent Loop BB4_3277 Depth=2
                                        ; =>    This Inner Loop Header: Depth=3
	s_add_co_i32 s90, s90, 1
	s_delay_alu instid0(SALU_CYCLE_1) | instskip(SKIP_1) | instid1(SALU_CYCLE_1)
	s_cmp_lg_u32 s90, 0x2710
	s_cselect_b32 s91, -1, 0
	s_and_b32 vcc_lo, exec_lo, s91
	s_cbranch_vccz .LBB4_3332
; %bb.3331:                             ;   in Loop: Header=BB4_3330 Depth=3
	s_mov_b32 s93, -1
	s_or_b32 s89, s89, exec_lo
	s_and_saveexec_b32 s92, s91
	s_cbranch_execz .LBB4_3329
	s_branch .LBB4_3333
.LBB4_3332:                             ;   in Loop: Header=BB4_3330 Depth=3
	s_trap 2
	ds_load_b64 v[8:9], v0
	s_and_not1_b32 s91, s91, exec_lo
	s_mov_b32 s90, 0
	s_wait_storecnt 0x0
	s_wait_loadcnt_dscnt 0x0
	flat_load_b32 v2, v[8:9] scope:SCOPE_SYS
	s_wait_loadcnt_dscnt 0x0
	global_inv scope:SCOPE_SYS
	v_cmp_eq_u32_e32 vcc_lo, 0, v2
	s_and_b32 s92, vcc_lo, exec_lo
	s_delay_alu instid0(SALU_CYCLE_1)
	s_or_b32 s91, s91, s92
	s_mov_b32 s93, -1
	s_or_b32 s89, s89, exec_lo
	s_and_saveexec_b32 s92, s91
	s_cbranch_execz .LBB4_3329
.LBB4_3333:                             ;   in Loop: Header=BB4_3330 Depth=3
	s_sleep 1
	s_trap 2
	ds_load_b64 v[8:9], v0
	s_wait_dscnt 0x0
	s_and_not1_b32 s89, s89, exec_lo
	v_cmp_ge_u64_e32 vcc_lo, v[8:9], v[48:49]
	s_or_not1_b32 s93, vcc_lo, exec_lo
	s_branch .LBB4_3329
.LBB4_3334:                             ;   in Loop: Header=BB4_3277 Depth=2
	s_or_b32 exec_lo, exec_lo, s41
	s_and_saveexec_b32 s41, s88
	s_delay_alu instid0(SALU_CYCLE_1)
	s_xor_b32 s41, exec_lo, s41
	s_cbranch_execz .LBB4_3336
; %bb.3335:                             ;   in Loop: Header=BB4_3277 Depth=2
	ds_store_b32 v0, v75
	s_trap 2
.LBB4_3336:                             ;   in Loop: Header=BB4_3277 Depth=2
	s_or_b32 exec_lo, exec_lo, s40
	;;#ASMSTART
	s_wakeup
	;;#ASMEND
.LBB4_3337:                             ;   in Loop: Header=BB4_3277 Depth=2
	s_or_b32 exec_lo, exec_lo, s27
.LBB4_3338:                             ;   in Loop: Header=BB4_3277 Depth=2
	s_and_not1_saveexec_b32 s18, s18
	s_cbranch_execz .LBB4_3340
; %bb.3339:                             ;   in Loop: Header=BB4_3277 Depth=2
	;;#ASMSTART
	s_waitcnt lgkmcnt(0) vmcnt(0)
	;;#ASMEND
	s_barrier_signal -1
	s_barrier_wait -1
.LBB4_3340:                             ;   in Loop: Header=BB4_3277 Depth=2
	s_or_b32 exec_lo, exec_lo, s18
.LBB4_3341:                             ;   in Loop: Header=BB4_3277 Depth=2
	s_delay_alu instid0(SALU_CYCLE_1) | instskip(SKIP_2) | instid1(VALU_DEP_1)
	s_or_b32 exec_lo, exec_lo, s13
	v_and_b32_e32 v2, 32, v30
	s_mov_b32 s13, exec_lo
	v_cmpx_ne_u32_e32 0, v2
	s_cbranch_execz .LBB4_3276
; %bb.3342:                             ;   in Loop: Header=BB4_3277 Depth=2
	v_add_nc_u64_e32 v[114:115], 2, v[114:115]
	global_wb scope:SCOPE_SYS
	s_wait_storecnt 0x0
	s_wait_loadcnt_dscnt 0x0
	flat_store_b64 v[32:33], v[114:115] scope:SCOPE_SYS
	s_branch .LBB4_3276
.LBB4_3343:
	s_or_b32 exec_lo, exec_lo, s79
.LBB4_3344:
	s_delay_alu instid0(SALU_CYCLE_1) | instskip(SKIP_2) | instid1(VALU_DEP_1)
	s_or_b32 exec_lo, exec_lo, s43
	v_and_b32_e32 v0, 0x800, v30
	s_mov_b32 s1, exec_lo
	v_cmpx_eq_u32_e32 0, v0
	s_cbranch_execz .LBB4_3377
; %bb.3345:
	v_and_b32_e32 v0, 48, v30
	s_mov_b32 s0, exec_lo
	s_delay_alu instid0(VALU_DEP_1)
	v_cmpx_ne_u32_e32 0, v0
	s_cbranch_execz .LBB4_3347
; %bb.3346:
	flat_store_b64 v[28:29], v[114:115] offset:104
.LBB4_3347:
	s_wait_xcnt 0x0
	s_or_b32 exec_lo, exec_lo, s0
	v_and_b32_e32 v0, 0x88, v30
	s_mov_b32 s2, exec_lo
	s_delay_alu instid0(VALU_DEP_1)
	v_cmpx_eq_u32_e32 0x88, v0
	s_cbranch_execz .LBB4_3357
; %bb.3348:
	v_add_nc_u32_e32 v0, 6, v114
	s_mov_b32 s3, 0
	s_delay_alu instid0(VALU_DEP_1) | instskip(NEXT) | instid1(VALU_DEP_1)
	v_and_b32_e32 v0, 7, v0
	v_mad_nc_u64_u32 v[2:3], v0, 24, v[6:7]
	v_and_b32_e32 v0, 64, v30
	s_delay_alu instid0(VALU_DEP_1)
	v_cmp_eq_u32_e64 s0, 0, v0
	flat_load_b64 v[4:5], v[2:3] offset:8 scope:SCOPE_SYS
	s_wait_loadcnt_dscnt 0x0
	v_cmp_ne_u64_e32 vcc_lo, -1, v[4:5]
	s_and_b32 s0, vcc_lo, s0
	s_wait_xcnt 0x0
	s_and_b32 exec_lo, exec_lo, s0
	s_cbranch_execz .LBB4_3357
; %bb.3349:
	s_mov_b32 s5, 0
                                        ; implicit-def: $sgpr0
                                        ; implicit-def: $sgpr4
	s_branch .LBB4_3352
.LBB4_3350:                             ;   in Loop: Header=BB4_3352 Depth=1
	flat_load_b64 v[4:5], v[2:3] offset:8 scope:SCOPE_SYS
	s_wait_loadcnt 0x0
	s_and_not1_b32 s4, s4, exec_lo
	s_wait_dscnt 0x0
	v_cmp_eq_u64_e32 vcc_lo, -1, v[4:5]
	s_or_not1_b32 s7, vcc_lo, exec_lo
.LBB4_3351:                             ;   in Loop: Header=BB4_3352 Depth=1
	s_wait_xcnt 0x0
	s_or_b32 exec_lo, exec_lo, s10
	s_delay_alu instid0(SALU_CYCLE_1) | instskip(NEXT) | instid1(SALU_CYCLE_1)
	s_and_b32 s6, exec_lo, s7
	s_or_b32 s3, s6, s3
	s_and_not1_b32 s0, s0, exec_lo
	s_and_b32 s6, s4, exec_lo
	s_delay_alu instid0(SALU_CYCLE_1)
	s_or_b32 s0, s0, s6
	s_and_not1_b32 exec_lo, exec_lo, s3
	s_cbranch_execz .LBB4_3355
.LBB4_3352:                             ; =>This Inner Loop Header: Depth=1
	s_cmp_lt_i32 s5, 0x270f
	s_cselect_b32 s6, -1, 0
	s_delay_alu instid0(SALU_CYCLE_1)
	s_and_b32 vcc_lo, exec_lo, s6
	s_cbranch_vccnz .LBB4_3354
; %bb.3353:                             ;   in Loop: Header=BB4_3352 Depth=1
	s_trap 2
	ds_load_b64 v[4:5], v0
	s_and_not1_b32 s6, s6, exec_lo
	s_mov_b32 s5, 0
	s_wait_storecnt_dscnt 0x0
	flat_load_b32 v0, v[4:5] scope:SCOPE_SYS
	s_wait_loadcnt_dscnt 0x0
	global_inv scope:SCOPE_SYS
	v_cmp_eq_u32_e32 vcc_lo, 0, v0
	s_and_b32 s7, vcc_lo, exec_lo
	s_delay_alu instid0(SALU_CYCLE_1)
	s_or_b32 s6, s6, s7
	s_mov_b32 s7, -1
	s_or_b32 s4, s4, exec_lo
	s_wait_xcnt 0x0
	s_and_saveexec_b32 s10, s6
	s_cbranch_execz .LBB4_3351
	s_branch .LBB4_3350
.LBB4_3354:                             ;   in Loop: Header=BB4_3352 Depth=1
	s_add_co_i32 s5, s5, 1
                                        ; implicit-def: $vgpr0
	s_mov_b32 s7, -1
	s_or_b32 s4, s4, exec_lo
	s_and_saveexec_b32 s10, s6
	s_cbranch_execz .LBB4_3351
	s_branch .LBB4_3350
.LBB4_3355:
	s_or_b32 exec_lo, exec_lo, s3
	s_and_saveexec_b32 s3, s0
	s_delay_alu instid0(SALU_CYCLE_1)
	s_xor_b32 s3, exec_lo, s3
	s_cbranch_execz .LBB4_3357
; %bb.3356:
	s_wait_loadcnt 0x0
	s_wait_storecnt 0x0
	ds_store_b32 v0, v0
	s_trap 2
.LBB4_3357:
	s_or_b32 exec_lo, exec_lo, s2
	v_and_b32_e32 v0, 0x2000, v30
	s_mov_b32 s0, exec_lo
	s_delay_alu instid0(VALU_DEP_1)
	v_cmpx_ne_u32_e32 0, v0
	s_cbranch_execz .LBB4_3359
; %bb.3358:
	s_trap 2
	ds_load_b64 v[2:3], v0
	s_wait_dscnt 0x0
	flat_store_b64 v[26:27], v[2:3] offset:16
.LBB4_3359:
	s_wait_xcnt 0x0
	s_or_b32 exec_lo, exec_lo, s0
	v_cmp_ne_u32_e32 vcc_lo, 32, v1
	s_and_b32 exec_lo, exec_lo, vcc_lo
	s_cbranch_execz .LBB4_3377
; %bb.3360:
	s_mov_b32 s0, exec_lo
	v_cmpx_ne_u32_e64 v1, v72
	s_xor_b32 s0, exec_lo, s0
	s_cbranch_execz .LBB4_3375
; %bb.3361:
	v_and_b32_e32 v0, 31, v31
	s_mov_b32 s2, exec_lo
	s_delay_alu instid0(VALU_DEP_1)
	v_cmpx_eq_u32_e32 0, v0
	s_cbranch_execz .LBB4_3374
; %bb.3362:
	s_mov_b32 s4, exec_lo
	s_mov_b32 s3, exec_lo
	v_mbcnt_lo_u32_b32 v0, s4, 0
	global_wb scope:SCOPE_DEV
	s_wait_storecnt 0x0
	s_wait_loadcnt_dscnt 0x0
	global_inv scope:SCOPE_DEV
	v_cmpx_eq_u32_e32 0, v0
	s_cbranch_execz .LBB4_3364
; %bb.3363:
	s_bcnt1_i32_b32 s4, s4
	s_delay_alu instid0(SALU_CYCLE_1)
	v_dual_mov_b32 v3, 0 :: v_dual_mov_b32 v2, s4
	s_wait_loadcnt 0x0
	ds_add_u64 v0, v[2:3]
	s_trap 2
.LBB4_3364:
	s_or_b32 exec_lo, exec_lo, s3
	s_trap 2
	ds_load_b64 v[2:3], v0
	s_wait_dscnt 0x0
	v_dual_mov_b32 v1, 0 :: v_dual_lshrrev_b32 v0, 5, v1
	s_mov_b32 s3, exec_lo
	s_delay_alu instid0(VALU_DEP_1) | instskip(NEXT) | instid1(VALU_DEP_1)
	v_add_nc_u64_e32 v[0:1], v[48:49], v[0:1]
	v_cmpx_lt_u64_e64 v[2:3], v[0:1]
	s_cbranch_execz .LBB4_3373
; %bb.3365:
	s_mov_b32 s4, 0
	s_mov_b32 s7, 0
                                        ; implicit-def: $sgpr5
                                        ; implicit-def: $sgpr6
	s_branch .LBB4_3367
.LBB4_3366:                             ;   in Loop: Header=BB4_3367 Depth=1
	s_or_b32 exec_lo, exec_lo, s11
	s_delay_alu instid0(SALU_CYCLE_1) | instskip(NEXT) | instid1(SALU_CYCLE_1)
	s_and_b32 s10, exec_lo, s12
	s_or_b32 s4, s10, s4
	s_and_not1_b32 s5, s5, exec_lo
	s_and_b32 s10, s6, exec_lo
	s_delay_alu instid0(SALU_CYCLE_1)
	s_or_b32 s5, s5, s10
	s_and_not1_b32 exec_lo, exec_lo, s4
	s_cbranch_execz .LBB4_3371
.LBB4_3367:                             ; =>This Inner Loop Header: Depth=1
	s_add_co_i32 s7, s7, 1
	s_delay_alu instid0(SALU_CYCLE_1) | instskip(SKIP_1) | instid1(SALU_CYCLE_1)
	s_cmp_lg_u32 s7, 0x2710
	s_cselect_b32 s10, -1, 0
	s_and_b32 vcc_lo, exec_lo, s10
	s_cbranch_vccz .LBB4_3369
; %bb.3368:                             ;   in Loop: Header=BB4_3367 Depth=1
	s_mov_b32 s12, -1
	s_or_b32 s6, s6, exec_lo
	s_and_saveexec_b32 s11, s10
	s_cbranch_execz .LBB4_3366
	s_branch .LBB4_3370
.LBB4_3369:                             ;   in Loop: Header=BB4_3367 Depth=1
	s_trap 2
	ds_load_b64 v[2:3], v0
	s_and_not1_b32 s10, s10, exec_lo
	s_mov_b32 s7, 0
	s_wait_loadcnt_dscnt 0x0
	flat_load_b32 v2, v[2:3] scope:SCOPE_SYS
	s_wait_loadcnt_dscnt 0x0
	global_inv scope:SCOPE_SYS
	v_cmp_eq_u32_e32 vcc_lo, 0, v2
	s_and_b32 s11, vcc_lo, exec_lo
	s_delay_alu instid0(SALU_CYCLE_1)
	s_or_b32 s10, s10, s11
	s_mov_b32 s12, -1
	s_or_b32 s6, s6, exec_lo
	s_and_saveexec_b32 s11, s10
	s_cbranch_execz .LBB4_3366
.LBB4_3370:                             ;   in Loop: Header=BB4_3367 Depth=1
	s_sleep 1
	s_trap 2
	ds_load_b64 v[2:3], v0
	s_wait_dscnt 0x0
	s_and_not1_b32 s6, s6, exec_lo
	v_cmp_ge_u64_e32 vcc_lo, v[2:3], v[0:1]
	s_or_not1_b32 s12, vcc_lo, exec_lo
	s_branch .LBB4_3366
.LBB4_3371:
	s_or_b32 exec_lo, exec_lo, s4
	s_and_saveexec_b32 s4, s5
	s_delay_alu instid0(SALU_CYCLE_1)
	s_xor_b32 s4, exec_lo, s4
	s_cbranch_execz .LBB4_3373
; %bb.3372:
	v_mov_b32_e32 v0, 1
	ds_store_b32 v0, v0
	s_trap 2
.LBB4_3373:
	s_or_b32 exec_lo, exec_lo, s3
	;;#ASMSTART
	s_wakeup
	;;#ASMEND
.LBB4_3374:
	s_or_b32 exec_lo, exec_lo, s2
.LBB4_3375:
	s_and_not1_saveexec_b32 s0, s0
	s_cbranch_execz .LBB4_3377
; %bb.3376:
	global_wb scope:SCOPE_DEV
	s_wait_storecnt 0x0
	s_wait_loadcnt_dscnt 0x0
	global_inv scope:SCOPE_DEV
	s_barrier_signal -1
	s_barrier_wait -1
.LBB4_3377:
	s_or_b32 exec_lo, exec_lo, s1
.LBB4_3378:
	s_and_not1_saveexec_b32 s21, s42
	s_cbranch_execz .LBB4_3380
; %bb.3379:
	s_get_pc_i64 s[0:1]
	s_add_nc_u64 s[0:1], s[0:1], __PRETTY_FUNCTION__._ZN10PrimitivesI12hip_bfloat1613FuncPreMulSumIS0_E12FanSymmetricILi1EELi0E11ProtoSimpleILi2ELi2ELi0ELi1ELi0ELi0EELi0ELb0ELi0ELi1ELi0EEC2EiiPKiS9_PKvPvmhhhP15ncclDevWorkCollP14ncclDevWorkP2pii@rel64+4
	s_get_pc_i64 s[2:3]
	s_add_nc_u64 s[2:3], s[2:3], __assert_fail@rel64+4
	v_dual_mov_b32 v0, s0 :: v_dual_mov_b32 v1, s1
	s_swap_pc_i64 s[30:31], s[2:3]
	; divergent unreachable
.LBB4_3380:
	s_or_b32 exec_lo, exec_lo, s21
	s_clause 0x22
	scratch_load_b32 v108, off, s33
	scratch_load_b32 v107, off, s33 offset:4
	scratch_load_b32 v106, off, s33 offset:8
	;; [unrolled: 1-line block ×34, first 2 shown]
	s_wait_dscnt 0x0
	s_clause 0x1
	scratch_load_b32 v41, off, s33 offset:140
	scratch_load_b32 v40, off, s33 offset:144
	v_readlane_b32 s30, v109, 1
	v_readlane_b32 s31, v109, 2
	v_readlane_b32 s34, v109, 0
	s_mov_b32 s32, s33
	v_readlane_b32 s0, v109, 3
	s_wait_xcnt 0x0
	s_or_saveexec_b32 s1, -1
	scratch_load_b32 v109, off, s33 offset:224 ; 4-byte Folded Reload
	s_wait_xcnt 0x0
	s_mov_b32 exec_lo, s1
	s_mov_b32 s33, s0
	s_wait_loadcnt 0x0
	s_set_pc_i64 s[30:31]
.Lfunc_end4:
	.size	_ZN12_GLOBAL__N_17runRingI12hip_bfloat1613FuncPreMulSumIS1_E11ProtoSimpleILi2ELi2ELi0ELi1ELi0ELi0EELi0ELi0ELi1ELi1EEEviiP15ncclDevWorkColl, .Lfunc_end4-_ZN12_GLOBAL__N_17runRingI12hip_bfloat1613FuncPreMulSumIS1_E11ProtoSimpleILi2ELi2ELi0ELi1ELi0ELi0EELi0ELi0ELi1ELi1EEEviiP15ncclDevWorkColl
                                        ; -- End function
	.set .L_ZN12_GLOBAL__N_17runRingI12hip_bfloat1613FuncPreMulSumIS1_E11ProtoSimpleILi2ELi2ELi0ELi1ELi0ELi0EELi0ELi0ELi1ELi1EEEviiP15ncclDevWorkColl.num_vgpr, max(120, .L__assert_fail.num_vgpr)
	.set .L_ZN12_GLOBAL__N_17runRingI12hip_bfloat1613FuncPreMulSumIS1_E11ProtoSimpleILi2ELi2ELi0ELi1ELi0ELi0EELi0ELi0ELi1ELi1EEEviiP15ncclDevWorkColl.num_agpr, max(0, .L__assert_fail.num_agpr)
	.set .L_ZN12_GLOBAL__N_17runRingI12hip_bfloat1613FuncPreMulSumIS1_E11ProtoSimpleILi2ELi2ELi0ELi1ELi0ELi0EELi0ELi0ELi1ELi1EEEviiP15ncclDevWorkColl.numbered_sgpr, max(96, .L__assert_fail.numbered_sgpr)
	.set .L_ZN12_GLOBAL__N_17runRingI12hip_bfloat1613FuncPreMulSumIS1_E11ProtoSimpleILi2ELi2ELi0ELi1ELi0ELi0EELi0ELi0ELi1ELi1EEEviiP15ncclDevWorkColl.num_named_barrier, max(0, .L__assert_fail.num_named_barrier)
	.set .L_ZN12_GLOBAL__N_17runRingI12hip_bfloat1613FuncPreMulSumIS1_E11ProtoSimpleILi2ELi2ELi0ELi1ELi0ELi0EELi0ELi0ELi1ELi1EEEviiP15ncclDevWorkColl.private_seg_size, 240+max(.L__assert_fail.private_seg_size)
	.set .L_ZN12_GLOBAL__N_17runRingI12hip_bfloat1613FuncPreMulSumIS1_E11ProtoSimpleILi2ELi2ELi0ELi1ELi0ELi0EELi0ELi0ELi1ELi1EEEviiP15ncclDevWorkColl.uses_vcc, or(1, .L__assert_fail.uses_vcc)
	.set .L_ZN12_GLOBAL__N_17runRingI12hip_bfloat1613FuncPreMulSumIS1_E11ProtoSimpleILi2ELi2ELi0ELi1ELi0ELi0EELi0ELi0ELi1ELi1EEEviiP15ncclDevWorkColl.uses_flat_scratch, or(1, .L__assert_fail.uses_flat_scratch)
	.set .L_ZN12_GLOBAL__N_17runRingI12hip_bfloat1613FuncPreMulSumIS1_E11ProtoSimpleILi2ELi2ELi0ELi1ELi0ELi0EELi0ELi0ELi1ELi1EEEviiP15ncclDevWorkColl.has_dyn_sized_stack, or(0, .L__assert_fail.has_dyn_sized_stack)
	.set .L_ZN12_GLOBAL__N_17runRingI12hip_bfloat1613FuncPreMulSumIS1_E11ProtoSimpleILi2ELi2ELi0ELi1ELi0ELi0EELi0ELi0ELi1ELi1EEEviiP15ncclDevWorkColl.has_recursion, or(1, .L__assert_fail.has_recursion)
	.set .L_ZN12_GLOBAL__N_17runRingI12hip_bfloat1613FuncPreMulSumIS1_E11ProtoSimpleILi2ELi2ELi0ELi1ELi0ELi0EELi0ELi0ELi1ELi1EEEviiP15ncclDevWorkColl.has_indirect_call, or(0, .L__assert_fail.has_indirect_call)
	.section	.AMDGPU.csdata,"",@progbits
; Function info:
; codeLenInByte = 106348
; TotalNumSgprs: 98
; NumVgprs: 120
; ScratchSize: 304
; MemoryBound: 1
	.text
	.p2align	2                               ; -- Begin function _Z54ncclDevFunc_AllReduce_RING_SIMPLE_PreMulSum_bf16_0_1_1v
	.type	_Z54ncclDevFunc_AllReduce_RING_SIMPLE_PreMulSum_bf16_0_1_1v,@function
_Z54ncclDevFunc_AllReduce_RING_SIMPLE_PreMulSum_bf16_0_1_1v: ; @_Z54ncclDevFunc_AllReduce_RING_SIMPLE_PreMulSum_bf16_0_1_1v
; %bb.0:
	s_wait_loadcnt_dscnt 0x0
	s_wait_kmcnt 0x0
	s_mov_b32 s0, s33
	s_mov_b32 s33, s32
	s_or_saveexec_b32 s1, -1
	scratch_store_b32 off, v42, s33 offset:12 ; 4-byte Folded Spill
	s_wait_xcnt 0x0
	s_mov_b32 exec_lo, s1
	v_writelane_b32 v42, s0, 10
	s_add_co_i32 s32, s32, 32
	s_clause 0x2
	scratch_store_b32 off, v40, s33 offset:8
	; meta instruction
	scratch_store_b32 off, v41, s33 offset:4
	; meta instruction
	scratch_store_b32 off, v109, s33
	v_writelane_b32 v42, s34, 0
	v_writelane_b32 v42, s35, 1
	;; [unrolled: 1-line block ×10, first 2 shown]
	s_trap 2
	ds_load_b32 v0, v0
	s_wait_xcnt 0x2
	v_mov_b32_e32 v40, v31
	s_mov_b32 s35, s12
	s_mov_b64 s[36:37], s[8:9]
	s_mov_b32 s2, exec_lo
	s_wait_xcnt 0x1
	v_and_b32_e32 v41, 0x3ff, v40
	s_wait_dscnt 0x0
	s_wait_xcnt 0x0
	s_delay_alu instid0(VALU_DEP_1)
	v_cmpx_lt_i32_e64 v41, v0
	s_cbranch_execz .LBB5_5
; %bb.1:
	s_load_b32 s0, s[36:37], 0x0
	s_bfe_u32 s1, ttmp6, 0x4000c
	s_and_b32 s3, ttmp6, 15
	s_add_co_i32 s1, s1, 1
	s_getreg_b32 s4, hwreg(HW_REG_IB_STS2, 6, 4)
	s_mul_i32 s1, ttmp9, s1
	v_mov_b32_e32 v2, v41
	s_add_co_i32 s3, s3, s1
	s_cmp_eq_u32 s4, 0
                                        ; implicit-def: $vgpr3
	s_cselect_b32 s1, ttmp9, s3
	s_mov_b32 s3, 0
	s_wait_kmcnt 0x0
	s_cmp_lt_u32 s1, s0
	s_mov_b32 s1, 0
	s_cselect_b32 s0, 12, 18
	s_delay_alu instid0(SALU_CYCLE_1)
	s_add_nc_u64 s[4:5], s[36:37], s[0:1]
	s_load_u16 s0, s[4:5], 0x0
	s_trap 2
	ds_load_b32 v1, v0
	s_wait_dscnt 0x0
	s_wait_kmcnt 0x0
	v_mul_lo_u32 v1, v1, s0
	s_branch .LBB5_3
.LBB5_2:                                ;   in Loop: Header=BB5_3 Depth=1
	s_or_b32 exec_lo, exec_lo, s4
	v_dual_add_nc_u32 v2, s0, v2 :: v_dual_add_nc_u32 v3, v3, v1
	s_delay_alu instid0(VALU_DEP_1) | instskip(SKIP_1) | instid1(SALU_CYCLE_1)
	v_cmp_ge_i32_e32 vcc_lo, v2, v0
	s_or_b32 s3, vcc_lo, s3
	s_and_not1_b32 exec_lo, exec_lo, s3
	s_cbranch_execz .LBB5_5
.LBB5_3:                                ; =>This Inner Loop Header: Depth=1
	ds_load_b32 v4, v3
	s_mov_b32 s4, exec_lo
	s_wait_dscnt 0x0
	v_and_b32_e32 v4, 0x1000000, v4
	s_delay_alu instid0(VALU_DEP_1)
	v_cmpx_ne_u32_e32 0, v4
	s_cbranch_execz .LBB5_2
; %bb.4:                                ;   in Loop: Header=BB5_3 Depth=1
	ds_load_b64 v[4:5], v3 offset:104
	s_wait_dscnt 0x0
	flat_load_u16 v4, v[4:5]
	s_wait_xcnt 0x0
	v_mov_b32_e32 v5, s1
	s_wait_loadcnt_dscnt 0x0
	v_and_b32_e32 v4, 0xffff, v4
	ds_store_b64 v3, v[4:5] offset:104
	s_branch .LBB5_2
.LBB5_5:
	s_or_b32 exec_lo, exec_lo, s2
	s_wait_storecnt_dscnt 0x0
	s_barrier_signal -1
	s_barrier_wait -1
	s_trap 2
	ds_load_b32 v0, v0
	s_wait_dscnt 0x0
	v_cmp_gt_i32_e32 vcc_lo, 1, v0
	s_cbranch_vccnz .LBB5_13
; %bb.6:
	s_mov_b32 s48, 0
	s_get_pc_i64 s[38:39]
	s_add_nc_u64 s[38:39], s[38:39], _ZN12_GLOBAL__N_17runRingI12hip_bfloat1613FuncPreMulSumIS1_E11ProtoSimpleILi2ELi2ELi0ELi1ELi0ELi0EELi0ELi0ELi1ELi1EEEviiP15ncclDevWorkColl@rel64+4
	s_branch .LBB5_8
.LBB5_7:                                ;   in Loop: Header=BB5_8 Depth=1
	s_or_b32 exec_lo, exec_lo, s49
	s_trap 2
	ds_load_b32 v0, v0
	s_add_co_i32 s48, s48, 1
	s_wait_dscnt 0x0
	v_cmp_lt_i32_e32 vcc_lo, s48, v0
	s_cbranch_vccz .LBB5_13
.LBB5_8:                                ; =>This Inner Loop Header: Depth=1
	s_trap 2
	ds_load_b32 v0, v0
	s_cmp_eq_u32 s48, 0
	s_cbranch_scc1 .LBB5_11
; %bb.9:                                ;   in Loop: Header=BB5_8 Depth=1
	s_trap 2
	s_wait_dscnt 0x0
	ds_load_b32 v1, v0
	s_wait_dscnt 0x0
	v_xor_b32_e32 v1, v1, v0
	s_delay_alu instid0(VALU_DEP_1) | instskip(NEXT) | instid1(VALU_DEP_1)
	v_and_b32_e32 v1, 0xff0000, v1
	v_cmp_eq_u32_e32 vcc_lo, 0, v1
	s_cbranch_vccnz .LBB5_11
; %bb.10:                               ;   in Loop: Header=BB5_8 Depth=1
	s_barrier_signal -1
	s_barrier_wait -1
	ds_load_b32 v0, v0
.LBB5_11:                               ;   in Loop: Header=BB5_8 Depth=1
	s_wait_dscnt 0x0
	v_lshrrev_b32_e32 v0, 11, v0
	s_mov_b32 s49, exec_lo
	s_delay_alu instid0(VALU_DEP_1) | instskip(NEXT) | instid1(VALU_DEP_1)
	v_and_b32_e32 v1, 0x1fe0, v0
	v_cmpx_lt_u32_e64 v41, v1
	s_cbranch_execz .LBB5_7
; %bb.12:                               ;   in Loop: Header=BB5_8 Depth=1
	s_mov_b64 s[0:1], src_shared_base
	v_dual_mov_b32 v31, v40 :: v_dual_mov_b32 v0, v41
	v_mov_b32_e32 v3, s1
	s_mov_b64 s[8:9], s[36:37]
	s_mov_b32 s12, s35
	s_swap_pc_i64 s[30:31], s[38:39]
	s_branch .LBB5_7
.LBB5_13:
	s_clause 0x2
	scratch_load_b32 v109, off, s33
	scratch_load_b32 v41, off, s33 offset:4
	scratch_load_b32 v40, off, s33 offset:8
	v_readlane_b32 s30, v42, 8
	v_readlane_b32 s31, v42, 9
	v_readlane_b32 s49, v42, 7
	v_readlane_b32 s48, v42, 6
	v_readlane_b32 s39, v42, 5
	v_readlane_b32 s38, v42, 4
	v_readlane_b32 s37, v42, 3
	v_readlane_b32 s36, v42, 2
	v_readlane_b32 s35, v42, 1
	v_readlane_b32 s34, v42, 0
	s_mov_b32 s32, s33
	v_readlane_b32 s0, v42, 10
	s_wait_xcnt 0x0
	s_or_saveexec_b32 s1, -1
	scratch_load_b32 v42, off, s33 offset:12 ; 4-byte Folded Reload
	s_wait_xcnt 0x0
	s_mov_b32 exec_lo, s1
	s_mov_b32 s33, s0
	s_wait_loadcnt 0x0
	s_set_pc_i64 s[30:31]
.Lfunc_end5:
	.size	_Z54ncclDevFunc_AllReduce_RING_SIMPLE_PreMulSum_bf16_0_1_1v, .Lfunc_end5-_Z54ncclDevFunc_AllReduce_RING_SIMPLE_PreMulSum_bf16_0_1_1v
                                        ; -- End function
	.set .L_Z54ncclDevFunc_AllReduce_RING_SIMPLE_PreMulSum_bf16_0_1_1v.num_vgpr, max(110, .L_ZN12_GLOBAL__N_17runRingI12hip_bfloat1613FuncPreMulSumIS1_E11ProtoSimpleILi2ELi2ELi0ELi1ELi0ELi0EELi0ELi0ELi1ELi1EEEviiP15ncclDevWorkColl.num_vgpr)
	.set .L_Z54ncclDevFunc_AllReduce_RING_SIMPLE_PreMulSum_bf16_0_1_1v.num_agpr, max(0, .L_ZN12_GLOBAL__N_17runRingI12hip_bfloat1613FuncPreMulSumIS1_E11ProtoSimpleILi2ELi2ELi0ELi1ELi0ELi0EELi0ELi0ELi1ELi1EEEviiP15ncclDevWorkColl.num_agpr)
	.set .L_Z54ncclDevFunc_AllReduce_RING_SIMPLE_PreMulSum_bf16_0_1_1v.numbered_sgpr, max(50, .L_ZN12_GLOBAL__N_17runRingI12hip_bfloat1613FuncPreMulSumIS1_E11ProtoSimpleILi2ELi2ELi0ELi1ELi0ELi0EELi0ELi0ELi1ELi1EEEviiP15ncclDevWorkColl.numbered_sgpr)
	.set .L_Z54ncclDevFunc_AllReduce_RING_SIMPLE_PreMulSum_bf16_0_1_1v.num_named_barrier, max(0, .L_ZN12_GLOBAL__N_17runRingI12hip_bfloat1613FuncPreMulSumIS1_E11ProtoSimpleILi2ELi2ELi0ELi1ELi0ELi0EELi0ELi0ELi1ELi1EEEviiP15ncclDevWorkColl.num_named_barrier)
	.set .L_Z54ncclDevFunc_AllReduce_RING_SIMPLE_PreMulSum_bf16_0_1_1v.private_seg_size, 32+max(.L_ZN12_GLOBAL__N_17runRingI12hip_bfloat1613FuncPreMulSumIS1_E11ProtoSimpleILi2ELi2ELi0ELi1ELi0ELi0EELi0ELi0ELi1ELi1EEEviiP15ncclDevWorkColl.private_seg_size)
	.set .L_Z54ncclDevFunc_AllReduce_RING_SIMPLE_PreMulSum_bf16_0_1_1v.uses_vcc, or(1, .L_ZN12_GLOBAL__N_17runRingI12hip_bfloat1613FuncPreMulSumIS1_E11ProtoSimpleILi2ELi2ELi0ELi1ELi0ELi0EELi0ELi0ELi1ELi1EEEviiP15ncclDevWorkColl.uses_vcc)
	.set .L_Z54ncclDevFunc_AllReduce_RING_SIMPLE_PreMulSum_bf16_0_1_1v.uses_flat_scratch, or(1, .L_ZN12_GLOBAL__N_17runRingI12hip_bfloat1613FuncPreMulSumIS1_E11ProtoSimpleILi2ELi2ELi0ELi1ELi0ELi0EELi0ELi0ELi1ELi1EEEviiP15ncclDevWorkColl.uses_flat_scratch)
	.set .L_Z54ncclDevFunc_AllReduce_RING_SIMPLE_PreMulSum_bf16_0_1_1v.has_dyn_sized_stack, or(0, .L_ZN12_GLOBAL__N_17runRingI12hip_bfloat1613FuncPreMulSumIS1_E11ProtoSimpleILi2ELi2ELi0ELi1ELi0ELi0EELi0ELi0ELi1ELi1EEEviiP15ncclDevWorkColl.has_dyn_sized_stack)
	.set .L_Z54ncclDevFunc_AllReduce_RING_SIMPLE_PreMulSum_bf16_0_1_1v.has_recursion, or(1, .L_ZN12_GLOBAL__N_17runRingI12hip_bfloat1613FuncPreMulSumIS1_E11ProtoSimpleILi2ELi2ELi0ELi1ELi0ELi0EELi0ELi0ELi1ELi1EEEviiP15ncclDevWorkColl.has_recursion)
	.set .L_Z54ncclDevFunc_AllReduce_RING_SIMPLE_PreMulSum_bf16_0_1_1v.has_indirect_call, or(0, .L_ZN12_GLOBAL__N_17runRingI12hip_bfloat1613FuncPreMulSumIS1_E11ProtoSimpleILi2ELi2ELi0ELi1ELi0ELi0EELi0ELi0ELi1ELi1EEEviiP15ncclDevWorkColl.has_indirect_call)
	.section	.AMDGPU.csdata,"",@progbits
; Function info:
; codeLenInByte = 900
; TotalNumSgprs: 98
; NumVgprs: 120
; ScratchSize: 336
; MemoryBound: 0
	.text
	.p2align	2                               ; -- Begin function _ZN12_GLOBAL__N_17runRingI12hip_bfloat1613FuncPreMulSumIS1_E11ProtoSimpleILi2ELi2ELi0ELi2ELi0ELi0EELi0ELi0ELi2ELi0EEEviiP15ncclDevWorkColl
	.type	_ZN12_GLOBAL__N_17runRingI12hip_bfloat1613FuncPreMulSumIS1_E11ProtoSimpleILi2ELi2ELi0ELi2ELi0ELi0EELi0ELi0ELi2ELi0EEEviiP15ncclDevWorkColl,@function
_ZN12_GLOBAL__N_17runRingI12hip_bfloat1613FuncPreMulSumIS1_E11ProtoSimpleILi2ELi2ELi0ELi2ELi0ELi0EELi0ELi0ELi2ELi0EEEviiP15ncclDevWorkColl: ; @_ZN12_GLOBAL__N_17runRingI12hip_bfloat1613FuncPreMulSumIS1_E11ProtoSimpleILi2ELi2ELi0ELi2ELi0ELi0EELi0ELi0ELi2ELi0EEEviiP15ncclDevWorkColl
; %bb.0:
	s_wait_loadcnt_dscnt 0x0
	s_wait_kmcnt 0x0
	s_mov_b32 s79, s33
	s_mov_b32 s33, s32
	s_or_saveexec_b32 s0, -1
	scratch_store_b32 off, v121, s33 offset:164 ; 4-byte Folded Spill
	s_wait_xcnt 0x0
	s_mov_b32 exec_lo, s0
	s_addk_co_i32 s32, 0xb0
	s_clause 0x28
	scratch_store_b32 off, v40, s33 offset:160
	; meta instruction
	scratch_store_b32 off, v41, s33 offset:156
	; meta instruction
	;; [unrolled: 2-line block ×40, first 2 shown]
	scratch_store_b32 off, v120, s33
	v_writelane_b32 v121, s30, 0
	v_writelane_b32 v121, s31, 1
	s_trap 2
	flat_load_b32 v7, v[2:3]
	ds_load_b32 v6, v0
	s_mov_b32 s0, exec_lo
                                        ; implicit-def: $vgpr14_vgpr15
                                        ; implicit-def: $vgpr16_vgpr17
                                        ; implicit-def: $vgpr4_vgpr5
	s_wait_dscnt 0x0
	v_readfirstlane_b32 s16, v6
	s_wait_loadcnt 0x0
	v_and_b32_e32 v8, 0xff, v7
	s_wait_xcnt 0x0
	s_delay_alu instid0(VALU_DEP_1)
	v_cmpx_ne_u32_e64 v6, v8
	s_xor_b32 s0, exec_lo, s0
	s_cbranch_execz .LBB6_6
; %bb.1:
	v_bfe_u32 v9, v7, 8, 8
	v_not_b32_e32 v8, v8
	s_mov_b32 s1, exec_lo
                                        ; implicit-def: $vgpr14_vgpr15
                                        ; implicit-def: $vgpr16_vgpr17
                                        ; implicit-def: $vgpr4_vgpr5
	s_delay_alu instid0(VALU_DEP_2)
	v_cmpx_ne_u32_e64 v6, v9
	s_xor_b32 s1, exec_lo, s1
	s_cbranch_execz .LBB6_3
; %bb.2:
	s_clause 0x1
	flat_load_b128 v[10:13], v[2:3] offset:72
	flat_load_b64 v[4:5], v[2:3] offset:96
	v_add_nc_u32_e32 v6, v6, v8
                                        ; implicit-def: $vgpr9
                                        ; implicit-def: $vgpr8
	s_wait_loadcnt_dscnt 0x101
	s_delay_alu instid0(VALU_DEP_1) | instskip(SKIP_3) | instid1(VALU_DEP_3)
	v_mad_nc_u64_u32 v[16:17], v12, v6, v[10:11]
	s_wait_loadcnt_dscnt 0x0
	v_lshrrev_b64 v[14:15], 13, v[4:5]
	v_mov_b64_e32 v[4:5], v[12:13]
	v_mad_u32 v7, v13, v6, v17
	v_ashrrev_i32_e32 v6, 31, v6
	s_delay_alu instid0(VALU_DEP_1)
	v_mad_u32 v17, v12, v6, v7
.LBB6_3:
	s_wait_xcnt 0x0
	s_and_not1_saveexec_b32 s1, s1
	s_cbranch_execz .LBB6_5
; %bb.4:
	s_clause 0x1
	flat_load_b128 v[10:13], v[2:3] offset:72
	flat_load_b128 v[4:7], v[2:3] offset:88
	s_wait_loadcnt_dscnt 0x0
	v_dual_add_nc_u32 v6, v9, v8 :: v_dual_lshrrev_b32 v14, 2, v7
	s_delay_alu instid0(VALU_DEP_1) | instskip(NEXT) | instid1(VALU_DEP_1)
	v_mad_nc_u64_u32 v[16:17], v12, v6, v[10:11]
	v_mad_u32 v8, v13, v6, v17
	v_ashrrev_i32_e32 v6, 31, v6
	s_delay_alu instid0(VALU_DEP_1)
	v_mad_u32 v17, v12, v6, v8
.LBB6_5:
	s_wait_xcnt 0x0
	s_or_b32 exec_lo, exec_lo, s1
.LBB6_6:
	s_and_not1_saveexec_b32 s0, s0
	s_cbranch_execz .LBB6_8
; %bb.7:
	s_clause 0x1
	flat_load_b64 v[6:7], v[2:3] offset:96
	flat_load_b64 v[4:5], v[2:3] offset:72
	v_mov_b64_e32 v[16:17], 0
	s_wait_loadcnt_dscnt 0x101
	v_lshlrev_b64_e32 v[14:15], 8, v[6:7]
.LBB6_8:
	s_wait_xcnt 0x0
	s_or_b32 exec_lo, exec_lo, s0
	s_trap 2
	ds_load_b64 v[6:7], v0
	s_mov_b32 s1, 0
	s_mov_b32 s2, exec_lo
	s_wait_dscnt 0x0
	v_cmp_ne_u32_e32 vcc_lo, -1, v6
	v_cndmask_b32_e64 v15, 0, 1, vcc_lo
	v_cmp_ne_u32_e32 vcc_lo, -1, v7
	s_delay_alu instid0(VALU_DEP_2) | instskip(NEXT) | instid1(VALU_DEP_1)
	v_add_co_ci_u32_e64 v8, null, 0, v15, vcc_lo
	v_lshlrev_b32_e32 v6, 1, v8
	s_delay_alu instid0(VALU_DEP_1)
	v_cmpx_le_u32_e64 v6, v1
	s_xor_b32 s42, exec_lo, s2
	s_cbranch_execz .LBB6_2232
; %bb.9:
	s_clause 0x3
	flat_load_b128 v[10:13], v[2:3] offset:16
	flat_load_b64 v[32:33], v[2:3] offset:104
	flat_load_u16 v7, v[2:3] offset:8
	flat_load_b32 v6, v[2:3] offset:4
	s_trap 2
	s_load_b32 s0, s[8:9], 0x0
	s_bfe_u32 s2, ttmp6, 0x4000c
	s_and_b32 s3, ttmp6, 15
	s_add_co_i32 s2, s2, 1
	s_getreg_b32 s4, hwreg(HW_REG_IB_STS2, 6, 4)
	s_mul_i32 s2, ttmp9, s2
	v_dual_mov_b32 v9, 0 :: v_dual_mov_b32 v30, 4
	s_add_co_i32 s3, s3, s2
	s_cmp_eq_u32 s4, 0
	s_cselect_b32 s2, ttmp9, s3
	s_wait_kmcnt 0x0
	s_cmp_lt_u32 s2, s0
	s_cselect_b32 s0, 12, 18
	s_delay_alu instid0(SALU_CYCLE_1)
	s_add_nc_u64 s[0:1], s[8:9], s[0:1]
	global_load_u16 v25, v9, s[0:1]
	s_wait_xcnt 0x0
	ds_load_b32 v9, v0
	s_mov_b32 s1, exec_lo
	s_wait_dscnt 0x0
	v_readfirstlane_b32 s6, v9
	v_cmpx_ge_u32_e64 v0, v15
	s_cbranch_execz .LBB6_19
; %bb.10:
	v_cmp_ge_u32_e64 s0, v0, v8
                                        ; implicit-def: $vgpr30
	s_and_saveexec_b32 s2, s0
	s_delay_alu instid0(SALU_CYCLE_1)
	s_xor_b32 s0, exec_lo, s2
	s_cbranch_execz .LBB6_16
; %bb.11:
	v_cndmask_b32_e64 v9, 0, 1, vcc_lo
	s_mov_b32 s2, exec_lo
	s_delay_alu instid0(VALU_DEP_1) | instskip(NEXT) | instid1(VALU_DEP_1)
	v_sub_nc_u32_e32 v9, v1, v9
	v_cmpx_ge_u32_e64 v0, v9
	s_xor_b32 s2, exec_lo, s2
; %bb.12:
                                        ; implicit-def: $vgpr8
; %bb.13:
	s_delay_alu instid0(SALU_CYCLE_1)
	s_or_saveexec_b32 s2, s2
	v_mov_b32_e32 v30, 16
	s_xor_b32 exec_lo, exec_lo, s2
; %bb.14:
	v_sub_nc_u32_e32 v8, v1, v8
	s_delay_alu instid0(VALU_DEP_1)
	v_cmp_lt_i32_e32 vcc_lo, v0, v8
	v_cndmask_b32_e64 v30, 32, 0, vcc_lo
; %bb.15:
	s_or_b32 exec_lo, exec_lo, s2
.LBB6_16:
	s_and_not1_saveexec_b32 s0, s0
; %bb.17:
	v_mov_b32_e32 v30, 8
; %bb.18:
	s_or_b32 exec_lo, exec_lo, s0
.LBB6_19:
	s_delay_alu instid0(SALU_CYCLE_1) | instskip(NEXT) | instid1(VALU_DEP_1)
	s_or_b32 exec_lo, exec_lo, s1
	v_dual_mov_b32 v36, -1 :: v_dual_bitop2_b32 v8, 36, v30 bitop3:0x40
	s_delay_alu instid0(VALU_DEP_1)
	v_cmp_ne_u32_e32 vcc_lo, 0, v8
	s_and_saveexec_b32 s0, vcc_lo
	s_cbranch_execz .LBB6_21
; %bb.20:
	s_trap 2
	ds_load_b32 v36, v0
.LBB6_21:
	s_or_b32 exec_lo, exec_lo, s0
	v_and_b32_e32 v8, 24, v30
	s_mov_b32 s1, exec_lo
	s_delay_alu instid0(VALU_DEP_1)
	v_cmpx_ne_u32_e32 0, v8
	s_cbranch_execz .LBB6_23
; %bb.22:
	s_trap 2
	s_wait_dscnt 0x0
	ds_load_b32 v36, v0
.LBB6_23:
	s_or_b32 exec_lo, exec_lo, s1
	s_wait_loadcnt 0x1
	v_lshrrev_b64 v[8:9], 31, v[6:7]
	v_mov_b64_e32 v[20:21], 0
	v_mov_b64_e32 v[6:7], 0
                                        ; implicit-def: $vgpr18_vgpr19
                                        ; implicit-def: $vgpr24
                                        ; implicit-def: $vgpr98_vgpr99
                                        ; implicit-def: $vgpr26_vgpr27
                                        ; implicit-def: $vgpr34_vgpr35
                                        ; implicit-def: $vgpr22_vgpr23
	s_delay_alu instid0(VALU_DEP_3)
	v_and_b32_e32 v37, 3, v8
	s_and_saveexec_b32 s0, vcc_lo
	s_cbranch_execz .LBB6_33
; %bb.24:
	s_trap 2
	ds_load_b64 v[6:7], v0
	v_and_b32_e32 v8, 0xffff, v37
	s_mov_b32 s1, exec_lo
                                        ; implicit-def: $vgpr18_vgpr19
	s_wait_dscnt 0x0
	v_readfirstlane_b32 s2, v6
	v_readfirstlane_b32 s3, v7
	flat_load_b64 v[6:7], v36, s[2:3] scale_offset
	s_wait_loadcnt_dscnt 0x0
	v_mad_nc_u64_u32 v[8:9], 0xa8, v8, v[6:7]
	flat_load_b32 v6, v[8:9] offset:640
	s_wait_loadcnt_dscnt 0x0
	v_cmpx_eq_u32_e32 1, v6
	s_cbranch_execz .LBB6_26
; %bb.25:
	flat_load_b64 v[18:19], v[8:9] offset:648
	v_or_b32_e32 v30, 0x2000, v30
	s_wait_loadcnt_dscnt 0x0
	flat_load_b64 v[6:7], v[18:19]
	s_trap 2
	s_wait_loadcnt_dscnt 0x0
	ds_store_b64 v0, v[6:7]
	flat_load_b64 v[6:7], v[18:19] offset:8
	s_wait_loadcnt_dscnt 0x0
	ds_store_b64 v0, v[6:7]
	flat_load_b64 v[6:7], v[18:19] offset:16
	s_wait_loadcnt_dscnt 0x0
	ds_store_b64 v0, v[6:7]
.LBB6_26:
	s_wait_xcnt 0x0
	s_or_b32 exec_lo, exec_lo, s1
	flat_load_b64 v[6:7], v[8:9] offset:608
	s_mov_b32 s1, exec_lo
                                        ; implicit-def: $vgpr22_vgpr23
	s_wait_loadcnt_dscnt 0x0
	v_add_nc_u64_e32 v[98:99], 3, v[6:7]
	v_and_b32_e32 v6, 32, v30
	s_delay_alu instid0(VALU_DEP_2) | instskip(SKIP_1) | instid1(VALU_DEP_2)
	v_and_b32_e32 v98, -4, v98
	s_wait_xcnt 0x0
	v_cmpx_ne_u32_e32 0, v6
	s_cbranch_execz .LBB6_28
; %bb.27:
	flat_load_b64 v[22:23], v[8:9] offset:560
	global_wb scope:SCOPE_SYS
	s_wait_storecnt 0x0
	s_wait_xcnt 0x0
	s_wait_loadcnt_dscnt 0x0
	flat_store_b64 v[22:23], v[98:99] scope:SCOPE_SYS
.LBB6_28:
	s_wait_xcnt 0x0
	s_or_b32 exec_lo, exec_lo, s1
	v_and_b32_e32 v24, 4, v30
	v_add_nc_u64_e32 v[20:21], 0x1f8, v[8:9]
	v_mov_b64_e32 v[6:7], 0
                                        ; implicit-def: $vgpr26_vgpr27
                                        ; implicit-def: $vgpr34_vgpr35
	s_delay_alu instid0(VALU_DEP_3)
	v_cmp_ne_u32_e32 vcc_lo, 0, v24
                                        ; implicit-def: $vgpr24
	s_and_saveexec_b32 s1, vcc_lo
	s_cbranch_execz .LBB6_32
; %bb.29:
	v_and_b32_e32 v6, 0x800, v30
	s_mov_b32 s2, exec_lo
	s_delay_alu instid0(VALU_DEP_1)
	v_cmpx_eq_u32_e32 0, v6
	s_cbranch_execz .LBB6_31
; %bb.30:
	s_trap 2
	ds_store_b64 v0, v[20:21]
.LBB6_31:
	s_or_b32 exec_lo, exec_lo, s2
	flat_load_b64 v[22:23], v[8:9] offset:552
	s_wait_loadcnt_dscnt 0x0
	flat_load_b64 v[34:35], v[22:23] scope:SCOPE_SYS
	s_clause 0x2
	flat_load_b32 v24, v[8:9] offset:576
	flat_load_b64 v[6:7], v[8:9] offset:600
	flat_load_b64 v[26:27], v[8:9] offset:520
	s_wait_xcnt 0x0
	v_or_b32_e32 v8, 0x100, v30
	s_wait_loadcnt_dscnt 0x101
	v_cmp_eq_u64_e32 vcc_lo, 0, v[6:7]
	s_delay_alu instid0(VALU_DEP_2)
	v_dual_ashrrev_i32 v24, 1, v24 :: v_dual_cndmask_b32 v30, v8, v30, vcc_lo
.LBB6_32:
	s_or_b32 exec_lo, exec_lo, s1
.LBB6_33:
	s_delay_alu instid0(SALU_CYCLE_1) | instskip(NEXT) | instid1(VALU_DEP_1)
	s_or_b32 exec_lo, exec_lo, s0
	v_and_b32_e32 v8, 24, v30
	s_mov_b32 s0, exec_lo
                                        ; implicit-def: $vgpr28_vgpr29
	s_delay_alu instid0(VALU_DEP_1)
	v_cmpx_ne_u32_e32 0, v8
	s_cbranch_execz .LBB6_41
; %bb.34:
	s_trap 2
	ds_load_b64 v[6:7], v0
	v_and_b32_e32 v8, 0xffff, v37
	v_or_b32_e32 v28, 0x100, v30
	s_wait_dscnt 0x0
	v_readfirstlane_b32 s2, v6
	v_readfirstlane_b32 s3, v7
	flat_load_b64 v[6:7], v36, s[2:3] scale_offset
	s_wait_loadcnt_dscnt 0x0
	v_mad_nc_u64_u32 v[20:21], 0xa8, v8, v[6:7]
	flat_load_b128 v[6:9], v[20:21] offset:96
	s_wait_loadcnt_dscnt 0x0
	v_cmp_eq_u64_e32 vcc_lo, 0, v[6:7]
	v_cndmask_b32_e32 v30, v28, v30, vcc_lo
	s_delay_alu instid0(VALU_DEP_1) | instskip(NEXT) | instid1(VALU_DEP_1)
	v_and_b32_e32 v28, 16, v30
	v_cmp_ne_u32_e32 vcc_lo, 0, v28
                                        ; implicit-def: $vgpr28_vgpr29
	s_wait_xcnt 0x0
	s_and_saveexec_b32 s1, vcc_lo
	s_cbranch_execz .LBB6_36
; %bb.35:
	s_clause 0x2
	flat_load_b64 v[22:23], v[20:21] offset:48
	flat_load_b64 v[28:29], v[20:21] offset:120
	;; [unrolled: 1-line block ×3, first 2 shown]
.LBB6_36:
	s_wait_xcnt 0x0
	s_or_b32 exec_lo, exec_lo, s1
	v_add_nc_u64_e32 v[98:99], 3, v[8:9]
	v_and_b32_e32 v8, 8, v30
	s_mov_b32 s1, exec_lo
	s_delay_alu instid0(VALU_DEP_2) | instskip(NEXT) | instid1(VALU_DEP_2)
	v_and_b32_e32 v98, -4, v98
	v_cmpx_ne_u32_e32 0, v8
	s_cbranch_execz .LBB6_40
; %bb.37:
	v_and_b32_e32 v8, 0x800, v30
	s_mov_b32 s2, exec_lo
	s_delay_alu instid0(VALU_DEP_1)
	v_cmpx_eq_u32_e32 0, v8
	s_cbranch_execz .LBB6_39
; %bb.38:
	s_trap 2
	ds_store_b64 v0, v[20:21]
.LBB6_39:
	s_or_b32 exec_lo, exec_lo, s2
	s_wait_loadcnt_dscnt 0x202
	flat_load_b64 v[22:23], v[20:21] offset:56
	s_wait_loadcnt_dscnt 0x0
	flat_load_b64 v[34:35], v[22:23] scope:SCOPE_SYS
	s_clause 0x1
	flat_load_b32 v8, v[20:21] offset:72
	flat_load_b64 v[26:27], v[20:21] offset:16
	s_wait_loadcnt_dscnt 0x101
	v_ashrrev_i32_e32 v24, 1, v8
.LBB6_40:
	s_wait_xcnt 0x0
	s_or_b32 exec_lo, exec_lo, s1
.LBB6_41:
	s_delay_alu instid0(SALU_CYCLE_1)
	s_or_b32 exec_lo, exec_lo, s0
	v_cmp_eq_u32_e64 s0, 0, v0
	s_and_saveexec_b32 s1, s0
	s_cbranch_execz .LBB6_43
; %bb.42:
	flat_load_b64 v[8:9], v[2:3] offset:32
	ds_store_2addr_b64 v0, v[12:13], v[10:11] offset1:1
	s_trap 2
	s_wait_loadcnt_dscnt 0x1
	ds_store_b64 v0, v[8:9]
	ds_store_b64 v0, v[32:33]
.LBB6_43:
	s_wait_xcnt 0x0
	s_or_b32 exec_lo, exec_lo, s1
	v_mov_b64_e32 v[32:33], 0
	s_wait_loadcnt 0x0
	v_and_b32_e32 v60, 0xffff, v25
	s_mov_b32 s43, exec_lo
	v_cmpx_lt_i64_e32 0, v[4:5]
	s_cbranch_execz .LBB6_2198
; %bb.44:
	flat_load_b32 v8, v[2:3] offset:4
	s_wait_xcnt 0x0
	v_and_b32_e32 v2, 0x1fffff00, v14
	v_dual_mov_b32 v3, 0 :: v_dual_bitop2_b32 v9, 31, v31 bitop3:0x40
	s_ashr_i32 s17, s16, 31
	v_dual_mov_b32 v63, 1 :: v_dual_lshlrev_b32 v10, 1, v1
	s_delay_alu instid0(VALU_DEP_2)
	v_mul_u64_e32 v[50:51], s[16:17], v[2:3]
	s_ashr_i32 s7, s6, 31
	s_wait_dscnt 0x1
	v_dual_ashrrev_i32 v25, 31, v24 :: v_dual_lshrrev_b32 v36, 5, v1
	s_lshr_b32 s7, s7, 29
	v_and_b32_e32 v64, 0x3fc0, v10
	s_add_co_i32 s13, s6, s7
	s_add_co_i32 s44, s16, s16
	s_not_b32 s12, s16
	v_dual_mov_b32 v55, v3 :: v_dual_lshlrev_b32 v54, 9, v36
	s_ashr_i32 s14, s13, 4
	s_cmp_gt_i32 s16, 0
	v_mov_b64_e32 v[96:97], v[2:3]
	s_cselect_b32 s12, s12, -1
	s_ashr_i32 s13, s13, 31
	v_subrev_nc_u32_e32 v82, 64, v64
	v_dual_mov_b32 v71, v3 :: v_dual_add_nc_u32 v80, 0xfffffe00, v54
	s_lshr_b32 s13, s13, 28
	v_dual_lshrrev_b32 v62, 5, v0 :: v_dual_bitop2_b32 v61, 31, v0 bitop3:0x40
	s_add_co_i32 s24, s12, s44
	s_add_co_i32 s14, s14, s13
	s_ashr_i32 s25, s24, 31
	s_ashr_i32 s45, s14, 4
	v_ashrrev_i32_e32 v81, 31, v80
	s_cmp_gt_i32 s16, 2
	v_cmp_eq_u32_e64 s6, 0, v9
	v_dual_lshlrev_b32 v9, 4, v61 :: v_dual_mov_b32 v53, v3
	s_cselect_b32 s46, -1, 0
	s_add_co_i32 s13, s16, 1
	v_cmp_ge_u32_e32 vcc_lo, v0, v1
	v_mov_b64_e32 v[38:39], 0
	v_cmp_eq_u64_e64 s4, 0, v[28:29]
	v_cmp_ne_u64_e64 s5, 0, v[28:29]
	v_mov_b64_e32 v[48:49], 0
	v_mov_b64_e32 v[32:33], 0
	v_add_nc_u64_e32 v[84:85], 0x200, v[80:81]
	v_cmp_eq_u32_e64 s1, 32, v1
	v_cmp_ne_u32_e64 s2, 32, v1
	v_cmp_ne_u32_e64 s3, v1, v60
	v_dual_mov_b32 v72, 0x90 :: v_dual_mov_b32 v37, v3
	v_dual_mov_b32 v73, 0x88 :: v_dual_lshlrev_b32 v52, 11, v36
	v_cmp_eq_u32_e64 s7, 0, v61
	v_cmp_lt_u32_e64 s10, v61, v15
	v_dual_mov_b32 v65, v3 :: v_dual_mov_b32 v67, v3
	v_cmp_le_u32_e64 s11, v61, v15
	v_dual_mov_b32 v69, v3 :: v_dual_lshlrev_b32 v68, 10, v36
	v_lshl_or_b32 v66, v62, 10, v9
	v_lshl_or_b32 v70, v62, 11, v9
	s_mov_b32 s19, 0
	s_mov_b64 s[20:21], 0xffffffff
	s_add_nc_u64 s[22:23], s[16:17], -1
	s_mov_b32 s59, 0
	s_trap 2
	v_ashrrev_i32_e32 v83, 31, v82
	s_delay_alu instid0(VALU_DEP_1) | instskip(SKIP_2) | instid1(VALU_DEP_1)
	v_add_nc_u64_e32 v[86:87], 64, v[82:83]
	s_wait_loadcnt_dscnt 0x0
	v_and_b32_e32 v2, 1, v8
	v_cmp_eq_u32_e64 s12, 1, v2
	s_xor_b32 s47, s12, -1
	s_cmp_ge_i32 s13, s16
	s_cselect_b32 s14, s16, 0
	s_add_co_i32 s56, s16, -2
	s_sub_co_i32 s28, s13, s14
	s_xor_b32 s57, vcc_lo, -1
	s_ashr_i32 s26, s17, 31
	s_sub_co_i32 s58, 0, s16
	s_ashr_i32 s29, s28, 31
	s_branch .LBB6_47
.LBB6_45:                               ;   in Loop: Header=BB6_47 Depth=1
	s_or_b32 exec_lo, exec_lo, s15
.LBB6_46:                               ;   in Loop: Header=BB6_47 Depth=1
	s_delay_alu instid0(SALU_CYCLE_1) | instskip(SKIP_1) | instid1(VALU_DEP_1)
	s_or_b32 exec_lo, exec_lo, s14
	v_add_nc_u64_e32 v[48:49], v[48:49], v[50:51]
	v_cmp_ge_i64_e32 vcc_lo, v[48:49], v[4:5]
	s_or_b32 s59, vcc_lo, s59
	s_delay_alu instid0(SALU_CYCLE_1)
	s_and_not1_b32 exec_lo, exec_lo, s59
	s_cbranch_execz .LBB6_2197
.LBB6_47:                               ; =>This Loop Header: Depth=1
                                        ;     Child Loop BB6_57 Depth 2
                                        ;       Child Loop BB6_65 Depth 3
                                        ;       Child Loop BB6_89 Depth 3
	;; [unrolled: 1-line block ×9, first 2 shown]
                                        ;     Child Loop BB6_395 Depth 2
                                        ;       Child Loop BB6_401 Depth 3
                                        ;       Child Loop BB6_425 Depth 3
                                        ;       Child Loop BB6_450 Depth 3
                                        ;     Child Loop BB6_469 Depth 2
                                        ;       Child Loop BB6_472 Depth 3
                                        ;         Child Loop BB6_480 Depth 4
                                        ;         Child Loop BB6_508 Depth 4
	;; [unrolled: 1-line block ×9, first 2 shown]
                                        ;       Child Loop BB6_880 Depth 3
                                        ;         Child Loop BB6_886 Depth 4
                                        ;         Child Loop BB6_914 Depth 4
	;; [unrolled: 1-line block ×3, first 2 shown]
                                        ;     Child Loop BB6_955 Depth 2
                                        ;       Child Loop BB6_963 Depth 3
                                        ;       Child Loop BB6_991 Depth 3
	;; [unrolled: 1-line block ×5, first 2 shown]
                                        ;         Child Loop BB6_1235 Depth 4
                                        ;       Child Loop BB6_1243 Depth 3
                                        ;       Child Loop BB6_1311 Depth 3
                                        ;         Child Loop BB6_1320 Depth 4
                                        ;       Child Loop BB6_1333 Depth 3
                                        ;       Child Loop BB6_1466 Depth 3
	;; [unrolled: 1-line block ×6, first 2 shown]
                                        ;     Child Loop BB6_1660 Depth 2
                                        ;       Child Loop BB6_1666 Depth 3
                                        ;       Child Loop BB6_1694 Depth 3
	;; [unrolled: 1-line block ×3, first 2 shown]
                                        ;     Child Loop BB6_1735 Depth 2
                                        ;       Child Loop BB6_1738 Depth 3
                                        ;         Child Loop BB6_1746 Depth 4
                                        ;         Child Loop BB6_1774 Depth 4
	;; [unrolled: 1-line block ×5, first 2 shown]
                                        ;           Child Loop BB6_1826 Depth 5
                                        ;         Child Loop BB6_1833 Depth 4
                                        ;         Child Loop BB6_1838 Depth 4
                                        ;           Child Loop BB6_1839 Depth 5
                                        ;         Child Loop BB6_1851 Depth 4
                                        ;         Child Loop BB6_1856 Depth 4
	;; [unrolled: 1-line block ×6, first 2 shown]
                                        ;       Child Loop BB6_1915 Depth 3
                                        ;         Child Loop BB6_1921 Depth 4
                                        ;         Child Loop BB6_1949 Depth 4
	;; [unrolled: 1-line block ×3, first 2 shown]
                                        ;     Child Loop BB6_1993 Depth 2
                                        ;       Child Loop BB6_2001 Depth 3
                                        ;       Child Loop BB6_2025 Depth 3
	;; [unrolled: 1-line block ×9, first 2 shown]
                                        ;     Child Loop BB6_2131 Depth 2
                                        ;       Child Loop BB6_2137 Depth 3
                                        ;       Child Loop BB6_2161 Depth 3
	;; [unrolled: 1-line block ×3, first 2 shown]
	v_sub_nc_u64_e32 v[100:101], v[4:5], v[48:49]
	s_mov_b32 s40, exec_lo
	s_delay_alu instid0(VALU_DEP_1)
	v_cmpx_lt_i64_e64 v[100:101], v[50:51]
	s_cbranch_execz .LBB6_53
; %bb.48:                               ;   in Loop: Header=BB6_47 Depth=1
	v_add_nc_u64_e32 v[8:9], s[22:23], v[100:101]
	s_delay_alu instid0(VALU_DEP_1) | instskip(NEXT) | instid1(VALU_DEP_1)
	v_dual_mov_b32 v10, v3 :: v_dual_bitop2_b32 v11, s17, v9 bitop3:0x54
	v_cmp_ne_u64_e32 vcc_lo, 0, v[10:11]
                                        ; implicit-def: $vgpr10_vgpr11
	s_and_saveexec_b32 s13, vcc_lo
	s_delay_alu instid0(SALU_CYCLE_1)
	s_xor_b32 s41, exec_lo, s13
	s_cbranch_execz .LBB6_50
; %bb.49:                               ;   in Loop: Header=BB6_47 Depth=1
	s_mov_b32 s27, s26
	v_dual_mov_b32 v15, v3 :: v_dual_ashrrev_i32 v10, 31, v9
	s_add_nc_u64 s[14:15], s[16:17], s[26:27]
	v_mov_b32_e32 v103, v3
	s_xor_b64 s[14:15], s[14:15], s[26:27]
	s_delay_alu instid0(VALU_DEP_2) | instskip(SKIP_3) | instid1(VALU_DEP_1)
	v_mov_b32_e32 v11, v10
	s_cvt_f32_u32 s13, s14
	s_cvt_f32_u32 s18, s15
	s_sub_nc_u64 s[62:63], 0, s[14:15]
	v_add_nc_u64_e32 v[8:9], v[8:9], v[10:11]
	s_delay_alu instid0(SALU_CYCLE_1) | instskip(NEXT) | instid1(SALU_CYCLE_3)
	s_fmamk_f32 s13, s18, 0x4f800000, s13
	v_s_rcp_f32 s13, s13
	s_delay_alu instid0(VALU_DEP_1) | instskip(NEXT) | instid1(VALU_DEP_2)
	v_xor_b32_e32 v2, v8, v10
	v_xor_b32_e32 v14, v9, v10
	;; [unrolled: 1-line block ×3, first 2 shown]
	s_delay_alu instid0(TRANS32_DEP_1) | instskip(NEXT) | instid1(SALU_CYCLE_3)
	s_mul_f32 s13, s13, 0x5f7ffffc
	s_mul_f32 s18, s13, 0x2f800000
	s_delay_alu instid0(SALU_CYCLE_3) | instskip(NEXT) | instid1(SALU_CYCLE_3)
	s_trunc_f32 s18, s18
	s_fmamk_f32 s13, s18, 0xcf800000, s13
	s_cvt_u32_f32 s61, s18
	s_delay_alu instid0(SALU_CYCLE_2) | instskip(NEXT) | instid1(SALU_CYCLE_3)
	s_cvt_u32_f32 s60, s13
	s_mul_u64 s[72:73], s[62:63], s[60:61]
	s_delay_alu instid0(SALU_CYCLE_1)
	s_mul_hi_u32 s75, s60, s73
	s_mul_i32 s74, s60, s73
	s_mul_hi_u32 s18, s60, s72
	s_mul_i32 s27, s61, s72
	s_add_nc_u64 s[74:75], s[18:19], s[74:75]
	s_mul_hi_u32 s13, s61, s72
	s_mul_hi_u32 s76, s61, s73
	s_add_co_u32 s18, s74, s27
	s_add_co_ci_u32 s18, s75, s13
	s_mul_i32 s72, s61, s73
	s_add_co_ci_u32 s73, s76, 0
	s_delay_alu instid0(SALU_CYCLE_1) | instskip(NEXT) | instid1(SALU_CYCLE_1)
	s_add_nc_u64 s[72:73], s[18:19], s[72:73]
	s_add_co_u32 s60, s60, s72
	s_cselect_b32 s13, -1, 0
	s_delay_alu instid0(SALU_CYCLE_1) | instskip(SKIP_1) | instid1(SALU_CYCLE_1)
	s_cmp_lg_u32 s13, 0
	s_add_co_ci_u32 s61, s61, s73
	s_mul_u64 s[62:63], s[62:63], s[60:61]
	s_delay_alu instid0(SALU_CYCLE_1)
	s_mul_hi_u32 s73, s60, s63
	s_mul_i32 s72, s60, s63
	s_mul_hi_u32 s18, s60, s62
	s_mul_i32 s27, s61, s62
	s_add_nc_u64 s[72:73], s[18:19], s[72:73]
	s_mul_hi_u32 s13, s61, s62
	s_mul_hi_u32 s74, s61, s63
	s_add_co_u32 s18, s72, s27
	s_add_co_ci_u32 s18, s73, s13
	s_mul_i32 s62, s61, s63
	s_add_co_ci_u32 s63, s74, 0
	s_delay_alu instid0(SALU_CYCLE_1) | instskip(NEXT) | instid1(SALU_CYCLE_1)
	s_add_nc_u64 s[62:63], s[18:19], s[62:63]
	s_add_co_u32 s60, s60, s62
	s_cselect_b32 s13, -1, 0
	v_mul_hi_u32 v102, v2, s60
	s_cmp_lg_u32 s13, 0
	s_add_co_ci_u32 s18, s61, s63
	s_and_b64 s[62:63], s[60:61], s[20:21]
	v_mul_u64_e32 v[12:13], s[18:19], v[2:3]
	v_mul_u64_e32 v[8:9], s[62:63], v[14:15]
	;; [unrolled: 1-line block ×3, first 2 shown]
	s_delay_alu instid0(VALU_DEP_3) | instskip(NEXT) | instid1(VALU_DEP_1)
	v_add_nc_u64_e32 v[12:13], v[102:103], v[12:13]
	v_add_co_u32 v8, vcc_lo, v12, v8
	s_delay_alu instid0(VALU_DEP_2) | instskip(NEXT) | instid1(VALU_DEP_4)
	v_add_co_ci_u32_e32 v102, vcc_lo, v13, v9, vcc_lo
	v_add_co_ci_u32_e32 v97, vcc_lo, 0, v97, vcc_lo
	s_delay_alu instid0(VALU_DEP_1) | instskip(NEXT) | instid1(VALU_DEP_1)
	v_add_nc_u64_e32 v[8:9], v[102:103], v[96:97]
	v_mul_u64_e32 v[12:13], s[14:15], v[8:9]
	s_delay_alu instid0(VALU_DEP_1) | instskip(NEXT) | instid1(VALU_DEP_2)
	v_sub_nc_u32_e32 v11, v14, v13
	v_sub_co_u32 v2, vcc_lo, v2, v12
	s_delay_alu instid0(VALU_DEP_1) | instskip(NEXT) | instid1(VALU_DEP_3)
	v_sub_co_ci_u32_e64 v96, null, v14, v13, vcc_lo
	v_subrev_co_ci_u32_e64 v11, null, s15, v11, vcc_lo
	s_delay_alu instid0(VALU_DEP_3) | instskip(SKIP_1) | instid1(VALU_DEP_3)
	v_sub_co_u32 v12, s13, v2, s14
	v_add_nc_u64_e32 v[14:15], 1, v[8:9]
	v_subrev_co_ci_u32_e64 v11, null, 0, v11, s13
	s_delay_alu instid0(VALU_DEP_3) | instskip(SKIP_1) | instid1(VALU_DEP_3)
	v_cmp_le_u32_e32 vcc_lo, s14, v12
	v_cndmask_b32_e64 v12, 0, -1, vcc_lo
	v_cmp_le_u32_e32 vcc_lo, s15, v11
	v_cndmask_b32_e64 v13, 0, -1, vcc_lo
	;; [unrolled: 2-line block ×4, first 2 shown]
	v_cmp_eq_u32_e32 vcc_lo, s15, v11
	v_cndmask_b32_e32 v11, v13, v12, vcc_lo
	v_cmp_eq_u32_e32 vcc_lo, s15, v96
	v_add_nc_u64_e32 v[12:13], 2, v[8:9]
	v_cndmask_b32_e32 v2, v97, v2, vcc_lo
	s_delay_alu instid0(VALU_DEP_4) | instskip(NEXT) | instid1(VALU_DEP_2)
	v_cmp_ne_u32_e32 vcc_lo, 0, v11
	v_cmp_ne_u32_e64 s13, 0, v2
	s_delay_alu instid0(VALU_DEP_4) | instskip(NEXT) | instid1(VALU_DEP_1)
	v_dual_cndmask_b32 v11, v15, v13 :: v_dual_cndmask_b32 v2, v14, v12
	v_dual_cndmask_b32 v9, v9, v11, s13 :: v_dual_cndmask_b32 v2, v8, v2, s13
	s_delay_alu instid0(VALU_DEP_1) | instskip(NEXT) | instid1(VALU_DEP_2)
	v_dual_mov_b32 v11, v10 :: v_dual_bitop2_b32 v9, v9, v10 bitop3:0x14
	v_xor_b32_e32 v8, v2, v10
	s_delay_alu instid0(VALU_DEP_1)
	v_sub_nc_u64_e32 v[10:11], v[8:9], v[10:11]
                                        ; implicit-def: $vgpr8_vgpr9
.LBB6_50:                               ;   in Loop: Header=BB6_47 Depth=1
	s_and_not1_saveexec_b32 s13, s41
	s_cbranch_execz .LBB6_52
; %bb.51:                               ;   in Loop: Header=BB6_47 Depth=1
	v_cvt_f32_u32_e32 v2, s16
	s_delay_alu instid0(VALU_DEP_1) | instskip(SKIP_1) | instid1(TRANS32_DEP_1)
	v_rcp_iflag_f32_e32 v2, v2
	v_nop
	v_mul_f32_e32 v2, 0x4f7ffffe, v2
	s_delay_alu instid0(VALU_DEP_1) | instskip(NEXT) | instid1(VALU_DEP_1)
	v_cvt_u32_f32_e32 v2, v2
	v_mul_lo_u32 v9, s58, v2
	s_delay_alu instid0(VALU_DEP_1) | instskip(NEXT) | instid1(VALU_DEP_1)
	v_mul_hi_u32 v9, v2, v9
	v_add_nc_u32_e32 v2, v2, v9
	s_delay_alu instid0(VALU_DEP_1) | instskip(NEXT) | instid1(VALU_DEP_1)
	v_mul_hi_u32 v2, v8, v2
	v_mul_lo_u32 v9, v2, s16
	s_delay_alu instid0(VALU_DEP_1) | instskip(NEXT) | instid1(VALU_DEP_1)
	v_dual_sub_nc_u32 v8, v8, v9 :: v_dual_add_nc_u32 v9, 1, v2
	v_subrev_nc_u32_e32 v10, s16, v8
	v_cmp_le_u32_e32 vcc_lo, s16, v8
	s_delay_alu instid0(VALU_DEP_2) | instskip(NEXT) | instid1(VALU_DEP_1)
	v_dual_cndmask_b32 v8, v8, v10, vcc_lo :: v_dual_cndmask_b32 v2, v2, v9, vcc_lo
	v_cmp_le_u32_e32 vcc_lo, s16, v8
	s_delay_alu instid0(VALU_DEP_2) | instskip(NEXT) | instid1(VALU_DEP_1)
	v_add_nc_u32_e32 v9, 1, v2
	v_cndmask_b32_e32 v2, v2, v9, vcc_lo
	s_delay_alu instid0(VALU_DEP_1)
	v_mov_b64_e32 v[10:11], v[2:3]
.LBB6_52:                               ;   in Loop: Header=BB6_47 Depth=1
	s_or_b32 exec_lo, exec_lo, s13
	s_delay_alu instid0(VALU_DEP_1) | instskip(NEXT) | instid1(VALU_DEP_1)
	v_add_nc_u64_e32 v[96:97], 7, v[10:11]
	v_and_b32_e32 v96, -8, v96
.LBB6_53:                               ;   in Loop: Header=BB6_47 Depth=1
	s_or_b32 exec_lo, exec_lo, s40
	s_delay_alu instid0(VALU_DEP_1) | instskip(SKIP_2) | instid1(VALU_DEP_3)
	v_mul_u64_e32 v[112:113], s[24:25], v[96:97]
	v_add_nc_u64_e32 v[102:103], v[48:49], v[16:17]
	v_mov_b32_e32 v14, 0
	v_sub_nc_u64_e32 v[8:9], v[100:101], v[112:113]
	s_delay_alu instid0(VALU_DEP_1) | instskip(NEXT) | instid1(VALU_DEP_1)
	v_min_i64 v[8:9], v[96:97], v[8:9]
	v_max_i32_e32 v44, 0, v8
	v_cmp_lt_i32_e32 vcc_lo, 0, v8
	s_delay_alu instid0(VALU_DEP_2) | instskip(SKIP_1) | instid1(VALU_DEP_1)
	v_add_nc_u32_e32 v2, 31, v44
	s_and_b32 s13, s57, vcc_lo
	v_lshrrev_b32_e32 v2, 1, v2
	s_delay_alu instid0(VALU_DEP_1) | instskip(NEXT) | instid1(VALU_DEP_1)
	v_and_b32_e32 v9, 0x3ffffff0, v2
	v_dual_mov_b32 v2, 0 :: v_dual_max_i32 v12, s45, v9
	s_and_saveexec_b32 s14, s13
	s_cbranch_execz .LBB6_391
; %bb.54:                               ;   in Loop: Header=BB6_47 Depth=1
	v_mov_b32_e32 v14, 0
	s_mov_b32 s27, 1
	s_mov_b32 s18, -1
	s_mov_b32 s15, 0
	s_branch .LBB6_57
.LBB6_55:                               ;   in Loop: Header=BB6_57 Depth=2
	s_wait_xcnt 0x0
	s_or_b32 exec_lo, exec_lo, s40
	v_add_nc_u64_e32 v[98:99], 2, v[98:99]
	global_wb scope:SCOPE_SYS
	s_wait_storecnt 0x0
	s_wait_loadcnt_dscnt 0x0
	flat_store_b64 v[22:23], v[98:99] scope:SCOPE_SYS
.LBB6_56:                               ;   in Loop: Header=BB6_57 Depth=2
	s_wait_xcnt 0x0
	s_or_b32 exec_lo, exec_lo, s13
	v_dual_add_nc_u32 v14, v12, v14 :: v_dual_mov_b32 v2, s27
	s_xor_b32 s13, s18, -1
	s_mov_b32 s18, 0
	s_mov_b32 s27, 2
	s_delay_alu instid0(VALU_DEP_1) | instskip(SKIP_1) | instid1(SALU_CYCLE_1)
	v_cmp_ge_i32_e32 vcc_lo, v14, v44
	s_or_b32 s13, s13, vcc_lo
	s_and_b32 s13, exec_lo, s13
	s_delay_alu instid0(SALU_CYCLE_1) | instskip(NEXT) | instid1(SALU_CYCLE_1)
	s_or_b32 s15, s13, s15
	s_and_not1_b32 exec_lo, exec_lo, s15
	s_cbranch_execz .LBB6_390
.LBB6_57:                               ;   Parent Loop BB6_47 Depth=1
                                        ; =>  This Loop Header: Depth=2
                                        ;       Child Loop BB6_65 Depth 3
                                        ;       Child Loop BB6_89 Depth 3
	;; [unrolled: 1-line block ×9, first 2 shown]
	s_and_saveexec_b32 s13, s0
	s_cbranch_execz .LBB6_59
; %bb.58:                               ;   in Loop: Header=BB6_57 Depth=2
	s_trap 2
	ds_load_b64 v[8:9], v0
	v_ashrrev_i32_e32 v15, 31, v14
	s_wait_dscnt 0x0
	v_lshl_add_u64 v[8:9], v[102:103], 1, v[8:9]
	s_delay_alu instid0(VALU_DEP_1) | instskip(NEXT) | instid1(VALU_DEP_1)
	v_lshl_add_u64 v[8:9], v[112:113], 1, v[8:9]
	v_lshl_add_u64 v[8:9], v[14:15], 1, v[8:9]
	ds_store_b64 v0, v[8:9]
	ds_store_b64 v0, v[38:39]
.LBB6_59:                               ;   in Loop: Header=BB6_57 Depth=2
	s_or_b32 exec_lo, exec_lo, s13
	v_sub_nc_u32_e32 v2, v44, v14
	v_and_b32_e32 v8, 8, v30
	s_mov_b32 s40, exec_lo
	s_delay_alu instid0(VALU_DEP_2) | instskip(NEXT) | instid1(VALU_DEP_2)
	v_min_i32_e32 v12, v12, v2
	v_cmpx_ne_u32_e32 0, v8
	s_cbranch_execz .LBB6_81
; %bb.60:                               ;   in Loop: Header=BB6_57 Depth=2
	s_wait_loadcnt_dscnt 0x1
	v_add_nc_u64_e32 v[10:11], 8, v[34:35]
	v_add_nc_u64_e32 v[8:9], 2, v[98:99]
	s_mov_b32 s41, exec_lo
	s_delay_alu instid0(VALU_DEP_1)
	v_cmpx_lt_u64_e64 v[10:11], v[8:9]
	s_cbranch_execz .LBB6_72
; %bb.61:                               ;   in Loop: Header=BB6_57 Depth=2
	v_and_b32_e32 v2, 64, v30
	s_mov_b32 s60, 0
	s_mov_b32 s72, 0
                                        ; implicit-def: $sgpr61
                                        ; implicit-def: $sgpr62
                                        ; implicit-def: $sgpr63
	s_delay_alu instid0(VALU_DEP_1)
	v_cmp_eq_u32_e32 vcc_lo, 0, v2
	s_branch .LBB6_65
.LBB6_62:                               ;   in Loop: Header=BB6_65 Depth=3
	s_wait_loadcnt_dscnt 0x0
	v_add_nc_u64_e32 v[10:11], 8, v[34:35]
	s_or_b32 s75, s75, exec_lo
	s_delay_alu instid0(VALU_DEP_1)
	v_cmp_ge_u64_e64 s13, v[10:11], v[8:9]
	s_or_not1_b32 s74, s13, exec_lo
.LBB6_63:                               ;   in Loop: Header=BB6_65 Depth=3
	s_or_b32 exec_lo, exec_lo, s77
	s_delay_alu instid0(SALU_CYCLE_1)
	s_and_not1_b32 s13, s63, exec_lo
	s_and_b32 s63, s75, exec_lo
	s_and_not1_b32 s62, s62, exec_lo
	s_and_b32 s74, s74, exec_lo
	s_or_b32 s63, s13, s63
	s_or_b32 s62, s62, s74
.LBB6_64:                               ;   in Loop: Header=BB6_65 Depth=3
	s_or_b32 exec_lo, exec_lo, s73
	s_delay_alu instid0(SALU_CYCLE_1) | instskip(NEXT) | instid1(SALU_CYCLE_1)
	s_and_b32 s13, exec_lo, s62
	s_or_b32 s60, s13, s60
	s_and_not1_b32 s13, s61, exec_lo
	s_and_b32 s61, s63, exec_lo
	s_delay_alu instid0(SALU_CYCLE_1)
	s_or_b32 s61, s13, s61
	s_and_not1_b32 exec_lo, exec_lo, s60
	s_cbranch_execz .LBB6_69
.LBB6_65:                               ;   Parent Loop BB6_47 Depth=1
                                        ;     Parent Loop BB6_57 Depth=2
                                        ; =>    This Inner Loop Header: Depth=3
	s_sleep 1
	s_wait_loadcnt_dscnt 0x0
	flat_load_b64 v[34:35], v[22:23] scope:SCOPE_SYS
	s_or_b32 s63, s63, exec_lo
	s_or_b32 s62, s62, exec_lo
                                        ; implicit-def: $vgpr2
	s_wait_xcnt 0x0
	s_and_saveexec_b32 s73, vcc_lo
	s_cbranch_execz .LBB6_64
; %bb.66:                               ;   in Loop: Header=BB6_65 Depth=3
	s_cmp_lt_i32 s72, 0x270f
	s_mov_b32 s74, -1
	s_cselect_b32 s76, -1, 0
	s_cmp_gt_i32 s72, 0x270e
	s_cbranch_scc0 .LBB6_68
; %bb.67:                               ;   in Loop: Header=BB6_65 Depth=3
	s_trap 2
	ds_load_b64 v[10:11], v0
	s_and_not1_b32 s72, s76, exec_lo
	s_mov_b32 s75, 0
	s_wait_storecnt 0x0
	s_wait_loadcnt_dscnt 0x0
	flat_load_b32 v2, v[10:11] scope:SCOPE_SYS
	s_wait_loadcnt_dscnt 0x0
	global_inv scope:SCOPE_SYS
	v_cmp_eq_u32_e64 s13, 0, v2
	s_and_b32 s13, s13, exec_lo
	s_delay_alu instid0(SALU_CYCLE_1)
	s_or_b32 s76, s72, s13
	s_mov_b32 s72, 0
	s_and_saveexec_b32 s77, s76
	s_cbranch_execz .LBB6_63
	s_branch .LBB6_62
.LBB6_68:                               ;   in Loop: Header=BB6_65 Depth=3
	s_add_co_i32 s72, s72, 1
	s_mov_b32 s75, -1
                                        ; implicit-def: $vgpr2
	s_and_saveexec_b32 s77, s76
	s_cbranch_execz .LBB6_63
	s_branch .LBB6_62
.LBB6_69:                               ;   in Loop: Header=BB6_57 Depth=2
	s_or_b32 exec_lo, exec_lo, s60
	s_xor_b32 s13, s61, -1
	s_delay_alu instid0(SALU_CYCLE_1) | instskip(NEXT) | instid1(SALU_CYCLE_1)
	s_and_saveexec_b32 s60, s13
	s_xor_b32 s13, exec_lo, s60
	s_cbranch_execz .LBB6_71
; %bb.70:                               ;   in Loop: Header=BB6_57 Depth=2
	v_or_b32_e32 v30, 64, v30
	s_wait_storecnt 0x0
	s_wait_loadcnt_dscnt 0x0
	ds_store_b32 v0, v2
	s_trap 2
.LBB6_71:                               ;   in Loop: Header=BB6_57 Depth=2
	s_or_b32 exec_lo, exec_lo, s13
.LBB6_72:                               ;   in Loop: Header=BB6_57 Depth=2
	s_delay_alu instid0(SALU_CYCLE_1) | instskip(SKIP_4) | instid1(VALU_DEP_1)
	s_or_b32 exec_lo, exec_lo, s41
	v_and_b32_e32 v2, 0x100, v30
	s_mov_b32 s41, 0
	s_mov_b32 s13, exec_lo
	;;#ASMSTART
	s_wakeup
	;;#ASMEND
                                        ; implicit-def: $vgpr10_vgpr11
	v_cmpx_ne_u32_e32 0, v2
	s_xor_b32 s13, exec_lo, s13
	s_cbranch_execz .LBB6_93
; %bb.73:                               ;   in Loop: Header=BB6_57 Depth=2
	v_dual_ashrrev_i32 v13, 31, v12 :: v_dual_bitop2_b32 v2, 7, v98 bitop3:0x40
	s_mov_b32 s41, -1
	s_mov_b32 s60, exec_lo
	s_delay_alu instid0(VALU_DEP_1) | instskip(NEXT) | instid1(VALU_DEP_2)
	v_mad_nc_u64_u32 v[98:99], v2, 24, v[6:7]
	v_lshlrev_b64_e32 v[10:11], 1, v[12:13]
	s_clause 0x1
	flat_load_b32 v15, v[98:99]
	flat_store_b64 v[98:99], v[10:11] offset:8
                                        ; implicit-def: $vgpr10_vgpr11
	s_wait_loadcnt_dscnt 0x1
	v_cmpx_eq_u32_e32 1, v15
	s_cbranch_execz .LBB6_75
; %bb.74:                               ;   in Loop: Header=BB6_57 Depth=2
	flat_load_b32 v10, v[98:99] offset:4 scope:SCOPE_SYS
	s_xor_b32 s41, exec_lo, -1
	s_wait_loadcnt_dscnt 0x0
	v_ashrrev_i32_e32 v11, 31, v10
	s_delay_alu instid0(VALU_DEP_1)
	v_lshrrev_b64 v[10:11], 1, v[10:11]
.LBB6_75:                               ;   in Loop: Header=BB6_57 Depth=2
	s_wait_xcnt 0x0
	s_or_b32 exec_lo, exec_lo, s60
	s_delay_alu instid0(SALU_CYCLE_1)
	s_and_b32 s41, s41, exec_lo
                                        ; implicit-def: $vgpr98_vgpr99
	s_and_not1_saveexec_b32 s13, s13
	s_cbranch_execnz .LBB6_94
.LBB6_76:                               ;   in Loop: Header=BB6_57 Depth=2
	s_or_b32 exec_lo, exec_lo, s13
	s_and_saveexec_b32 s13, s41
.LBB6_77:                               ;   in Loop: Header=BB6_57 Depth=2
	v_mul_u64_e32 v[10:11], v[2:3], v[24:25]
.LBB6_78:                               ;   in Loop: Header=BB6_57 Depth=2
	s_or_b32 exec_lo, exec_lo, s13
	v_and_b32_e32 v2, 0x2000, v30
	s_delay_alu instid0(VALU_DEP_2)
	v_lshl_add_u64 v[10:11], v[10:11], 1, v[26:27]
	s_mov_b32 s13, exec_lo
	ds_store_b64 v0, v[10:11] offset:784
	v_cmpx_ne_u32_e32 0, v2
	s_cbranch_execz .LBB6_80
; %bb.79:                               ;   in Loop: Header=BB6_57 Depth=2
	ds_load_b64 v[10:11], v0 offset:872
	s_wait_dscnt 0x0
	v_add_nc_u64_e32 v[10:11], 1, v[10:11]
	ds_store_b64 v0, v[10:11] offset:872
.LBB6_80:                               ;   in Loop: Header=BB6_57 Depth=2
	s_or_b32 exec_lo, exec_lo, s13
	v_mov_b64_e32 v[98:99], v[8:9]
.LBB6_81:                               ;   in Loop: Header=BB6_57 Depth=2
	s_or_b32 exec_lo, exec_lo, s40
	s_and_saveexec_b32 s13, s2
	s_cbranch_execz .LBB6_102
; %bb.82:                               ;   in Loop: Header=BB6_57 Depth=2
	s_and_saveexec_b32 s40, s3
	s_delay_alu instid0(SALU_CYCLE_1)
	s_xor_b32 s40, exec_lo, s40
	s_cbranch_execz .LBB6_99
; %bb.83:                               ;   in Loop: Header=BB6_57 Depth=2
	s_and_saveexec_b32 s41, s6
	s_cbranch_execz .LBB6_98
; %bb.84:                               ;   in Loop: Header=BB6_57 Depth=2
	s_mov_b32 s61, exec_lo
	s_mov_b32 s60, exec_lo
	v_mbcnt_lo_u32_b32 v2, s61, 0
	global_wb scope:SCOPE_DEV
	s_wait_storecnt 0x0
	s_wait_loadcnt_dscnt 0x0
	global_inv scope:SCOPE_DEV
	v_cmpx_eq_u32_e32 0, v2
	s_cbranch_execz .LBB6_86
; %bb.85:                               ;   in Loop: Header=BB6_57 Depth=2
	s_bcnt1_i32_b32 s61, s61
	s_delay_alu instid0(SALU_CYCLE_1)
	v_mov_b32_e32 v2, s61
	s_wait_loadcnt 0x0
	ds_add_u64 v0, v[2:3]
	s_trap 2
.LBB6_86:                               ;   in Loop: Header=BB6_57 Depth=2
	s_or_b32 exec_lo, exec_lo, s60
	s_trap 2
	ds_load_b64 v[8:9], v0
	s_wait_dscnt 0x0
	v_add_nc_u64_e32 v[32:33], v[32:33], v[36:37]
	s_mov_b32 s60, exec_lo
	s_delay_alu instid0(VALU_DEP_1)
	v_cmpx_lt_u64_e64 v[8:9], v[32:33]
	s_cbranch_execz .LBB6_97
; %bb.87:                               ;   in Loop: Header=BB6_57 Depth=2
	s_mov_b32 s61, 0
	s_mov_b32 s72, 0
                                        ; implicit-def: $sgpr62
                                        ; implicit-def: $sgpr63
	s_branch .LBB6_89
.LBB6_88:                               ;   in Loop: Header=BB6_89 Depth=3
	s_or_b32 exec_lo, exec_lo, s74
	s_delay_alu instid0(SALU_CYCLE_1) | instskip(NEXT) | instid1(SALU_CYCLE_1)
	s_and_b32 s73, exec_lo, s75
	s_or_b32 s61, s73, s61
	s_and_not1_b32 s62, s62, exec_lo
	s_and_b32 s73, s63, exec_lo
	s_delay_alu instid0(SALU_CYCLE_1)
	s_or_b32 s62, s62, s73
	s_and_not1_b32 exec_lo, exec_lo, s61
	s_cbranch_execz .LBB6_95
.LBB6_89:                               ;   Parent Loop BB6_47 Depth=1
                                        ;     Parent Loop BB6_57 Depth=2
                                        ; =>    This Inner Loop Header: Depth=3
	s_add_co_i32 s72, s72, 1
	s_delay_alu instid0(SALU_CYCLE_1) | instskip(SKIP_1) | instid1(SALU_CYCLE_1)
	s_cmp_lg_u32 s72, 0x2710
	s_cselect_b32 s73, -1, 0
	s_and_b32 vcc_lo, exec_lo, s73
	s_cbranch_vccz .LBB6_91
; %bb.90:                               ;   in Loop: Header=BB6_89 Depth=3
	s_mov_b32 s75, -1
	s_or_b32 s63, s63, exec_lo
	s_and_saveexec_b32 s74, s73
	s_cbranch_execz .LBB6_88
	s_branch .LBB6_92
.LBB6_91:                               ;   in Loop: Header=BB6_89 Depth=3
	s_trap 2
	ds_load_b64 v[8:9], v0
	s_and_not1_b32 s73, s73, exec_lo
	s_mov_b32 s72, 0
	s_wait_loadcnt_dscnt 0x0
	flat_load_b32 v2, v[8:9] scope:SCOPE_SYS
	s_wait_loadcnt_dscnt 0x0
	global_inv scope:SCOPE_SYS
	v_cmp_eq_u32_e32 vcc_lo, 0, v2
	s_and_b32 s74, vcc_lo, exec_lo
	s_delay_alu instid0(SALU_CYCLE_1)
	s_or_b32 s73, s73, s74
	s_mov_b32 s75, -1
	s_or_b32 s63, s63, exec_lo
	s_and_saveexec_b32 s74, s73
	s_cbranch_execz .LBB6_88
.LBB6_92:                               ;   in Loop: Header=BB6_89 Depth=3
	s_sleep 1
	s_trap 2
	ds_load_b64 v[8:9], v0
	s_wait_dscnt 0x0
	s_and_not1_b32 s63, s63, exec_lo
	v_cmp_ge_u64_e32 vcc_lo, v[8:9], v[32:33]
	s_or_not1_b32 s75, vcc_lo, exec_lo
	s_branch .LBB6_88
.LBB6_93:                               ;   in Loop: Header=BB6_57 Depth=2
	s_and_not1_saveexec_b32 s13, s13
	s_cbranch_execz .LBB6_76
.LBB6_94:                               ;   in Loop: Header=BB6_57 Depth=2
	v_and_b32_e32 v2, 7, v98
	s_or_b32 s41, s41, exec_lo
	s_or_b32 exec_lo, exec_lo, s13
	s_and_saveexec_b32 s13, s41
	s_cbranch_execnz .LBB6_77
	s_branch .LBB6_78
.LBB6_95:                               ;   in Loop: Header=BB6_57 Depth=2
	s_or_b32 exec_lo, exec_lo, s61
	s_and_saveexec_b32 s61, s62
	s_delay_alu instid0(SALU_CYCLE_1)
	s_xor_b32 s61, exec_lo, s61
	s_cbranch_execz .LBB6_97
; %bb.96:                               ;   in Loop: Header=BB6_57 Depth=2
	ds_store_b32 v0, v63
	s_trap 2
.LBB6_97:                               ;   in Loop: Header=BB6_57 Depth=2
	s_or_b32 exec_lo, exec_lo, s60
	;;#ASMSTART
	s_wakeup
	;;#ASMEND
.LBB6_98:                               ;   in Loop: Header=BB6_57 Depth=2
	s_or_b32 exec_lo, exec_lo, s41
.LBB6_99:                               ;   in Loop: Header=BB6_57 Depth=2
	s_and_not1_saveexec_b32 s40, s40
	s_cbranch_execz .LBB6_101
; %bb.100:                              ;   in Loop: Header=BB6_57 Depth=2
	global_wb scope:SCOPE_DEV
	s_wait_storecnt 0x0
	s_wait_loadcnt_dscnt 0x0
	global_inv scope:SCOPE_DEV
	s_barrier_signal -1
	s_barrier_wait -1
.LBB6_101:                              ;   in Loop: Header=BB6_57 Depth=2
	s_or_b32 exec_lo, exec_lo, s40
.LBB6_102:                              ;   in Loop: Header=BB6_57 Depth=2
	s_delay_alu instid0(SALU_CYCLE_1) | instskip(SKIP_4) | instid1(VALU_DEP_1)
	s_or_b32 exec_lo, exec_lo, s13
	s_trap 2
	ds_load_b32 v8, v0
	v_and_b32_e32 v2, 0x4000, v30
	s_xor_b32 s13, s1, -1
	v_cmp_ne_u32_e32 vcc_lo, 0, v2
	s_and_b32 s40, s13, vcc_lo
	s_delay_alu instid0(SALU_CYCLE_1)
	s_and_saveexec_b32 s13, s40
	s_cbranch_execz .LBB6_121
; %bb.103:                              ;   in Loop: Header=BB6_57 Depth=2
	s_and_saveexec_b32 s40, s3
	s_delay_alu instid0(SALU_CYCLE_1)
	s_xor_b32 s40, exec_lo, s40
	s_cbranch_execz .LBB6_118
; %bb.104:                              ;   in Loop: Header=BB6_57 Depth=2
	s_and_saveexec_b32 s41, s6
	s_cbranch_execz .LBB6_117
; %bb.105:                              ;   in Loop: Header=BB6_57 Depth=2
	s_mov_b32 s61, exec_lo
	s_mov_b32 s60, exec_lo
	v_mbcnt_lo_u32_b32 v2, s61, 0
	global_wb scope:SCOPE_DEV
	s_wait_storecnt 0x0
	s_wait_loadcnt_dscnt 0x0
	global_inv scope:SCOPE_DEV
	v_cmpx_eq_u32_e32 0, v2
	s_cbranch_execz .LBB6_107
; %bb.106:                              ;   in Loop: Header=BB6_57 Depth=2
	s_bcnt1_i32_b32 s61, s61
	s_delay_alu instid0(SALU_CYCLE_1)
	v_mov_b32_e32 v2, s61
	s_wait_loadcnt 0x0
	ds_add_u64 v0, v[2:3]
	s_trap 2
.LBB6_107:                              ;   in Loop: Header=BB6_57 Depth=2
	s_or_b32 exec_lo, exec_lo, s60
	s_trap 2
	ds_load_b64 v[10:11], v0
	s_wait_dscnt 0x0
	v_add_nc_u64_e32 v[32:33], v[32:33], v[36:37]
	s_mov_b32 s60, exec_lo
	s_delay_alu instid0(VALU_DEP_1)
	v_cmpx_lt_u64_e64 v[10:11], v[32:33]
	s_cbranch_execz .LBB6_116
; %bb.108:                              ;   in Loop: Header=BB6_57 Depth=2
	s_mov_b32 s61, 0
	s_mov_b32 s72, 0
                                        ; implicit-def: $sgpr62
                                        ; implicit-def: $sgpr63
	s_branch .LBB6_110
.LBB6_109:                              ;   in Loop: Header=BB6_110 Depth=3
	s_or_b32 exec_lo, exec_lo, s74
	s_delay_alu instid0(SALU_CYCLE_1) | instskip(NEXT) | instid1(SALU_CYCLE_1)
	s_and_b32 s73, exec_lo, s75
	s_or_b32 s61, s73, s61
	s_and_not1_b32 s62, s62, exec_lo
	s_and_b32 s73, s63, exec_lo
	s_delay_alu instid0(SALU_CYCLE_1)
	s_or_b32 s62, s62, s73
	s_and_not1_b32 exec_lo, exec_lo, s61
	s_cbranch_execz .LBB6_114
.LBB6_110:                              ;   Parent Loop BB6_47 Depth=1
                                        ;     Parent Loop BB6_57 Depth=2
                                        ; =>    This Inner Loop Header: Depth=3
	s_add_co_i32 s72, s72, 1
	s_delay_alu instid0(SALU_CYCLE_1) | instskip(SKIP_1) | instid1(SALU_CYCLE_1)
	s_cmp_lg_u32 s72, 0x2710
	s_cselect_b32 s73, -1, 0
	s_and_b32 vcc_lo, exec_lo, s73
	s_cbranch_vccz .LBB6_112
; %bb.111:                              ;   in Loop: Header=BB6_110 Depth=3
	s_mov_b32 s75, -1
	s_or_b32 s63, s63, exec_lo
	s_and_saveexec_b32 s74, s73
	s_cbranch_execz .LBB6_109
	s_branch .LBB6_113
.LBB6_112:                              ;   in Loop: Header=BB6_110 Depth=3
	s_trap 2
	ds_load_b64 v[10:11], v0
	s_and_not1_b32 s73, s73, exec_lo
	s_mov_b32 s72, 0
	s_wait_loadcnt_dscnt 0x0
	flat_load_b32 v2, v[10:11] scope:SCOPE_SYS
	s_wait_loadcnt_dscnt 0x0
	global_inv scope:SCOPE_SYS
	v_cmp_eq_u32_e32 vcc_lo, 0, v2
	s_and_b32 s74, vcc_lo, exec_lo
	s_delay_alu instid0(SALU_CYCLE_1)
	s_or_b32 s73, s73, s74
	s_mov_b32 s75, -1
	s_or_b32 s63, s63, exec_lo
	s_and_saveexec_b32 s74, s73
	s_cbranch_execz .LBB6_109
.LBB6_113:                              ;   in Loop: Header=BB6_110 Depth=3
	s_sleep 1
	s_trap 2
	ds_load_b64 v[10:11], v0
	s_wait_dscnt 0x0
	s_and_not1_b32 s63, s63, exec_lo
	v_cmp_ge_u64_e32 vcc_lo, v[10:11], v[32:33]
	s_or_not1_b32 s75, vcc_lo, exec_lo
	s_branch .LBB6_109
.LBB6_114:                              ;   in Loop: Header=BB6_57 Depth=2
	s_or_b32 exec_lo, exec_lo, s61
	s_and_saveexec_b32 s61, s62
	s_delay_alu instid0(SALU_CYCLE_1)
	s_xor_b32 s61, exec_lo, s61
	s_cbranch_execz .LBB6_116
; %bb.115:                              ;   in Loop: Header=BB6_57 Depth=2
	ds_store_b32 v0, v63
	s_trap 2
.LBB6_116:                              ;   in Loop: Header=BB6_57 Depth=2
	s_or_b32 exec_lo, exec_lo, s60
	;;#ASMSTART
	s_wakeup
	;;#ASMEND
.LBB6_117:                              ;   in Loop: Header=BB6_57 Depth=2
	s_or_b32 exec_lo, exec_lo, s41
.LBB6_118:                              ;   in Loop: Header=BB6_57 Depth=2
	s_and_not1_saveexec_b32 s40, s40
	s_cbranch_execz .LBB6_120
; %bb.119:                              ;   in Loop: Header=BB6_57 Depth=2
	global_wb scope:SCOPE_DEV
	s_wait_storecnt 0x0
	s_wait_loadcnt_dscnt 0x0
	global_inv scope:SCOPE_DEV
	s_barrier_signal -1
	s_barrier_wait -1
.LBB6_120:                              ;   in Loop: Header=BB6_57 Depth=2
	s_or_b32 exec_lo, exec_lo, s40
.LBB6_121:                              ;   in Loop: Header=BB6_57 Depth=2
	s_delay_alu instid0(SALU_CYCLE_1)
	s_or_b32 exec_lo, exec_lo, s13
	s_trap 2
	ds_load_b64 v[114:115], v0
	s_wait_dscnt 0x0
	v_cmp_eq_u64_e32 vcc_lo, 0, v[114:115]
	s_cbranch_vccnz .LBB6_129
; %bb.122:                              ;   in Loop: Header=BB6_57 Depth=2
	s_trap 2
	ds_load_b64 v[116:117], v0
	s_wait_dscnt 0x0
	v_cmp_eq_u64_e32 vcc_lo, 0, v[116:117]
	s_cbranch_vccnz .LBB6_129
; %bb.123:                              ;   in Loop: Header=BB6_57 Depth=2
	s_mov_b32 s13, -1
	s_and_saveexec_b32 s40, s7
	s_cbranch_execz .LBB6_125
; %bb.124:                              ;   in Loop: Header=BB6_57 Depth=2
	ds_load_b32 v2, v0 offset:720
	s_wait_dscnt 0x0
	v_and_b32_e32 v2, 15, v2
	s_delay_alu instid0(VALU_DEP_1)
	v_cmp_eq_u32_e32 vcc_lo, 0, v2
	s_or_not1_b32 s13, vcc_lo, exec_lo
.LBB6_125:                              ;   in Loop: Header=BB6_57 Depth=2
	s_or_b32 exec_lo, exec_lo, s40
	s_and_saveexec_b32 s40, s10
	s_cbranch_execz .LBB6_127
; %bb.126:                              ;   in Loop: Header=BB6_57 Depth=2
	ds_load_b32 v2, v0 offset:784
	s_wait_dscnt 0x0
	v_and_b32_e32 v2, 15, v2
	s_delay_alu instid0(VALU_DEP_1) | instskip(SKIP_3) | instid1(SALU_CYCLE_1)
	v_cmp_eq_u32_e32 vcc_lo, 0, v2
	s_and_b32 s41, s13, vcc_lo
	s_and_not1_b32 s13, s13, exec_lo
	s_and_b32 s41, s41, exec_lo
	s_or_b32 s13, s13, s41
.LBB6_127:                              ;   in Loop: Header=BB6_57 Depth=2
	s_or_b32 exec_lo, exec_lo, s40
	v_cmp_eq_u32_e32 vcc_lo, 0, v8
	s_xor_b32 s13, s13, -1
	s_mov_b32 s41, -1
	v_cndmask_b32_e64 v9, 0, 1, s13
	v_dual_mov_b32 v42, 0 :: v_dual_cndmask_b32 v2, 0, v12, vcc_lo
	s_delay_alu instid0(VALU_DEP_2) | instskip(NEXT) | instid1(VALU_DEP_2)
	v_cmp_ne_u32_e32 vcc_lo, 0, v9
	v_lshlrev_b32_e32 v13, 1, v2
	s_cbranch_vccz .LBB6_134
; %bb.128:                              ;   in Loop: Header=BB6_57 Depth=2
	v_mov_b32_e32 v43, v0
	s_and_saveexec_b32 s13, s41
	s_cbranch_execnz .LBB6_305
	s_branch .LBB6_349
.LBB6_129:                              ;   in Loop: Header=BB6_57 Depth=2
	s_mov_b32 s13, 0
	s_and_saveexec_b32 s40, s2
	s_cbranch_execnz .LBB6_350
.LBB6_130:                              ;   in Loop: Header=BB6_57 Depth=2
	s_or_b32 exec_lo, exec_lo, s40
                                        ; implicit-def: $vgpr2
	s_and_saveexec_b32 s40, s12
	s_delay_alu instid0(SALU_CYCLE_1)
	s_xor_b32 s40, exec_lo, s40
	s_cbranch_execz .LBB6_368
.LBB6_131:                              ;   in Loop: Header=BB6_57 Depth=2
	v_and_b32_e32 v2, 16, v30
	s_delay_alu instid0(VALU_DEP_1) | instskip(SKIP_2) | instid1(SALU_CYCLE_1)
	v_cmp_ne_u32_e32 vcc_lo, 0, v2
	v_and_b32_e32 v2, 16, v30
	s_and_b32 s41, vcc_lo, s13
	s_and_saveexec_b32 s13, s41
	s_cbranch_execz .LBB6_133
; %bb.132:                              ;   in Loop: Header=BB6_57 Depth=2
	v_mov_b32_e32 v2, 1
	global_wb scope:SCOPE_SYS
	s_wait_storecnt 0x0
	s_wait_loadcnt_dscnt 0x0
	global_inv scope:SCOPE_SYS
.LBB6_133:                              ;   in Loop: Header=BB6_57 Depth=2
	s_or_b32 exec_lo, exec_lo, s13
	s_and_not1_saveexec_b32 s13, s40
	s_cbranch_execz .LBB6_387
	s_branch .LBB6_369
.LBB6_134:                              ;   in Loop: Header=BB6_57 Depth=2
	s_delay_alu instid0(VALU_DEP_1) | instskip(SKIP_1) | instid1(VALU_DEP_1)
	v_ashrrev_i32_e32 v8, 31, v13
	s_mov_b32 s13, exec_lo
	v_lshrrev_b32_e32 v8, 21, v8
	s_delay_alu instid0(VALU_DEP_1) | instskip(NEXT) | instid1(VALU_DEP_1)
	v_add_nc_u32_e32 v8, v13, v8
	v_ashrrev_i32_e32 v45, 11, v8
	s_delay_alu instid0(VALU_DEP_1) | instskip(NEXT) | instid1(VALU_DEP_1)
	v_sub_nc_u32_e32 v15, v45, v62
	v_cmpx_lt_i32_e32 0, v15
	s_cbranch_execz .LBB6_266
; %bb.135:                              ;   in Loop: Header=BB6_57 Depth=2
	s_trap 2
	ds_load_b32 v8, v0
	v_mov_b64_e32 v[118:119], v[116:117]
	v_mov_b64_e32 v[40:41], v[114:115]
	s_mov_b32 s40, 0
	s_wait_dscnt 0x0
	v_lshlrev_b32_e32 v46, 16, v8
	s_branch .LBB6_137
.LBB6_136:                              ;   in Loop: Header=BB6_137 Depth=3
	s_or_b32 exec_lo, exec_lo, s41
	v_dual_lshrrev_b32 v57, 16, v57 :: v_dual_lshrrev_b32 v47, 16, v47
	v_dual_lshrrev_b32 v95, 16, v95 :: v_dual_lshrrev_b32 v93, 16, v93
	v_dual_lshrrev_b32 v79, 16, v79 :: v_dual_lshrrev_b32 v77, 16, v77
	v_lshrrev_b32_e32 v59, 16, v59
	v_dual_lshrrev_b32 v75, 16, v75 :: v_dual_sub_nc_u32 v15, v15, v36
	v_and_or_b32 v56, 0xffff0000, v56, v47
	v_dual_lshrrev_b32 v47, 16, v43 :: v_dual_lshrrev_b32 v111, 16, v105
	v_lshrrev_b32_e32 v107, 16, v107
	v_and_or_b32 v105, 0xffff0000, v104, v95
	v_and_or_b32 v104, 0xffff0000, v94, v93
	v_lshrrev_b32_e32 v93, 16, v89
	v_and_or_b32 v89, 0xffff0000, v88, v79
	v_and_or_b32 v88, 0xffff0000, v78, v77
	;; [unrolled: 3-line block ×3, first 2 shown]
	v_and_or_b32 v59, 0xffff0000, v76, v75
	v_dual_lshrrev_b32 v74, 16, v42 :: v_dual_lshrrev_b32 v75, 16, v109
	v_and_or_b32 v9, 0xffff0000, v9, v47
	v_lshrrev_b32_e32 v47, 16, v110
	v_add_nc_u64_e32 v[42:43], v[70:71], v[118:119]
	v_add_nc_u64_e32 v[40:41], v[40:41], v[52:53]
	v_cmp_gt_i32_e32 vcc_lo, 1, v15
	v_add_nc_u64_e32 v[118:119], v[118:119], v[52:53]
	v_and_or_b32 v106, 0xffff0000, v106, v111
	v_and_or_b32 v107, 0xffff0000, v108, v107
	;; [unrolled: 1-line block ×7, first 2 shown]
	s_or_b32 s40, vcc_lo, s40
	s_clause 0x3
	global_store_b128 v[42:43], v[56:59], off th:TH_STORE_NT
	global_store_b128 v[42:43], v[88:91], off offset:512 th:TH_STORE_NT
	global_store_b128 v[42:43], v[104:107], off offset:1024 th:TH_STORE_NT
	;; [unrolled: 1-line block ×3, first 2 shown]
	s_wait_xcnt 0x0
	s_and_not1_b32 exec_lo, exec_lo, s40
	s_cbranch_execz .LBB6_265
.LBB6_137:                              ;   Parent Loop BB6_47 Depth=1
                                        ;     Parent Loop BB6_57 Depth=2
                                        ; =>    This Inner Loop Header: Depth=3
	s_delay_alu instid0(VALU_DEP_2) | instskip(SKIP_3) | instid1(VALU_DEP_1)
	v_add_nc_u64_e32 v[42:43], v[70:71], v[40:41]
	global_load_b128 v[8:11], v[42:43], off th:TH_LOAD_NT
	s_wait_loadcnt 0x0
	v_lshlrev_b32_e32 v47, 16, v8
	v_mul_f32_e32 v56, v46, v47
	s_delay_alu instid0(VALU_DEP_1) | instskip(NEXT) | instid1(VALU_DEP_1)
	v_and_b32_e32 v47, 0x7f800000, v56
	v_cmp_ne_u32_e32 vcc_lo, 0x7f800000, v47
                                        ; implicit-def: $vgpr47
	s_wait_xcnt 0x0
	s_and_saveexec_b32 s41, vcc_lo
	s_delay_alu instid0(SALU_CYCLE_1)
	s_xor_b32 s41, exec_lo, s41
; %bb.138:                              ;   in Loop: Header=BB6_137 Depth=3
	v_bfe_u32 v47, v56, 16, 1
	s_delay_alu instid0(VALU_DEP_1)
	v_add3_u32 v47, v56, v47, 0x7fff
                                        ; implicit-def: $vgpr56
; %bb.139:                              ;   in Loop: Header=BB6_137 Depth=3
	s_and_not1_saveexec_b32 s41, s41
; %bb.140:                              ;   in Loop: Header=BB6_137 Depth=3
	v_and_b32_e32 v47, 0xffff, v56
	v_or_b32_e32 v57, 0x10000, v56
	s_delay_alu instid0(VALU_DEP_2) | instskip(NEXT) | instid1(VALU_DEP_2)
	v_cmp_eq_u32_e32 vcc_lo, 0, v47
	v_cndmask_b32_e32 v47, v57, v56, vcc_lo
; %bb.141:                              ;   in Loop: Header=BB6_137 Depth=3
	s_or_b32 exec_lo, exec_lo, s41
	v_and_b32_e32 v8, 0xffff0000, v8
	s_delay_alu instid0(VALU_DEP_1) | instskip(NEXT) | instid1(VALU_DEP_1)
	v_mul_f32_e32 v8, v46, v8
	v_and_b32_e32 v56, 0x7f800000, v8
	s_delay_alu instid0(VALU_DEP_1) | instskip(SKIP_1) | instid1(SALU_CYCLE_1)
	v_cmp_ne_u32_e32 vcc_lo, 0x7f800000, v56
                                        ; implicit-def: $vgpr56
	s_and_saveexec_b32 s41, vcc_lo
	s_xor_b32 s41, exec_lo, s41
; %bb.142:                              ;   in Loop: Header=BB6_137 Depth=3
	v_bfe_u32 v56, v8, 16, 1
	s_delay_alu instid0(VALU_DEP_1)
	v_add3_u32 v56, v8, v56, 0x7fff
                                        ; implicit-def: $vgpr8
; %bb.143:                              ;   in Loop: Header=BB6_137 Depth=3
	s_and_not1_saveexec_b32 s41, s41
; %bb.144:                              ;   in Loop: Header=BB6_137 Depth=3
	v_and_b32_e32 v56, 0xffff, v8
	v_or_b32_e32 v57, 0x10000, v8
	s_delay_alu instid0(VALU_DEP_2) | instskip(NEXT) | instid1(VALU_DEP_2)
	v_cmp_eq_u32_e32 vcc_lo, 0, v56
	v_cndmask_b32_e32 v56, v57, v8, vcc_lo
; %bb.145:                              ;   in Loop: Header=BB6_137 Depth=3
	s_or_b32 exec_lo, exec_lo, s41
	v_lshlrev_b32_e32 v8, 16, v9
	s_delay_alu instid0(VALU_DEP_1) | instskip(NEXT) | instid1(VALU_DEP_1)
	v_mul_f32_e32 v8, v46, v8
	v_and_b32_e32 v57, 0x7f800000, v8
	s_delay_alu instid0(VALU_DEP_1) | instskip(SKIP_1) | instid1(SALU_CYCLE_1)
	v_cmp_ne_u32_e32 vcc_lo, 0x7f800000, v57
                                        ; implicit-def: $vgpr57
	s_and_saveexec_b32 s41, vcc_lo
	s_xor_b32 s41, exec_lo, s41
; %bb.146:                              ;   in Loop: Header=BB6_137 Depth=3
	v_bfe_u32 v57, v8, 16, 1
	s_delay_alu instid0(VALU_DEP_1)
	v_add3_u32 v57, v8, v57, 0x7fff
                                        ; implicit-def: $vgpr8
; %bb.147:                              ;   in Loop: Header=BB6_137 Depth=3
	s_and_not1_saveexec_b32 s41, s41
; %bb.148:                              ;   in Loop: Header=BB6_137 Depth=3
	v_and_b32_e32 v57, 0xffff, v8
	v_or_b32_e32 v58, 0x10000, v8
	s_delay_alu instid0(VALU_DEP_2) | instskip(NEXT) | instid1(VALU_DEP_2)
	v_cmp_eq_u32_e32 vcc_lo, 0, v57
	v_cndmask_b32_e32 v57, v58, v8, vcc_lo
; %bb.149:                              ;   in Loop: Header=BB6_137 Depth=3
	s_or_b32 exec_lo, exec_lo, s41
	v_and_b32_e32 v8, 0xffff0000, v9
	s_mov_b32 s41, exec_lo
                                        ; implicit-def: $vgpr58
	s_delay_alu instid0(VALU_DEP_1) | instskip(NEXT) | instid1(VALU_DEP_1)
	v_mul_f32_e32 v8, v46, v8
	v_and_b32_e32 v9, 0x7f800000, v8
	s_delay_alu instid0(VALU_DEP_1)
	v_cmpx_ne_u32_e32 0x7f800000, v9
	s_xor_b32 s41, exec_lo, s41
; %bb.150:                              ;   in Loop: Header=BB6_137 Depth=3
	v_bfe_u32 v9, v8, 16, 1
	s_delay_alu instid0(VALU_DEP_1)
	v_add3_u32 v58, v8, v9, 0x7fff
                                        ; implicit-def: $vgpr8
; %bb.151:                              ;   in Loop: Header=BB6_137 Depth=3
	s_and_not1_saveexec_b32 s41, s41
; %bb.152:                              ;   in Loop: Header=BB6_137 Depth=3
	v_and_b32_e32 v9, 0xffff, v8
	v_or_b32_e32 v58, 0x10000, v8
	s_delay_alu instid0(VALU_DEP_2) | instskip(NEXT) | instid1(VALU_DEP_2)
	v_cmp_eq_u32_e32 vcc_lo, 0, v9
	v_cndmask_b32_e32 v58, v58, v8, vcc_lo
; %bb.153:                              ;   in Loop: Header=BB6_137 Depth=3
	s_or_b32 exec_lo, exec_lo, s41
	v_lshlrev_b32_e32 v8, 16, v10
	s_mov_b32 s41, exec_lo
                                        ; implicit-def: $vgpr59
	s_delay_alu instid0(VALU_DEP_1) | instskip(NEXT) | instid1(VALU_DEP_1)
	v_mul_f32_e32 v8, v46, v8
	v_and_b32_e32 v9, 0x7f800000, v8
	s_delay_alu instid0(VALU_DEP_1)
	v_cmpx_ne_u32_e32 0x7f800000, v9
	s_xor_b32 s41, exec_lo, s41
; %bb.154:                              ;   in Loop: Header=BB6_137 Depth=3
	v_bfe_u32 v9, v8, 16, 1
	s_delay_alu instid0(VALU_DEP_1)
	v_add3_u32 v59, v8, v9, 0x7fff
                                        ; implicit-def: $vgpr8
; %bb.155:                              ;   in Loop: Header=BB6_137 Depth=3
	s_and_not1_saveexec_b32 s41, s41
; %bb.156:                              ;   in Loop: Header=BB6_137 Depth=3
	v_and_b32_e32 v9, 0xffff, v8
	v_or_b32_e32 v59, 0x10000, v8
	s_delay_alu instid0(VALU_DEP_2) | instskip(NEXT) | instid1(VALU_DEP_2)
	v_cmp_eq_u32_e32 vcc_lo, 0, v9
	v_cndmask_b32_e32 v59, v59, v8, vcc_lo
; %bb.157:                              ;   in Loop: Header=BB6_137 Depth=3
	s_or_b32 exec_lo, exec_lo, s41
	v_and_b32_e32 v8, 0xffff0000, v10
	s_mov_b32 s41, exec_lo
                                        ; implicit-def: $vgpr74
	s_delay_alu instid0(VALU_DEP_1) | instskip(NEXT) | instid1(VALU_DEP_1)
	v_mul_f32_e32 v8, v46, v8
	v_and_b32_e32 v9, 0x7f800000, v8
	s_delay_alu instid0(VALU_DEP_1)
	v_cmpx_ne_u32_e32 0x7f800000, v9
	s_xor_b32 s41, exec_lo, s41
; %bb.158:                              ;   in Loop: Header=BB6_137 Depth=3
	v_bfe_u32 v9, v8, 16, 1
	s_delay_alu instid0(VALU_DEP_1)
	v_add3_u32 v74, v8, v9, 0x7fff
                                        ; implicit-def: $vgpr8
; %bb.159:                              ;   in Loop: Header=BB6_137 Depth=3
	s_and_not1_saveexec_b32 s41, s41
; %bb.160:                              ;   in Loop: Header=BB6_137 Depth=3
	v_and_b32_e32 v9, 0xffff, v8
	v_or_b32_e32 v10, 0x10000, v8
	s_delay_alu instid0(VALU_DEP_2) | instskip(NEXT) | instid1(VALU_DEP_2)
	v_cmp_eq_u32_e32 vcc_lo, 0, v9
	v_cndmask_b32_e32 v74, v10, v8, vcc_lo
; %bb.161:                              ;   in Loop: Header=BB6_137 Depth=3
	s_or_b32 exec_lo, exec_lo, s41
	v_lshlrev_b32_e32 v8, 16, v11
	s_mov_b32 s41, exec_lo
                                        ; implicit-def: $vgpr75
	s_delay_alu instid0(VALU_DEP_1) | instskip(NEXT) | instid1(VALU_DEP_1)
	v_mul_f32_e32 v8, v46, v8
	v_and_b32_e32 v9, 0x7f800000, v8
	s_delay_alu instid0(VALU_DEP_1)
	v_cmpx_ne_u32_e32 0x7f800000, v9
	s_xor_b32 s41, exec_lo, s41
; %bb.162:                              ;   in Loop: Header=BB6_137 Depth=3
	v_bfe_u32 v9, v8, 16, 1
	s_delay_alu instid0(VALU_DEP_1)
	v_add3_u32 v75, v8, v9, 0x7fff
                                        ; implicit-def: $vgpr8
; %bb.163:                              ;   in Loop: Header=BB6_137 Depth=3
	s_and_not1_saveexec_b32 s41, s41
; %bb.164:                              ;   in Loop: Header=BB6_137 Depth=3
	v_and_b32_e32 v9, 0xffff, v8
	v_or_b32_e32 v10, 0x10000, v8
	s_delay_alu instid0(VALU_DEP_2) | instskip(NEXT) | instid1(VALU_DEP_2)
	v_cmp_eq_u32_e32 vcc_lo, 0, v9
	v_cndmask_b32_e32 v75, v10, v8, vcc_lo
; %bb.165:                              ;   in Loop: Header=BB6_137 Depth=3
	s_or_b32 exec_lo, exec_lo, s41
	v_and_b32_e32 v8, 0xffff0000, v11
	s_mov_b32 s41, exec_lo
                                        ; implicit-def: $vgpr76
	s_delay_alu instid0(VALU_DEP_1) | instskip(NEXT) | instid1(VALU_DEP_1)
	v_mul_f32_e32 v8, v46, v8
	v_and_b32_e32 v9, 0x7f800000, v8
	s_delay_alu instid0(VALU_DEP_1)
	v_cmpx_ne_u32_e32 0x7f800000, v9
	s_xor_b32 s41, exec_lo, s41
; %bb.166:                              ;   in Loop: Header=BB6_137 Depth=3
	v_bfe_u32 v9, v8, 16, 1
	s_delay_alu instid0(VALU_DEP_1)
	v_add3_u32 v76, v8, v9, 0x7fff
                                        ; implicit-def: $vgpr8
; %bb.167:                              ;   in Loop: Header=BB6_137 Depth=3
	s_and_not1_saveexec_b32 s41, s41
; %bb.168:                              ;   in Loop: Header=BB6_137 Depth=3
	v_and_b32_e32 v9, 0xffff, v8
	v_or_b32_e32 v10, 0x10000, v8
	s_delay_alu instid0(VALU_DEP_2) | instskip(NEXT) | instid1(VALU_DEP_2)
	v_cmp_eq_u32_e32 vcc_lo, 0, v9
	v_cndmask_b32_e32 v76, v10, v8, vcc_lo
; %bb.169:                              ;   in Loop: Header=BB6_137 Depth=3
	s_or_b32 exec_lo, exec_lo, s41
	global_load_b128 v[8:11], v[42:43], off offset:512 th:TH_LOAD_NT
	s_wait_loadcnt 0x0
	v_lshlrev_b32_e32 v77, 16, v8
	s_delay_alu instid0(VALU_DEP_1) | instskip(NEXT) | instid1(VALU_DEP_1)
	v_mul_f32_e32 v78, v46, v77
	v_and_b32_e32 v77, 0x7f800000, v78
	s_delay_alu instid0(VALU_DEP_1) | instskip(SKIP_2) | instid1(SALU_CYCLE_1)
	v_cmp_ne_u32_e32 vcc_lo, 0x7f800000, v77
                                        ; implicit-def: $vgpr77
	s_wait_xcnt 0x0
	s_and_saveexec_b32 s41, vcc_lo
	s_xor_b32 s41, exec_lo, s41
; %bb.170:                              ;   in Loop: Header=BB6_137 Depth=3
	v_bfe_u32 v77, v78, 16, 1
	s_delay_alu instid0(VALU_DEP_1)
	v_add3_u32 v77, v78, v77, 0x7fff
                                        ; implicit-def: $vgpr78
; %bb.171:                              ;   in Loop: Header=BB6_137 Depth=3
	s_and_not1_saveexec_b32 s41, s41
; %bb.172:                              ;   in Loop: Header=BB6_137 Depth=3
	v_and_b32_e32 v77, 0xffff, v78
	v_or_b32_e32 v79, 0x10000, v78
	s_delay_alu instid0(VALU_DEP_2) | instskip(NEXT) | instid1(VALU_DEP_2)
	v_cmp_eq_u32_e32 vcc_lo, 0, v77
	v_cndmask_b32_e32 v77, v79, v78, vcc_lo
; %bb.173:                              ;   in Loop: Header=BB6_137 Depth=3
	s_or_b32 exec_lo, exec_lo, s41
	v_and_b32_e32 v8, 0xffff0000, v8
	s_delay_alu instid0(VALU_DEP_1) | instskip(NEXT) | instid1(VALU_DEP_1)
	v_mul_f32_e32 v8, v46, v8
	v_and_b32_e32 v78, 0x7f800000, v8
	s_delay_alu instid0(VALU_DEP_1) | instskip(SKIP_1) | instid1(SALU_CYCLE_1)
	v_cmp_ne_u32_e32 vcc_lo, 0x7f800000, v78
                                        ; implicit-def: $vgpr78
	s_and_saveexec_b32 s41, vcc_lo
	s_xor_b32 s41, exec_lo, s41
; %bb.174:                              ;   in Loop: Header=BB6_137 Depth=3
	v_bfe_u32 v78, v8, 16, 1
	s_delay_alu instid0(VALU_DEP_1)
	v_add3_u32 v78, v8, v78, 0x7fff
                                        ; implicit-def: $vgpr8
; %bb.175:                              ;   in Loop: Header=BB6_137 Depth=3
	s_and_not1_saveexec_b32 s41, s41
; %bb.176:                              ;   in Loop: Header=BB6_137 Depth=3
	v_and_b32_e32 v78, 0xffff, v8
	v_or_b32_e32 v79, 0x10000, v8
	s_delay_alu instid0(VALU_DEP_2) | instskip(NEXT) | instid1(VALU_DEP_2)
	v_cmp_eq_u32_e32 vcc_lo, 0, v78
	v_cndmask_b32_e32 v78, v79, v8, vcc_lo
; %bb.177:                              ;   in Loop: Header=BB6_137 Depth=3
	s_or_b32 exec_lo, exec_lo, s41
	v_lshlrev_b32_e32 v8, 16, v9
	s_delay_alu instid0(VALU_DEP_1) | instskip(NEXT) | instid1(VALU_DEP_1)
	v_mul_f32_e32 v8, v46, v8
	v_and_b32_e32 v79, 0x7f800000, v8
	s_delay_alu instid0(VALU_DEP_1) | instskip(SKIP_1) | instid1(SALU_CYCLE_1)
	v_cmp_ne_u32_e32 vcc_lo, 0x7f800000, v79
                                        ; implicit-def: $vgpr79
	s_and_saveexec_b32 s41, vcc_lo
	s_xor_b32 s41, exec_lo, s41
; %bb.178:                              ;   in Loop: Header=BB6_137 Depth=3
	v_bfe_u32 v79, v8, 16, 1
	s_delay_alu instid0(VALU_DEP_1)
	v_add3_u32 v79, v8, v79, 0x7fff
                                        ; implicit-def: $vgpr8
; %bb.179:                              ;   in Loop: Header=BB6_137 Depth=3
	s_and_not1_saveexec_b32 s41, s41
; %bb.180:                              ;   in Loop: Header=BB6_137 Depth=3
	v_and_b32_e32 v79, 0xffff, v8
	v_or_b32_e32 v88, 0x10000, v8
	s_delay_alu instid0(VALU_DEP_2) | instskip(NEXT) | instid1(VALU_DEP_2)
	v_cmp_eq_u32_e32 vcc_lo, 0, v79
	v_cndmask_b32_e32 v79, v88, v8, vcc_lo
; %bb.181:                              ;   in Loop: Header=BB6_137 Depth=3
	s_or_b32 exec_lo, exec_lo, s41
	v_and_b32_e32 v8, 0xffff0000, v9
	s_mov_b32 s41, exec_lo
                                        ; implicit-def: $vgpr88
	s_delay_alu instid0(VALU_DEP_1) | instskip(NEXT) | instid1(VALU_DEP_1)
	v_mul_f32_e32 v8, v46, v8
	v_and_b32_e32 v9, 0x7f800000, v8
	s_delay_alu instid0(VALU_DEP_1)
	v_cmpx_ne_u32_e32 0x7f800000, v9
	s_xor_b32 s41, exec_lo, s41
; %bb.182:                              ;   in Loop: Header=BB6_137 Depth=3
	v_bfe_u32 v9, v8, 16, 1
	s_delay_alu instid0(VALU_DEP_1)
	v_add3_u32 v88, v8, v9, 0x7fff
                                        ; implicit-def: $vgpr8
; %bb.183:                              ;   in Loop: Header=BB6_137 Depth=3
	s_and_not1_saveexec_b32 s41, s41
; %bb.184:                              ;   in Loop: Header=BB6_137 Depth=3
	v_and_b32_e32 v9, 0xffff, v8
	v_or_b32_e32 v88, 0x10000, v8
	s_delay_alu instid0(VALU_DEP_2) | instskip(NEXT) | instid1(VALU_DEP_2)
	v_cmp_eq_u32_e32 vcc_lo, 0, v9
	v_cndmask_b32_e32 v88, v88, v8, vcc_lo
; %bb.185:                              ;   in Loop: Header=BB6_137 Depth=3
	s_or_b32 exec_lo, exec_lo, s41
	v_lshlrev_b32_e32 v8, 16, v10
	s_mov_b32 s41, exec_lo
                                        ; implicit-def: $vgpr89
	s_delay_alu instid0(VALU_DEP_1) | instskip(NEXT) | instid1(VALU_DEP_1)
	v_mul_f32_e32 v8, v46, v8
	v_and_b32_e32 v9, 0x7f800000, v8
	s_delay_alu instid0(VALU_DEP_1)
	v_cmpx_ne_u32_e32 0x7f800000, v9
	s_xor_b32 s41, exec_lo, s41
; %bb.186:                              ;   in Loop: Header=BB6_137 Depth=3
	v_bfe_u32 v9, v8, 16, 1
	s_delay_alu instid0(VALU_DEP_1)
	v_add3_u32 v89, v8, v9, 0x7fff
                                        ; implicit-def: $vgpr8
; %bb.187:                              ;   in Loop: Header=BB6_137 Depth=3
	s_and_not1_saveexec_b32 s41, s41
; %bb.188:                              ;   in Loop: Header=BB6_137 Depth=3
	v_and_b32_e32 v9, 0xffff, v8
	v_or_b32_e32 v89, 0x10000, v8
	s_delay_alu instid0(VALU_DEP_2) | instskip(NEXT) | instid1(VALU_DEP_2)
	v_cmp_eq_u32_e32 vcc_lo, 0, v9
	v_cndmask_b32_e32 v89, v89, v8, vcc_lo
; %bb.189:                              ;   in Loop: Header=BB6_137 Depth=3
	s_or_b32 exec_lo, exec_lo, s41
	v_and_b32_e32 v8, 0xffff0000, v10
	s_mov_b32 s41, exec_lo
                                        ; implicit-def: $vgpr90
	s_delay_alu instid0(VALU_DEP_1) | instskip(NEXT) | instid1(VALU_DEP_1)
	v_mul_f32_e32 v8, v46, v8
	v_and_b32_e32 v9, 0x7f800000, v8
	s_delay_alu instid0(VALU_DEP_1)
	v_cmpx_ne_u32_e32 0x7f800000, v9
	s_xor_b32 s41, exec_lo, s41
; %bb.190:                              ;   in Loop: Header=BB6_137 Depth=3
	v_bfe_u32 v9, v8, 16, 1
	s_delay_alu instid0(VALU_DEP_1)
	v_add3_u32 v90, v8, v9, 0x7fff
                                        ; implicit-def: $vgpr8
; %bb.191:                              ;   in Loop: Header=BB6_137 Depth=3
	s_and_not1_saveexec_b32 s41, s41
; %bb.192:                              ;   in Loop: Header=BB6_137 Depth=3
	v_and_b32_e32 v9, 0xffff, v8
	v_or_b32_e32 v10, 0x10000, v8
	s_delay_alu instid0(VALU_DEP_2) | instskip(NEXT) | instid1(VALU_DEP_2)
	v_cmp_eq_u32_e32 vcc_lo, 0, v9
	v_cndmask_b32_e32 v90, v10, v8, vcc_lo
; %bb.193:                              ;   in Loop: Header=BB6_137 Depth=3
	s_or_b32 exec_lo, exec_lo, s41
	v_lshlrev_b32_e32 v8, 16, v11
	s_mov_b32 s41, exec_lo
                                        ; implicit-def: $vgpr91
	s_delay_alu instid0(VALU_DEP_1) | instskip(NEXT) | instid1(VALU_DEP_1)
	v_mul_f32_e32 v8, v46, v8
	v_and_b32_e32 v9, 0x7f800000, v8
	s_delay_alu instid0(VALU_DEP_1)
	v_cmpx_ne_u32_e32 0x7f800000, v9
	s_xor_b32 s41, exec_lo, s41
; %bb.194:                              ;   in Loop: Header=BB6_137 Depth=3
	v_bfe_u32 v9, v8, 16, 1
	s_delay_alu instid0(VALU_DEP_1)
	v_add3_u32 v91, v8, v9, 0x7fff
                                        ; implicit-def: $vgpr8
; %bb.195:                              ;   in Loop: Header=BB6_137 Depth=3
	s_and_not1_saveexec_b32 s41, s41
; %bb.196:                              ;   in Loop: Header=BB6_137 Depth=3
	v_and_b32_e32 v9, 0xffff, v8
	v_or_b32_e32 v10, 0x10000, v8
	s_delay_alu instid0(VALU_DEP_2) | instskip(NEXT) | instid1(VALU_DEP_2)
	v_cmp_eq_u32_e32 vcc_lo, 0, v9
	v_cndmask_b32_e32 v91, v10, v8, vcc_lo
; %bb.197:                              ;   in Loop: Header=BB6_137 Depth=3
	s_or_b32 exec_lo, exec_lo, s41
	v_and_b32_e32 v8, 0xffff0000, v11
	s_mov_b32 s41, exec_lo
                                        ; implicit-def: $vgpr92
	s_delay_alu instid0(VALU_DEP_1) | instskip(NEXT) | instid1(VALU_DEP_1)
	v_mul_f32_e32 v8, v46, v8
	v_and_b32_e32 v9, 0x7f800000, v8
	s_delay_alu instid0(VALU_DEP_1)
	v_cmpx_ne_u32_e32 0x7f800000, v9
	s_xor_b32 s41, exec_lo, s41
; %bb.198:                              ;   in Loop: Header=BB6_137 Depth=3
	v_bfe_u32 v9, v8, 16, 1
	s_delay_alu instid0(VALU_DEP_1)
	v_add3_u32 v92, v8, v9, 0x7fff
                                        ; implicit-def: $vgpr8
; %bb.199:                              ;   in Loop: Header=BB6_137 Depth=3
	s_and_not1_saveexec_b32 s41, s41
; %bb.200:                              ;   in Loop: Header=BB6_137 Depth=3
	v_and_b32_e32 v9, 0xffff, v8
	v_or_b32_e32 v10, 0x10000, v8
	s_delay_alu instid0(VALU_DEP_2) | instskip(NEXT) | instid1(VALU_DEP_2)
	v_cmp_eq_u32_e32 vcc_lo, 0, v9
	v_cndmask_b32_e32 v92, v10, v8, vcc_lo
; %bb.201:                              ;   in Loop: Header=BB6_137 Depth=3
	s_or_b32 exec_lo, exec_lo, s41
	global_load_b128 v[8:11], v[42:43], off offset:1024 th:TH_LOAD_NT
	s_wait_loadcnt 0x0
	v_lshlrev_b32_e32 v93, 16, v8
	s_delay_alu instid0(VALU_DEP_1) | instskip(NEXT) | instid1(VALU_DEP_1)
	v_mul_f32_e32 v94, v46, v93
	v_and_b32_e32 v93, 0x7f800000, v94
	s_delay_alu instid0(VALU_DEP_1) | instskip(SKIP_2) | instid1(SALU_CYCLE_1)
	v_cmp_ne_u32_e32 vcc_lo, 0x7f800000, v93
                                        ; implicit-def: $vgpr93
	s_wait_xcnt 0x0
	s_and_saveexec_b32 s41, vcc_lo
	s_xor_b32 s41, exec_lo, s41
; %bb.202:                              ;   in Loop: Header=BB6_137 Depth=3
	v_bfe_u32 v93, v94, 16, 1
	s_delay_alu instid0(VALU_DEP_1)
	v_add3_u32 v93, v94, v93, 0x7fff
                                        ; implicit-def: $vgpr94
; %bb.203:                              ;   in Loop: Header=BB6_137 Depth=3
	s_and_not1_saveexec_b32 s41, s41
; %bb.204:                              ;   in Loop: Header=BB6_137 Depth=3
	v_and_b32_e32 v93, 0xffff, v94
	v_or_b32_e32 v95, 0x10000, v94
	s_delay_alu instid0(VALU_DEP_2) | instskip(NEXT) | instid1(VALU_DEP_2)
	v_cmp_eq_u32_e32 vcc_lo, 0, v93
	v_cndmask_b32_e32 v93, v95, v94, vcc_lo
; %bb.205:                              ;   in Loop: Header=BB6_137 Depth=3
	s_or_b32 exec_lo, exec_lo, s41
	v_and_b32_e32 v8, 0xffff0000, v8
	s_delay_alu instid0(VALU_DEP_1) | instskip(NEXT) | instid1(VALU_DEP_1)
	v_mul_f32_e32 v8, v46, v8
	v_and_b32_e32 v94, 0x7f800000, v8
	s_delay_alu instid0(VALU_DEP_1) | instskip(SKIP_1) | instid1(SALU_CYCLE_1)
	v_cmp_ne_u32_e32 vcc_lo, 0x7f800000, v94
                                        ; implicit-def: $vgpr94
	s_and_saveexec_b32 s41, vcc_lo
	s_xor_b32 s41, exec_lo, s41
; %bb.206:                              ;   in Loop: Header=BB6_137 Depth=3
	v_bfe_u32 v94, v8, 16, 1
	s_delay_alu instid0(VALU_DEP_1)
	v_add3_u32 v94, v8, v94, 0x7fff
                                        ; implicit-def: $vgpr8
; %bb.207:                              ;   in Loop: Header=BB6_137 Depth=3
	s_and_not1_saveexec_b32 s41, s41
; %bb.208:                              ;   in Loop: Header=BB6_137 Depth=3
	v_and_b32_e32 v94, 0xffff, v8
	v_or_b32_e32 v95, 0x10000, v8
	s_delay_alu instid0(VALU_DEP_2) | instskip(NEXT) | instid1(VALU_DEP_2)
	v_cmp_eq_u32_e32 vcc_lo, 0, v94
	v_cndmask_b32_e32 v94, v95, v8, vcc_lo
; %bb.209:                              ;   in Loop: Header=BB6_137 Depth=3
	s_or_b32 exec_lo, exec_lo, s41
	v_lshlrev_b32_e32 v8, 16, v9
	s_delay_alu instid0(VALU_DEP_1) | instskip(NEXT) | instid1(VALU_DEP_1)
	v_mul_f32_e32 v8, v46, v8
	v_and_b32_e32 v95, 0x7f800000, v8
	s_delay_alu instid0(VALU_DEP_1) | instskip(SKIP_1) | instid1(SALU_CYCLE_1)
	v_cmp_ne_u32_e32 vcc_lo, 0x7f800000, v95
                                        ; implicit-def: $vgpr95
	s_and_saveexec_b32 s41, vcc_lo
	s_xor_b32 s41, exec_lo, s41
; %bb.210:                              ;   in Loop: Header=BB6_137 Depth=3
	v_bfe_u32 v95, v8, 16, 1
	s_delay_alu instid0(VALU_DEP_1)
	v_add3_u32 v95, v8, v95, 0x7fff
                                        ; implicit-def: $vgpr8
; %bb.211:                              ;   in Loop: Header=BB6_137 Depth=3
	s_and_not1_saveexec_b32 s41, s41
; %bb.212:                              ;   in Loop: Header=BB6_137 Depth=3
	v_and_b32_e32 v95, 0xffff, v8
	v_or_b32_e32 v104, 0x10000, v8
	s_delay_alu instid0(VALU_DEP_2) | instskip(NEXT) | instid1(VALU_DEP_2)
	v_cmp_eq_u32_e32 vcc_lo, 0, v95
	v_cndmask_b32_e32 v95, v104, v8, vcc_lo
; %bb.213:                              ;   in Loop: Header=BB6_137 Depth=3
	s_or_b32 exec_lo, exec_lo, s41
	v_and_b32_e32 v8, 0xffff0000, v9
	s_mov_b32 s41, exec_lo
                                        ; implicit-def: $vgpr104
	s_delay_alu instid0(VALU_DEP_1) | instskip(NEXT) | instid1(VALU_DEP_1)
	v_mul_f32_e32 v8, v46, v8
	v_and_b32_e32 v9, 0x7f800000, v8
	s_delay_alu instid0(VALU_DEP_1)
	v_cmpx_ne_u32_e32 0x7f800000, v9
	s_xor_b32 s41, exec_lo, s41
; %bb.214:                              ;   in Loop: Header=BB6_137 Depth=3
	v_bfe_u32 v9, v8, 16, 1
	s_delay_alu instid0(VALU_DEP_1)
	v_add3_u32 v104, v8, v9, 0x7fff
                                        ; implicit-def: $vgpr8
; %bb.215:                              ;   in Loop: Header=BB6_137 Depth=3
	s_and_not1_saveexec_b32 s41, s41
; %bb.216:                              ;   in Loop: Header=BB6_137 Depth=3
	v_and_b32_e32 v9, 0xffff, v8
	v_or_b32_e32 v104, 0x10000, v8
	s_delay_alu instid0(VALU_DEP_2) | instskip(NEXT) | instid1(VALU_DEP_2)
	v_cmp_eq_u32_e32 vcc_lo, 0, v9
	v_cndmask_b32_e32 v104, v104, v8, vcc_lo
; %bb.217:                              ;   in Loop: Header=BB6_137 Depth=3
	s_or_b32 exec_lo, exec_lo, s41
	v_lshlrev_b32_e32 v8, 16, v10
	s_mov_b32 s41, exec_lo
                                        ; implicit-def: $vgpr105
	s_delay_alu instid0(VALU_DEP_1) | instskip(NEXT) | instid1(VALU_DEP_1)
	v_mul_f32_e32 v8, v46, v8
	v_and_b32_e32 v9, 0x7f800000, v8
	s_delay_alu instid0(VALU_DEP_1)
	v_cmpx_ne_u32_e32 0x7f800000, v9
	s_xor_b32 s41, exec_lo, s41
; %bb.218:                              ;   in Loop: Header=BB6_137 Depth=3
	v_bfe_u32 v9, v8, 16, 1
	s_delay_alu instid0(VALU_DEP_1)
	v_add3_u32 v105, v8, v9, 0x7fff
                                        ; implicit-def: $vgpr8
; %bb.219:                              ;   in Loop: Header=BB6_137 Depth=3
	s_and_not1_saveexec_b32 s41, s41
; %bb.220:                              ;   in Loop: Header=BB6_137 Depth=3
	v_and_b32_e32 v9, 0xffff, v8
	v_or_b32_e32 v105, 0x10000, v8
	s_delay_alu instid0(VALU_DEP_2) | instskip(NEXT) | instid1(VALU_DEP_2)
	v_cmp_eq_u32_e32 vcc_lo, 0, v9
	v_cndmask_b32_e32 v105, v105, v8, vcc_lo
; %bb.221:                              ;   in Loop: Header=BB6_137 Depth=3
	s_or_b32 exec_lo, exec_lo, s41
	v_and_b32_e32 v8, 0xffff0000, v10
	s_mov_b32 s41, exec_lo
                                        ; implicit-def: $vgpr106
	s_delay_alu instid0(VALU_DEP_1) | instskip(NEXT) | instid1(VALU_DEP_1)
	v_mul_f32_e32 v8, v46, v8
	v_and_b32_e32 v9, 0x7f800000, v8
	s_delay_alu instid0(VALU_DEP_1)
	v_cmpx_ne_u32_e32 0x7f800000, v9
	s_xor_b32 s41, exec_lo, s41
; %bb.222:                              ;   in Loop: Header=BB6_137 Depth=3
	v_bfe_u32 v9, v8, 16, 1
	s_delay_alu instid0(VALU_DEP_1)
	v_add3_u32 v106, v8, v9, 0x7fff
                                        ; implicit-def: $vgpr8
; %bb.223:                              ;   in Loop: Header=BB6_137 Depth=3
	s_and_not1_saveexec_b32 s41, s41
; %bb.224:                              ;   in Loop: Header=BB6_137 Depth=3
	v_and_b32_e32 v9, 0xffff, v8
	v_or_b32_e32 v10, 0x10000, v8
	s_delay_alu instid0(VALU_DEP_2) | instskip(NEXT) | instid1(VALU_DEP_2)
	v_cmp_eq_u32_e32 vcc_lo, 0, v9
	v_cndmask_b32_e32 v106, v10, v8, vcc_lo
; %bb.225:                              ;   in Loop: Header=BB6_137 Depth=3
	s_or_b32 exec_lo, exec_lo, s41
	v_lshlrev_b32_e32 v8, 16, v11
	s_mov_b32 s41, exec_lo
                                        ; implicit-def: $vgpr107
	s_delay_alu instid0(VALU_DEP_1) | instskip(NEXT) | instid1(VALU_DEP_1)
	v_mul_f32_e32 v8, v46, v8
	v_and_b32_e32 v9, 0x7f800000, v8
	s_delay_alu instid0(VALU_DEP_1)
	v_cmpx_ne_u32_e32 0x7f800000, v9
	s_xor_b32 s41, exec_lo, s41
; %bb.226:                              ;   in Loop: Header=BB6_137 Depth=3
	v_bfe_u32 v9, v8, 16, 1
	s_delay_alu instid0(VALU_DEP_1)
	v_add3_u32 v107, v8, v9, 0x7fff
                                        ; implicit-def: $vgpr8
; %bb.227:                              ;   in Loop: Header=BB6_137 Depth=3
	s_and_not1_saveexec_b32 s41, s41
; %bb.228:                              ;   in Loop: Header=BB6_137 Depth=3
	v_and_b32_e32 v9, 0xffff, v8
	v_or_b32_e32 v10, 0x10000, v8
	s_delay_alu instid0(VALU_DEP_2) | instskip(NEXT) | instid1(VALU_DEP_2)
	v_cmp_eq_u32_e32 vcc_lo, 0, v9
	v_cndmask_b32_e32 v107, v10, v8, vcc_lo
; %bb.229:                              ;   in Loop: Header=BB6_137 Depth=3
	s_or_b32 exec_lo, exec_lo, s41
	v_and_b32_e32 v8, 0xffff0000, v11
	s_mov_b32 s41, exec_lo
                                        ; implicit-def: $vgpr108
	s_delay_alu instid0(VALU_DEP_1) | instskip(NEXT) | instid1(VALU_DEP_1)
	v_mul_f32_e32 v8, v46, v8
	v_and_b32_e32 v9, 0x7f800000, v8
	s_delay_alu instid0(VALU_DEP_1)
	v_cmpx_ne_u32_e32 0x7f800000, v9
	s_xor_b32 s41, exec_lo, s41
; %bb.230:                              ;   in Loop: Header=BB6_137 Depth=3
	v_bfe_u32 v9, v8, 16, 1
	s_delay_alu instid0(VALU_DEP_1)
	v_add3_u32 v108, v8, v9, 0x7fff
                                        ; implicit-def: $vgpr8
; %bb.231:                              ;   in Loop: Header=BB6_137 Depth=3
	s_and_not1_saveexec_b32 s41, s41
; %bb.232:                              ;   in Loop: Header=BB6_137 Depth=3
	v_and_b32_e32 v9, 0xffff, v8
	v_or_b32_e32 v10, 0x10000, v8
	s_delay_alu instid0(VALU_DEP_2) | instskip(NEXT) | instid1(VALU_DEP_2)
	v_cmp_eq_u32_e32 vcc_lo, 0, v9
	v_cndmask_b32_e32 v108, v10, v8, vcc_lo
; %bb.233:                              ;   in Loop: Header=BB6_137 Depth=3
	s_or_b32 exec_lo, exec_lo, s41
	global_load_b128 v[8:11], v[42:43], off offset:1536 th:TH_LOAD_NT
	s_wait_loadcnt 0x0
	v_lshlrev_b32_e32 v42, 16, v8
	s_delay_alu instid0(VALU_DEP_1) | instskip(NEXT) | instid1(VALU_DEP_1)
	v_mul_f32_e32 v43, v46, v42
	v_and_b32_e32 v42, 0x7f800000, v43
	s_delay_alu instid0(VALU_DEP_1) | instskip(SKIP_1) | instid1(SALU_CYCLE_1)
	v_cmp_ne_u32_e32 vcc_lo, 0x7f800000, v42
                                        ; implicit-def: $vgpr42
	s_and_saveexec_b32 s41, vcc_lo
	s_xor_b32 s41, exec_lo, s41
; %bb.234:                              ;   in Loop: Header=BB6_137 Depth=3
	v_bfe_u32 v42, v43, 16, 1
	s_delay_alu instid0(VALU_DEP_1)
	v_add3_u32 v42, v43, v42, 0x7fff
                                        ; implicit-def: $vgpr43
; %bb.235:                              ;   in Loop: Header=BB6_137 Depth=3
	s_and_not1_saveexec_b32 s41, s41
; %bb.236:                              ;   in Loop: Header=BB6_137 Depth=3
	v_and_b32_e32 v42, 0xffff, v43
	v_or_b32_e32 v109, 0x10000, v43
	s_delay_alu instid0(VALU_DEP_2) | instskip(NEXT) | instid1(VALU_DEP_2)
	v_cmp_eq_u32_e32 vcc_lo, 0, v42
	v_cndmask_b32_e32 v42, v109, v43, vcc_lo
; %bb.237:                              ;   in Loop: Header=BB6_137 Depth=3
	s_or_b32 exec_lo, exec_lo, s41
	v_and_b32_e32 v8, 0xffff0000, v8
	s_delay_alu instid0(VALU_DEP_1) | instskip(NEXT) | instid1(VALU_DEP_1)
	v_mul_f32_e32 v43, v46, v8
	v_and_b32_e32 v8, 0x7f800000, v43
	s_delay_alu instid0(VALU_DEP_1) | instskip(SKIP_1) | instid1(SALU_CYCLE_1)
	v_cmp_ne_u32_e32 vcc_lo, 0x7f800000, v8
                                        ; implicit-def: $vgpr8
	s_and_saveexec_b32 s41, vcc_lo
	s_xor_b32 s41, exec_lo, s41
; %bb.238:                              ;   in Loop: Header=BB6_137 Depth=3
	v_bfe_u32 v8, v43, 16, 1
	s_delay_alu instid0(VALU_DEP_1)
	v_add3_u32 v8, v43, v8, 0x7fff
                                        ; implicit-def: $vgpr43
; %bb.239:                              ;   in Loop: Header=BB6_137 Depth=3
	s_and_not1_saveexec_b32 s41, s41
; %bb.240:                              ;   in Loop: Header=BB6_137 Depth=3
	v_and_b32_e32 v8, 0xffff, v43
	v_or_b32_e32 v109, 0x10000, v43
	s_delay_alu instid0(VALU_DEP_2) | instskip(NEXT) | instid1(VALU_DEP_2)
	v_cmp_eq_u32_e32 vcc_lo, 0, v8
	v_cndmask_b32_e32 v8, v109, v43, vcc_lo
; %bb.241:                              ;   in Loop: Header=BB6_137 Depth=3
	s_or_b32 exec_lo, exec_lo, s41
	v_lshlrev_b32_e32 v43, 16, v9
	s_delay_alu instid0(VALU_DEP_1) | instskip(NEXT) | instid1(VALU_DEP_1)
	v_mul_f32_e32 v109, v46, v43
	v_and_b32_e32 v43, 0x7f800000, v109
	s_delay_alu instid0(VALU_DEP_1) | instskip(SKIP_1) | instid1(SALU_CYCLE_1)
	v_cmp_ne_u32_e32 vcc_lo, 0x7f800000, v43
                                        ; implicit-def: $vgpr43
	s_and_saveexec_b32 s41, vcc_lo
	s_xor_b32 s41, exec_lo, s41
; %bb.242:                              ;   in Loop: Header=BB6_137 Depth=3
	v_bfe_u32 v43, v109, 16, 1
	s_delay_alu instid0(VALU_DEP_1)
	v_add3_u32 v43, v109, v43, 0x7fff
                                        ; implicit-def: $vgpr109
; %bb.243:                              ;   in Loop: Header=BB6_137 Depth=3
	s_and_not1_saveexec_b32 s41, s41
; %bb.244:                              ;   in Loop: Header=BB6_137 Depth=3
	v_and_b32_e32 v43, 0xffff, v109
	v_or_b32_e32 v110, 0x10000, v109
	s_delay_alu instid0(VALU_DEP_2) | instskip(NEXT) | instid1(VALU_DEP_2)
	v_cmp_eq_u32_e32 vcc_lo, 0, v43
	v_cndmask_b32_e32 v43, v110, v109, vcc_lo
; %bb.245:                              ;   in Loop: Header=BB6_137 Depth=3
	s_or_b32 exec_lo, exec_lo, s41
	v_and_b32_e32 v9, 0xffff0000, v9
	s_delay_alu instid0(VALU_DEP_1) | instskip(NEXT) | instid1(VALU_DEP_1)
	v_mul_f32_e32 v109, v46, v9
	v_and_b32_e32 v9, 0x7f800000, v109
	s_delay_alu instid0(VALU_DEP_1) | instskip(SKIP_1) | instid1(SALU_CYCLE_1)
	v_cmp_ne_u32_e32 vcc_lo, 0x7f800000, v9
                                        ; implicit-def: $vgpr9
	s_and_saveexec_b32 s41, vcc_lo
	s_xor_b32 s41, exec_lo, s41
; %bb.246:                              ;   in Loop: Header=BB6_137 Depth=3
	v_bfe_u32 v9, v109, 16, 1
	s_delay_alu instid0(VALU_DEP_1)
	v_add3_u32 v9, v109, v9, 0x7fff
                                        ; implicit-def: $vgpr109
; %bb.247:                              ;   in Loop: Header=BB6_137 Depth=3
	s_and_not1_saveexec_b32 s41, s41
; %bb.248:                              ;   in Loop: Header=BB6_137 Depth=3
	v_and_b32_e32 v9, 0xffff, v109
	v_or_b32_e32 v110, 0x10000, v109
	s_delay_alu instid0(VALU_DEP_2) | instskip(NEXT) | instid1(VALU_DEP_2)
	v_cmp_eq_u32_e32 vcc_lo, 0, v9
	v_cndmask_b32_e32 v9, v110, v109, vcc_lo
; %bb.249:                              ;   in Loop: Header=BB6_137 Depth=3
	s_or_b32 exec_lo, exec_lo, s41
	v_lshlrev_b32_e32 v109, 16, v10
	s_delay_alu instid0(VALU_DEP_1) | instskip(NEXT) | instid1(VALU_DEP_1)
	v_mul_f32_e32 v110, v46, v109
	v_and_b32_e32 v109, 0x7f800000, v110
	s_delay_alu instid0(VALU_DEP_1) | instskip(SKIP_1) | instid1(SALU_CYCLE_1)
	v_cmp_ne_u32_e32 vcc_lo, 0x7f800000, v109
                                        ; implicit-def: $vgpr109
	s_and_saveexec_b32 s41, vcc_lo
	s_xor_b32 s41, exec_lo, s41
; %bb.250:                              ;   in Loop: Header=BB6_137 Depth=3
	v_bfe_u32 v109, v110, 16, 1
	s_delay_alu instid0(VALU_DEP_1)
	v_add3_u32 v109, v110, v109, 0x7fff
                                        ; implicit-def: $vgpr110
; %bb.251:                              ;   in Loop: Header=BB6_137 Depth=3
	s_and_not1_saveexec_b32 s41, s41
; %bb.252:                              ;   in Loop: Header=BB6_137 Depth=3
	v_and_b32_e32 v109, 0xffff, v110
	v_or_b32_e32 v111, 0x10000, v110
	s_delay_alu instid0(VALU_DEP_2) | instskip(NEXT) | instid1(VALU_DEP_2)
	v_cmp_eq_u32_e32 vcc_lo, 0, v109
	v_cndmask_b32_e32 v109, v111, v110, vcc_lo
; %bb.253:                              ;   in Loop: Header=BB6_137 Depth=3
	s_or_b32 exec_lo, exec_lo, s41
	v_and_b32_e32 v10, 0xffff0000, v10
	s_delay_alu instid0(VALU_DEP_1) | instskip(NEXT) | instid1(VALU_DEP_1)
	v_mul_f32_e32 v110, v46, v10
	v_and_b32_e32 v10, 0x7f800000, v110
	s_delay_alu instid0(VALU_DEP_1) | instskip(SKIP_1) | instid1(SALU_CYCLE_1)
	v_cmp_ne_u32_e32 vcc_lo, 0x7f800000, v10
                                        ; implicit-def: $vgpr10
	s_and_saveexec_b32 s41, vcc_lo
	s_xor_b32 s41, exec_lo, s41
; %bb.254:                              ;   in Loop: Header=BB6_137 Depth=3
	v_bfe_u32 v10, v110, 16, 1
	s_delay_alu instid0(VALU_DEP_1)
	v_add3_u32 v10, v110, v10, 0x7fff
                                        ; implicit-def: $vgpr110
; %bb.255:                              ;   in Loop: Header=BB6_137 Depth=3
	s_and_not1_saveexec_b32 s41, s41
; %bb.256:                              ;   in Loop: Header=BB6_137 Depth=3
	v_and_b32_e32 v10, 0xffff, v110
	v_or_b32_e32 v111, 0x10000, v110
	s_delay_alu instid0(VALU_DEP_2) | instskip(NEXT) | instid1(VALU_DEP_2)
	v_cmp_eq_u32_e32 vcc_lo, 0, v10
	v_cndmask_b32_e32 v10, v111, v110, vcc_lo
; %bb.257:                              ;   in Loop: Header=BB6_137 Depth=3
	s_or_b32 exec_lo, exec_lo, s41
	v_lshlrev_b32_e32 v110, 16, v11
	s_delay_alu instid0(VALU_DEP_1) | instskip(NEXT) | instid1(VALU_DEP_1)
	v_mul_f32_e32 v111, v46, v110
	v_and_b32_e32 v110, 0x7f800000, v111
	s_delay_alu instid0(VALU_DEP_1) | instskip(SKIP_1) | instid1(SALU_CYCLE_1)
	v_cmp_ne_u32_e32 vcc_lo, 0x7f800000, v110
                                        ; implicit-def: $vgpr110
	s_and_saveexec_b32 s41, vcc_lo
	s_xor_b32 s41, exec_lo, s41
; %bb.258:                              ;   in Loop: Header=BB6_137 Depth=3
	v_bfe_u32 v110, v111, 16, 1
	s_delay_alu instid0(VALU_DEP_1)
	v_add3_u32 v110, v111, v110, 0x7fff
                                        ; implicit-def: $vgpr111
; %bb.259:                              ;   in Loop: Header=BB6_137 Depth=3
	s_and_not1_saveexec_b32 s41, s41
; %bb.260:                              ;   in Loop: Header=BB6_137 Depth=3
	v_and_b32_e32 v110, 0xffff, v111
	v_or_b32_e32 v120, 0x10000, v111
	s_delay_alu instid0(VALU_DEP_2) | instskip(NEXT) | instid1(VALU_DEP_2)
	v_cmp_eq_u32_e32 vcc_lo, 0, v110
	v_cndmask_b32_e32 v110, v120, v111, vcc_lo
; %bb.261:                              ;   in Loop: Header=BB6_137 Depth=3
	s_or_b32 exec_lo, exec_lo, s41
	v_and_b32_e32 v11, 0xffff0000, v11
	s_delay_alu instid0(VALU_DEP_1) | instskip(NEXT) | instid1(VALU_DEP_1)
	v_mul_f32_e32 v111, v46, v11
	v_and_b32_e32 v11, 0x7f800000, v111
	s_delay_alu instid0(VALU_DEP_1) | instskip(SKIP_1) | instid1(SALU_CYCLE_1)
	v_cmp_ne_u32_e32 vcc_lo, 0x7f800000, v11
                                        ; implicit-def: $vgpr11
	s_and_saveexec_b32 s41, vcc_lo
	s_xor_b32 s41, exec_lo, s41
; %bb.262:                              ;   in Loop: Header=BB6_137 Depth=3
	v_bfe_u32 v11, v111, 16, 1
	s_delay_alu instid0(VALU_DEP_1)
	v_add3_u32 v11, v111, v11, 0x7fff
                                        ; implicit-def: $vgpr111
; %bb.263:                              ;   in Loop: Header=BB6_137 Depth=3
	s_and_not1_saveexec_b32 s41, s41
	s_cbranch_execz .LBB6_136
; %bb.264:                              ;   in Loop: Header=BB6_137 Depth=3
	v_and_b32_e32 v11, 0xffff, v111
	v_or_b32_e32 v120, 0x10000, v111
	s_delay_alu instid0(VALU_DEP_2) | instskip(NEXT) | instid1(VALU_DEP_2)
	v_cmp_eq_u32_e32 vcc_lo, 0, v11
	v_cndmask_b32_e32 v11, v120, v111, vcc_lo
	s_branch .LBB6_136
.LBB6_265:                              ;   in Loop: Header=BB6_57 Depth=2
	s_or_b32 exec_lo, exec_lo, s40
.LBB6_266:                              ;   in Loop: Header=BB6_57 Depth=2
	s_delay_alu instid0(SALU_CYCLE_1) | instskip(SKIP_3) | instid1(VALU_DEP_1)
	s_or_b32 exec_lo, exec_lo, s13
	v_dual_lshlrev_b32 v40, 11, v45 :: v_dual_mov_b32 v42, 0
	s_mov_b32 s41, 0
	s_mov_b32 s40, exec_lo
                                        ; implicit-def: $vgpr43
	v_cmpx_ne_u32_e64 v13, v40
	s_cbranch_execz .LBB6_304
; %bb.267:                              ;   in Loop: Header=BB6_57 Depth=2
	v_dual_lshlrev_b32 v8, 5, v15 :: v_dual_sub_nc_u32 v10, v13, v40
	s_mov_b32 s41, exec_lo
	s_delay_alu instid0(VALU_DEP_1) | instskip(NEXT) | instid1(VALU_DEP_1)
	v_dual_sub_nc_u32 v8, v61, v8 :: v_dual_ashrrev_i32 v11, 31, v10
	v_dual_ashrrev_i32 v9, 31, v8 :: v_dual_lshrrev_b32 v11, 23, v11
	s_delay_alu instid0(VALU_DEP_1) | instskip(NEXT) | instid1(VALU_DEP_1)
	v_lshrrev_b32_e32 v9, 27, v9
	v_dual_add_nc_u32 v9, v8, v9 :: v_dual_add_nc_u32 v11, v10, v11
	s_delay_alu instid0(VALU_DEP_1) | instskip(SKIP_1) | instid1(VALU_DEP_3)
	v_and_b32_e32 v15, 0xffffffe0, v9
	v_ashrrev_i32_e32 v9, 5, v9
	v_and_b32_e32 v41, 0xfffffe00, v11
	v_ashrrev_i32_e32 v11, 9, v11
	s_delay_alu instid0(VALU_DEP_2) | instskip(NEXT) | instid1(VALU_DEP_1)
	v_dual_sub_nc_u32 v15, v8, v15 :: v_dual_sub_nc_u32 v42, v10, v41
	v_cmp_lt_i32_e32 vcc_lo, 15, v42
	s_delay_alu instid0(VALU_DEP_3) | instskip(NEXT) | instid1(VALU_DEP_1)
	v_add_co_ci_u32_e64 v11, null, 0, v11, vcc_lo
	v_dual_lshlrev_b32 v8, 4, v15 :: v_dual_sub_nc_u32 v43, v11, v9
	s_delay_alu instid0(VALU_DEP_1) | instskip(NEXT) | instid1(VALU_DEP_1)
	v_lshl_add_u32 v8, v9, 9, v8
	v_sub_nc_u32_e32 v45, v10, v8
	s_delay_alu instid0(VALU_DEP_1)
	v_cmpx_lt_i32_e32 15, v45
	s_cbranch_execz .LBB6_303
; %bb.268:                              ;   in Loop: Header=BB6_57 Depth=2
	s_trap 2
	ds_load_b32 v9, v0
	v_add_nc_u32_e32 v118, v8, v40
	s_mov_b32 s60, 0
	s_wait_dscnt 0x0
	s_delay_alu instid0(VALU_DEP_1)
	v_dual_lshlrev_b32 v46, 16, v9 :: v_dual_ashrrev_i32 v119, 31, v118
	s_branch .LBB6_270
.LBB6_269:                              ;   in Loop: Header=BB6_270 Depth=3
	s_or_b32 exec_lo, exec_lo, s61
	v_dual_lshrrev_b32 v56, 16, v56 :: v_dual_lshrrev_b32 v47, 16, v47
	v_dual_lshrrev_b32 v57, 16, v57 :: v_dual_sub_nc_u32 v45, v45, v54
	v_add_nc_u64_e32 v[74:75], v[116:117], v[118:119]
	s_delay_alu instid0(VALU_DEP_3) | instskip(SKIP_1) | instid1(VALU_DEP_4)
	v_and_or_b32 v9, 0xffff0000, v9, v56
	v_dual_lshrrev_b32 v56, 16, v58 :: v_dual_sub_nc_u32 v43, v43, v36
	v_cmp_gt_i32_e64 s13, 16, v45
	v_add_nc_u64_e32 v[118:119], v[118:119], v[54:55]
	v_and_or_b32 v8, 0xffff0000, v8, v47
	v_and_or_b32 v10, 0xffff0000, v10, v57
	;; [unrolled: 1-line block ×3, first 2 shown]
	s_or_b32 s60, s13, s60
	global_store_b128 v[74:75], v[8:11], off th:TH_STORE_NT
	s_wait_xcnt 0x0
	s_and_not1_b32 exec_lo, exec_lo, s60
	s_cbranch_execz .LBB6_302
.LBB6_270:                              ;   Parent Loop BB6_47 Depth=1
                                        ;     Parent Loop BB6_57 Depth=2
                                        ; =>    This Inner Loop Header: Depth=3
	s_delay_alu instid0(VALU_DEP_1) | instskip(SKIP_3) | instid1(VALU_DEP_1)
	v_add_nc_u64_e32 v[8:9], v[114:115], v[118:119]
	global_load_b128 v[8:11], v[8:9], off th:TH_LOAD_NT
	s_wait_loadcnt 0x0
	v_lshlrev_b32_e32 v47, 16, v8
	v_mul_f32_e32 v56, v46, v47
	s_delay_alu instid0(VALU_DEP_1) | instskip(NEXT) | instid1(VALU_DEP_1)
	v_and_b32_e32 v47, 0x7f800000, v56
	v_cmp_ne_u32_e64 s13, 0x7f800000, v47
                                        ; implicit-def: $vgpr47
	s_wait_xcnt 0x0
	s_and_saveexec_b32 s61, s13
	s_delay_alu instid0(SALU_CYCLE_1)
	s_xor_b32 s13, exec_lo, s61
; %bb.271:                              ;   in Loop: Header=BB6_270 Depth=3
	v_bfe_u32 v47, v56, 16, 1
	s_delay_alu instid0(VALU_DEP_1)
	v_add3_u32 v47, v56, v47, 0x7fff
                                        ; implicit-def: $vgpr56
; %bb.272:                              ;   in Loop: Header=BB6_270 Depth=3
	s_and_not1_saveexec_b32 s61, s13
; %bb.273:                              ;   in Loop: Header=BB6_270 Depth=3
	v_and_b32_e32 v47, 0xffff, v56
	v_or_b32_e32 v57, 0x10000, v56
	s_delay_alu instid0(VALU_DEP_2) | instskip(NEXT) | instid1(VALU_DEP_1)
	v_cmp_eq_u32_e64 s13, 0, v47
	v_cndmask_b32_e64 v47, v57, v56, s13
; %bb.274:                              ;   in Loop: Header=BB6_270 Depth=3
	s_or_b32 exec_lo, exec_lo, s61
	v_and_b32_e32 v8, 0xffff0000, v8
	s_delay_alu instid0(VALU_DEP_1) | instskip(NEXT) | instid1(VALU_DEP_1)
	v_mul_f32_e32 v56, v46, v8
	v_and_b32_e32 v8, 0x7f800000, v56
	s_delay_alu instid0(VALU_DEP_1) | instskip(SKIP_1) | instid1(SALU_CYCLE_1)
	v_cmp_ne_u32_e64 s13, 0x7f800000, v8
                                        ; implicit-def: $vgpr8
	s_and_saveexec_b32 s61, s13
	s_xor_b32 s13, exec_lo, s61
; %bb.275:                              ;   in Loop: Header=BB6_270 Depth=3
	v_bfe_u32 v8, v56, 16, 1
	s_delay_alu instid0(VALU_DEP_1)
	v_add3_u32 v8, v56, v8, 0x7fff
                                        ; implicit-def: $vgpr56
; %bb.276:                              ;   in Loop: Header=BB6_270 Depth=3
	s_and_not1_saveexec_b32 s61, s13
; %bb.277:                              ;   in Loop: Header=BB6_270 Depth=3
	v_and_b32_e32 v8, 0xffff, v56
	v_or_b32_e32 v57, 0x10000, v56
	s_delay_alu instid0(VALU_DEP_2) | instskip(NEXT) | instid1(VALU_DEP_1)
	v_cmp_eq_u32_e64 s13, 0, v8
	v_cndmask_b32_e64 v8, v57, v56, s13
; %bb.278:                              ;   in Loop: Header=BB6_270 Depth=3
	s_or_b32 exec_lo, exec_lo, s61
	v_lshlrev_b32_e32 v56, 16, v9
	s_delay_alu instid0(VALU_DEP_1) | instskip(NEXT) | instid1(VALU_DEP_1)
	v_mul_f32_e32 v57, v46, v56
	v_and_b32_e32 v56, 0x7f800000, v57
	s_delay_alu instid0(VALU_DEP_1) | instskip(SKIP_1) | instid1(SALU_CYCLE_1)
	v_cmp_ne_u32_e64 s13, 0x7f800000, v56
                                        ; implicit-def: $vgpr56
	s_and_saveexec_b32 s61, s13
	s_xor_b32 s13, exec_lo, s61
; %bb.279:                              ;   in Loop: Header=BB6_270 Depth=3
	v_bfe_u32 v56, v57, 16, 1
	s_delay_alu instid0(VALU_DEP_1)
	v_add3_u32 v56, v57, v56, 0x7fff
                                        ; implicit-def: $vgpr57
; %bb.280:                              ;   in Loop: Header=BB6_270 Depth=3
	s_and_not1_saveexec_b32 s61, s13
; %bb.281:                              ;   in Loop: Header=BB6_270 Depth=3
	v_and_b32_e32 v56, 0xffff, v57
	v_or_b32_e32 v58, 0x10000, v57
	s_delay_alu instid0(VALU_DEP_2) | instskip(NEXT) | instid1(VALU_DEP_1)
	v_cmp_eq_u32_e64 s13, 0, v56
	v_cndmask_b32_e64 v56, v58, v57, s13
; %bb.282:                              ;   in Loop: Header=BB6_270 Depth=3
	s_or_b32 exec_lo, exec_lo, s61
	v_and_b32_e32 v9, 0xffff0000, v9
	s_delay_alu instid0(VALU_DEP_1) | instskip(NEXT) | instid1(VALU_DEP_1)
	v_mul_f32_e32 v57, v46, v9
	v_and_b32_e32 v9, 0x7f800000, v57
	s_delay_alu instid0(VALU_DEP_1) | instskip(SKIP_1) | instid1(SALU_CYCLE_1)
	v_cmp_ne_u32_e64 s13, 0x7f800000, v9
                                        ; implicit-def: $vgpr9
	s_and_saveexec_b32 s61, s13
	s_xor_b32 s13, exec_lo, s61
; %bb.283:                              ;   in Loop: Header=BB6_270 Depth=3
	v_bfe_u32 v9, v57, 16, 1
	s_delay_alu instid0(VALU_DEP_1)
	v_add3_u32 v9, v57, v9, 0x7fff
                                        ; implicit-def: $vgpr57
; %bb.284:                              ;   in Loop: Header=BB6_270 Depth=3
	s_and_not1_saveexec_b32 s61, s13
; %bb.285:                              ;   in Loop: Header=BB6_270 Depth=3
	v_and_b32_e32 v9, 0xffff, v57
	v_or_b32_e32 v58, 0x10000, v57
	s_delay_alu instid0(VALU_DEP_2) | instskip(NEXT) | instid1(VALU_DEP_1)
	v_cmp_eq_u32_e64 s13, 0, v9
	v_cndmask_b32_e64 v9, v58, v57, s13
; %bb.286:                              ;   in Loop: Header=BB6_270 Depth=3
	s_or_b32 exec_lo, exec_lo, s61
	v_lshlrev_b32_e32 v57, 16, v10
	s_delay_alu instid0(VALU_DEP_1) | instskip(NEXT) | instid1(VALU_DEP_1)
	v_mul_f32_e32 v58, v46, v57
	v_and_b32_e32 v57, 0x7f800000, v58
	s_delay_alu instid0(VALU_DEP_1) | instskip(SKIP_1) | instid1(SALU_CYCLE_1)
	v_cmp_ne_u32_e64 s13, 0x7f800000, v57
                                        ; implicit-def: $vgpr57
	s_and_saveexec_b32 s61, s13
	s_xor_b32 s13, exec_lo, s61
; %bb.287:                              ;   in Loop: Header=BB6_270 Depth=3
	v_bfe_u32 v57, v58, 16, 1
	s_delay_alu instid0(VALU_DEP_1)
	v_add3_u32 v57, v58, v57, 0x7fff
                                        ; implicit-def: $vgpr58
; %bb.288:                              ;   in Loop: Header=BB6_270 Depth=3
	s_and_not1_saveexec_b32 s61, s13
; %bb.289:                              ;   in Loop: Header=BB6_270 Depth=3
	v_and_b32_e32 v57, 0xffff, v58
	v_or_b32_e32 v59, 0x10000, v58
	s_delay_alu instid0(VALU_DEP_2) | instskip(NEXT) | instid1(VALU_DEP_1)
	v_cmp_eq_u32_e64 s13, 0, v57
	v_cndmask_b32_e64 v57, v59, v58, s13
; %bb.290:                              ;   in Loop: Header=BB6_270 Depth=3
	s_or_b32 exec_lo, exec_lo, s61
	v_and_b32_e32 v10, 0xffff0000, v10
	s_delay_alu instid0(VALU_DEP_1) | instskip(NEXT) | instid1(VALU_DEP_1)
	v_mul_f32_e32 v58, v46, v10
	v_and_b32_e32 v10, 0x7f800000, v58
	s_delay_alu instid0(VALU_DEP_1) | instskip(SKIP_1) | instid1(SALU_CYCLE_1)
	v_cmp_ne_u32_e64 s13, 0x7f800000, v10
                                        ; implicit-def: $vgpr10
	s_and_saveexec_b32 s61, s13
	s_xor_b32 s13, exec_lo, s61
; %bb.291:                              ;   in Loop: Header=BB6_270 Depth=3
	v_bfe_u32 v10, v58, 16, 1
	s_delay_alu instid0(VALU_DEP_1)
	v_add3_u32 v10, v58, v10, 0x7fff
                                        ; implicit-def: $vgpr58
; %bb.292:                              ;   in Loop: Header=BB6_270 Depth=3
	s_and_not1_saveexec_b32 s61, s13
; %bb.293:                              ;   in Loop: Header=BB6_270 Depth=3
	v_and_b32_e32 v10, 0xffff, v58
	v_or_b32_e32 v59, 0x10000, v58
	s_delay_alu instid0(VALU_DEP_2) | instskip(NEXT) | instid1(VALU_DEP_1)
	v_cmp_eq_u32_e64 s13, 0, v10
	v_cndmask_b32_e64 v10, v59, v58, s13
; %bb.294:                              ;   in Loop: Header=BB6_270 Depth=3
	s_or_b32 exec_lo, exec_lo, s61
	v_lshlrev_b32_e32 v58, 16, v11
	s_delay_alu instid0(VALU_DEP_1) | instskip(NEXT) | instid1(VALU_DEP_1)
	v_mul_f32_e32 v59, v46, v58
	v_and_b32_e32 v58, 0x7f800000, v59
	s_delay_alu instid0(VALU_DEP_1) | instskip(SKIP_1) | instid1(SALU_CYCLE_1)
	v_cmp_ne_u32_e64 s13, 0x7f800000, v58
                                        ; implicit-def: $vgpr58
	s_and_saveexec_b32 s61, s13
	s_xor_b32 s13, exec_lo, s61
; %bb.295:                              ;   in Loop: Header=BB6_270 Depth=3
	v_bfe_u32 v58, v59, 16, 1
	s_delay_alu instid0(VALU_DEP_1)
	v_add3_u32 v58, v59, v58, 0x7fff
                                        ; implicit-def: $vgpr59
; %bb.296:                              ;   in Loop: Header=BB6_270 Depth=3
	s_and_not1_saveexec_b32 s61, s13
; %bb.297:                              ;   in Loop: Header=BB6_270 Depth=3
	v_and_b32_e32 v58, 0xffff, v59
	v_or_b32_e32 v74, 0x10000, v59
	s_delay_alu instid0(VALU_DEP_2) | instskip(NEXT) | instid1(VALU_DEP_1)
	v_cmp_eq_u32_e64 s13, 0, v58
	v_cndmask_b32_e64 v58, v74, v59, s13
; %bb.298:                              ;   in Loop: Header=BB6_270 Depth=3
	s_or_b32 exec_lo, exec_lo, s61
	v_and_b32_e32 v11, 0xffff0000, v11
	s_delay_alu instid0(VALU_DEP_1) | instskip(NEXT) | instid1(VALU_DEP_1)
	v_mul_f32_e32 v59, v46, v11
	v_and_b32_e32 v11, 0x7f800000, v59
	s_delay_alu instid0(VALU_DEP_1) | instskip(SKIP_1) | instid1(SALU_CYCLE_1)
	v_cmp_ne_u32_e64 s13, 0x7f800000, v11
                                        ; implicit-def: $vgpr11
	s_and_saveexec_b32 s61, s13
	s_xor_b32 s13, exec_lo, s61
; %bb.299:                              ;   in Loop: Header=BB6_270 Depth=3
	v_bfe_u32 v11, v59, 16, 1
	s_delay_alu instid0(VALU_DEP_1)
	v_add3_u32 v11, v59, v11, 0x7fff
                                        ; implicit-def: $vgpr59
; %bb.300:                              ;   in Loop: Header=BB6_270 Depth=3
	s_and_not1_saveexec_b32 s61, s13
	s_cbranch_execz .LBB6_269
; %bb.301:                              ;   in Loop: Header=BB6_270 Depth=3
	v_and_b32_e32 v11, 0xffff, v59
	v_or_b32_e32 v74, 0x10000, v59
	s_delay_alu instid0(VALU_DEP_2) | instskip(NEXT) | instid1(VALU_DEP_1)
	v_cmp_eq_u32_e64 s13, 0, v11
	v_cndmask_b32_e64 v11, v74, v59, s13
	s_branch .LBB6_269
.LBB6_302:                              ;   in Loop: Header=BB6_57 Depth=2
	s_or_b32 exec_lo, exec_lo, s60
.LBB6_303:                              ;   in Loop: Header=BB6_57 Depth=2
	s_delay_alu instid0(SALU_CYCLE_1) | instskip(SKIP_1) | instid1(VALU_DEP_1)
	s_or_b32 exec_lo, exec_lo, s41
	v_cmp_lt_i32_e64 s13, 0, v43
	v_dual_cndmask_b32 v10, 0, v36, s13 :: v_dual_bitop2_b32 v8, 14, v13 bitop3:0x40
	s_delay_alu instid0(VALU_DEP_1) | instskip(NEXT) | instid1(VALU_DEP_1)
	v_dual_sub_nc_u32 v9, v42, v8 :: v_dual_cndmask_b32 v13, v42, v8, vcc_lo
	v_dual_cndmask_b32 v8, 0, v9 :: v_dual_sub_nc_u32 v9, v10, v43
	s_delay_alu instid0(VALU_DEP_2) | instskip(NEXT) | instid1(VALU_DEP_2)
	v_cmp_ne_u32_e32 vcc_lo, 0, v13
	v_add3_u32 v42, v41, v40, v8
	s_delay_alu instid0(VALU_DEP_3)
	v_lshl_add_u32 v43, v9, 5, v15
	s_and_b32 s41, vcc_lo, exec_lo
.LBB6_304:                              ;   in Loop: Header=BB6_57 Depth=2
	s_or_b32 exec_lo, exec_lo, s40
	s_and_saveexec_b32 s13, s41
	s_cbranch_execz .LBB6_349
.LBB6_305:                              ;   in Loop: Header=BB6_57 Depth=2
	s_delay_alu instid0(VALU_DEP_1) | instskip(SKIP_1) | instid1(VALU_DEP_1)
	v_dual_ashrrev_i32 v8, 31, v43 :: v_dual_ashrrev_i32 v9, 31, v13
	s_mov_b32 s40, exec_lo
	v_dual_lshrrev_b32 v8, 27, v8 :: v_dual_lshrrev_b32 v9, 23, v9
	s_delay_alu instid0(VALU_DEP_1) | instskip(NEXT) | instid1(VALU_DEP_1)
	v_dual_add_nc_u32 v8, v43, v8 :: v_dual_add_nc_u32 v9, v13, v9
	v_dual_ashrrev_i32 v15, 5, v8 :: v_dual_ashrrev_i32 v46, 9, v9
	s_delay_alu instid0(VALU_DEP_1) | instskip(NEXT) | instid1(VALU_DEP_1)
	v_sub_nc_u32_e32 v45, v46, v15
	v_cmpx_lt_i32_e32 0, v45
	s_cbranch_execz .LBB6_341
; %bb.306:                              ;   in Loop: Header=BB6_57 Depth=2
	s_trap 2
	ds_load_b32 v118, v0
	v_and_b32_e32 v8, 0x7fffffe0, v8
	v_mov_b64_e32 v[10:11], v[116:117]
	s_mov_b32 s41, 0
	s_delay_alu instid0(VALU_DEP_2) | instskip(SKIP_1) | instid1(VALU_DEP_1)
	v_dual_lshlrev_b32 v9, 9, v15 :: v_dual_sub_nc_u32 v8, v43, v8
	s_wait_dscnt 0x0
	v_dual_lshlrev_b32 v8, 1, v8 :: v_dual_lshlrev_b32 v47, 16, v118
	s_delay_alu instid0(VALU_DEP_1) | instskip(SKIP_1) | instid1(VALU_DEP_2)
	v_add3_u32 v8, v8, v42, v9
	v_mov_b64_e32 v[118:119], v[114:115]
	v_ashrrev_i32_e32 v9, 31, v8
	s_branch .LBB6_308
.LBB6_307:                              ;   in Loop: Header=BB6_308 Depth=3
	s_or_b32 exec_lo, exec_lo, s60
	v_sub_nc_u32_e32 v45, v45, v36
	v_add_nc_u64_e32 v[78:79], v[8:9], v[10:11]
	v_add_nc_u64_e32 v[118:119], v[118:119], v[54:55]
	;; [unrolled: 1-line block ×3, first 2 shown]
	s_clause 0x7
	flat_store_d16_hi_b16 v[78:79], v56 th:TH_STORE_NT
	flat_store_d16_hi_b16 v[78:79], v57 offset:64 th:TH_STORE_NT
	flat_store_d16_hi_b16 v[78:79], v58 offset:128 th:TH_STORE_NT
	;; [unrolled: 1-line block ×7, first 2 shown]
	v_cmp_gt_i32_e32 vcc_lo, 1, v45
	s_or_b32 s41, vcc_lo, s41
	s_wait_xcnt 0x0
	s_and_not1_b32 exec_lo, exec_lo, s41
	s_cbranch_execz .LBB6_340
.LBB6_308:                              ;   Parent Loop BB6_47 Depth=1
                                        ;     Parent Loop BB6_57 Depth=2
                                        ; =>    This Inner Loop Header: Depth=3
	s_delay_alu instid0(VALU_DEP_1) | instskip(SKIP_3) | instid1(VALU_DEP_1)
	v_add_nc_u64_e32 v[40:41], v[8:9], v[118:119]
	flat_load_u16 v56, v[40:41] th:TH_LOAD_NT
	s_wait_loadcnt_dscnt 0x0
	v_lshlrev_b32_e32 v56, 16, v56
	v_mul_f32_e32 v57, v47, v56
	s_delay_alu instid0(VALU_DEP_1) | instskip(NEXT) | instid1(VALU_DEP_1)
	v_and_b32_e32 v56, 0x7f800000, v57
	v_cmp_ne_u32_e32 vcc_lo, 0x7f800000, v56
                                        ; implicit-def: $vgpr56
	s_wait_xcnt 0x0
	s_and_saveexec_b32 s60, vcc_lo
	s_delay_alu instid0(SALU_CYCLE_1)
	s_xor_b32 s60, exec_lo, s60
; %bb.309:                              ;   in Loop: Header=BB6_308 Depth=3
	v_bfe_u32 v56, v57, 16, 1
	s_delay_alu instid0(VALU_DEP_1)
	v_add3_u32 v56, v57, v56, 0x7fff
                                        ; implicit-def: $vgpr57
; %bb.310:                              ;   in Loop: Header=BB6_308 Depth=3
	s_and_not1_saveexec_b32 s60, s60
; %bb.311:                              ;   in Loop: Header=BB6_308 Depth=3
	v_and_b32_e32 v56, 0xffff, v57
	v_or_b32_e32 v58, 0x10000, v57
	s_delay_alu instid0(VALU_DEP_2) | instskip(NEXT) | instid1(VALU_DEP_2)
	v_cmp_eq_u32_e32 vcc_lo, 0, v56
	v_cndmask_b32_e32 v56, v58, v57, vcc_lo
; %bb.312:                              ;   in Loop: Header=BB6_308 Depth=3
	s_or_b32 exec_lo, exec_lo, s60
	flat_load_u16 v57, v[40:41] offset:64 th:TH_LOAD_NT
	s_wait_loadcnt_dscnt 0x0
	v_lshlrev_b32_e32 v57, 16, v57
	s_delay_alu instid0(VALU_DEP_1) | instskip(NEXT) | instid1(VALU_DEP_1)
	v_mul_f32_e32 v58, v47, v57
	v_and_b32_e32 v57, 0x7f800000, v58
	s_delay_alu instid0(VALU_DEP_1) | instskip(SKIP_2) | instid1(SALU_CYCLE_1)
	v_cmp_ne_u32_e32 vcc_lo, 0x7f800000, v57
                                        ; implicit-def: $vgpr57
	s_wait_xcnt 0x0
	s_and_saveexec_b32 s60, vcc_lo
	s_xor_b32 s60, exec_lo, s60
; %bb.313:                              ;   in Loop: Header=BB6_308 Depth=3
	v_bfe_u32 v57, v58, 16, 1
	s_delay_alu instid0(VALU_DEP_1)
	v_add3_u32 v57, v58, v57, 0x7fff
                                        ; implicit-def: $vgpr58
; %bb.314:                              ;   in Loop: Header=BB6_308 Depth=3
	s_and_not1_saveexec_b32 s60, s60
; %bb.315:                              ;   in Loop: Header=BB6_308 Depth=3
	v_and_b32_e32 v57, 0xffff, v58
	v_or_b32_e32 v59, 0x10000, v58
	s_delay_alu instid0(VALU_DEP_2) | instskip(NEXT) | instid1(VALU_DEP_2)
	v_cmp_eq_u32_e32 vcc_lo, 0, v57
	v_cndmask_b32_e32 v57, v59, v58, vcc_lo
; %bb.316:                              ;   in Loop: Header=BB6_308 Depth=3
	s_or_b32 exec_lo, exec_lo, s60
	flat_load_u16 v58, v[40:41] offset:128 th:TH_LOAD_NT
	s_wait_loadcnt_dscnt 0x0
	v_lshlrev_b32_e32 v58, 16, v58
	s_delay_alu instid0(VALU_DEP_1) | instskip(NEXT) | instid1(VALU_DEP_1)
	v_mul_f32_e32 v59, v47, v58
	v_and_b32_e32 v58, 0x7f800000, v59
	s_delay_alu instid0(VALU_DEP_1) | instskip(SKIP_2) | instid1(SALU_CYCLE_1)
	v_cmp_ne_u32_e32 vcc_lo, 0x7f800000, v58
                                        ; implicit-def: $vgpr58
	s_wait_xcnt 0x0
	s_and_saveexec_b32 s60, vcc_lo
	s_xor_b32 s60, exec_lo, s60
; %bb.317:                              ;   in Loop: Header=BB6_308 Depth=3
	v_bfe_u32 v58, v59, 16, 1
	s_delay_alu instid0(VALU_DEP_1)
	v_add3_u32 v58, v59, v58, 0x7fff
                                        ; implicit-def: $vgpr59
; %bb.318:                              ;   in Loop: Header=BB6_308 Depth=3
	s_and_not1_saveexec_b32 s60, s60
; %bb.319:                              ;   in Loop: Header=BB6_308 Depth=3
	v_and_b32_e32 v58, 0xffff, v59
	v_or_b32_e32 v74, 0x10000, v59
	s_delay_alu instid0(VALU_DEP_2) | instskip(NEXT) | instid1(VALU_DEP_2)
	v_cmp_eq_u32_e32 vcc_lo, 0, v58
	v_cndmask_b32_e32 v58, v74, v59, vcc_lo
; %bb.320:                              ;   in Loop: Header=BB6_308 Depth=3
	s_or_b32 exec_lo, exec_lo, s60
	flat_load_u16 v59, v[40:41] offset:192 th:TH_LOAD_NT
	s_wait_loadcnt_dscnt 0x0
	v_lshlrev_b32_e32 v59, 16, v59
	s_delay_alu instid0(VALU_DEP_1) | instskip(NEXT) | instid1(VALU_DEP_1)
	v_mul_f32_e32 v74, v47, v59
	v_and_b32_e32 v59, 0x7f800000, v74
	s_delay_alu instid0(VALU_DEP_1) | instskip(SKIP_2) | instid1(SALU_CYCLE_1)
	v_cmp_ne_u32_e32 vcc_lo, 0x7f800000, v59
                                        ; implicit-def: $vgpr59
	s_wait_xcnt 0x0
	s_and_saveexec_b32 s60, vcc_lo
	s_xor_b32 s60, exec_lo, s60
; %bb.321:                              ;   in Loop: Header=BB6_308 Depth=3
	v_bfe_u32 v59, v74, 16, 1
	s_delay_alu instid0(VALU_DEP_1)
	v_add3_u32 v59, v74, v59, 0x7fff
                                        ; implicit-def: $vgpr74
; %bb.322:                              ;   in Loop: Header=BB6_308 Depth=3
	s_and_not1_saveexec_b32 s60, s60
; %bb.323:                              ;   in Loop: Header=BB6_308 Depth=3
	v_and_b32_e32 v59, 0xffff, v74
	v_or_b32_e32 v75, 0x10000, v74
	s_delay_alu instid0(VALU_DEP_2) | instskip(NEXT) | instid1(VALU_DEP_2)
	v_cmp_eq_u32_e32 vcc_lo, 0, v59
	v_cndmask_b32_e32 v59, v75, v74, vcc_lo
; %bb.324:                              ;   in Loop: Header=BB6_308 Depth=3
	s_or_b32 exec_lo, exec_lo, s60
	flat_load_u16 v74, v[40:41] offset:256 th:TH_LOAD_NT
	s_wait_loadcnt_dscnt 0x0
	v_lshlrev_b32_e32 v74, 16, v74
	s_delay_alu instid0(VALU_DEP_1) | instskip(NEXT) | instid1(VALU_DEP_1)
	v_mul_f32_e32 v75, v47, v74
	v_and_b32_e32 v74, 0x7f800000, v75
	s_delay_alu instid0(VALU_DEP_1) | instskip(SKIP_2) | instid1(SALU_CYCLE_1)
	v_cmp_ne_u32_e32 vcc_lo, 0x7f800000, v74
                                        ; implicit-def: $vgpr74
	s_wait_xcnt 0x0
	s_and_saveexec_b32 s60, vcc_lo
	s_xor_b32 s60, exec_lo, s60
; %bb.325:                              ;   in Loop: Header=BB6_308 Depth=3
	v_bfe_u32 v74, v75, 16, 1
	s_delay_alu instid0(VALU_DEP_1)
	v_add3_u32 v74, v75, v74, 0x7fff
                                        ; implicit-def: $vgpr75
; %bb.326:                              ;   in Loop: Header=BB6_308 Depth=3
	s_and_not1_saveexec_b32 s60, s60
; %bb.327:                              ;   in Loop: Header=BB6_308 Depth=3
	v_and_b32_e32 v74, 0xffff, v75
	v_or_b32_e32 v76, 0x10000, v75
	s_delay_alu instid0(VALU_DEP_2) | instskip(NEXT) | instid1(VALU_DEP_2)
	v_cmp_eq_u32_e32 vcc_lo, 0, v74
	v_cndmask_b32_e32 v74, v76, v75, vcc_lo
; %bb.328:                              ;   in Loop: Header=BB6_308 Depth=3
	s_or_b32 exec_lo, exec_lo, s60
	flat_load_u16 v75, v[40:41] offset:320 th:TH_LOAD_NT
	s_wait_loadcnt_dscnt 0x0
	v_lshlrev_b32_e32 v75, 16, v75
	s_delay_alu instid0(VALU_DEP_1) | instskip(NEXT) | instid1(VALU_DEP_1)
	v_mul_f32_e32 v76, v47, v75
	v_and_b32_e32 v75, 0x7f800000, v76
	s_delay_alu instid0(VALU_DEP_1) | instskip(SKIP_2) | instid1(SALU_CYCLE_1)
	v_cmp_ne_u32_e32 vcc_lo, 0x7f800000, v75
                                        ; implicit-def: $vgpr75
	s_wait_xcnt 0x0
	s_and_saveexec_b32 s60, vcc_lo
	s_xor_b32 s60, exec_lo, s60
; %bb.329:                              ;   in Loop: Header=BB6_308 Depth=3
	v_bfe_u32 v75, v76, 16, 1
	s_delay_alu instid0(VALU_DEP_1)
	v_add3_u32 v75, v76, v75, 0x7fff
                                        ; implicit-def: $vgpr76
; %bb.330:                              ;   in Loop: Header=BB6_308 Depth=3
	s_and_not1_saveexec_b32 s60, s60
; %bb.331:                              ;   in Loop: Header=BB6_308 Depth=3
	v_and_b32_e32 v75, 0xffff, v76
	v_or_b32_e32 v77, 0x10000, v76
	s_delay_alu instid0(VALU_DEP_2) | instskip(NEXT) | instid1(VALU_DEP_2)
	v_cmp_eq_u32_e32 vcc_lo, 0, v75
	v_cndmask_b32_e32 v75, v77, v76, vcc_lo
; %bb.332:                              ;   in Loop: Header=BB6_308 Depth=3
	s_or_b32 exec_lo, exec_lo, s60
	flat_load_u16 v76, v[40:41] offset:384 th:TH_LOAD_NT
	s_wait_loadcnt_dscnt 0x0
	v_lshlrev_b32_e32 v76, 16, v76
	s_delay_alu instid0(VALU_DEP_1) | instskip(NEXT) | instid1(VALU_DEP_1)
	v_mul_f32_e32 v77, v47, v76
	v_and_b32_e32 v76, 0x7f800000, v77
	s_delay_alu instid0(VALU_DEP_1) | instskip(SKIP_2) | instid1(SALU_CYCLE_1)
	v_cmp_ne_u32_e32 vcc_lo, 0x7f800000, v76
                                        ; implicit-def: $vgpr76
	s_wait_xcnt 0x0
	s_and_saveexec_b32 s60, vcc_lo
	s_xor_b32 s60, exec_lo, s60
; %bb.333:                              ;   in Loop: Header=BB6_308 Depth=3
	v_bfe_u32 v76, v77, 16, 1
	s_delay_alu instid0(VALU_DEP_1)
	v_add3_u32 v76, v77, v76, 0x7fff
                                        ; implicit-def: $vgpr77
; %bb.334:                              ;   in Loop: Header=BB6_308 Depth=3
	s_and_not1_saveexec_b32 s60, s60
; %bb.335:                              ;   in Loop: Header=BB6_308 Depth=3
	v_and_b32_e32 v76, 0xffff, v77
	v_or_b32_e32 v78, 0x10000, v77
	s_delay_alu instid0(VALU_DEP_2) | instskip(NEXT) | instid1(VALU_DEP_2)
	v_cmp_eq_u32_e32 vcc_lo, 0, v76
	v_cndmask_b32_e32 v76, v78, v77, vcc_lo
; %bb.336:                              ;   in Loop: Header=BB6_308 Depth=3
	s_or_b32 exec_lo, exec_lo, s60
	flat_load_u16 v40, v[40:41] offset:448 th:TH_LOAD_NT
	s_wait_loadcnt_dscnt 0x0
	v_lshlrev_b32_e32 v40, 16, v40
	s_delay_alu instid0(VALU_DEP_1) | instskip(NEXT) | instid1(VALU_DEP_1)
	v_mul_f32_e32 v41, v47, v40
	v_and_b32_e32 v40, 0x7f800000, v41
	s_delay_alu instid0(VALU_DEP_1) | instskip(SKIP_1) | instid1(SALU_CYCLE_1)
	v_cmp_ne_u32_e32 vcc_lo, 0x7f800000, v40
                                        ; implicit-def: $vgpr40
	s_and_saveexec_b32 s60, vcc_lo
	s_xor_b32 s60, exec_lo, s60
; %bb.337:                              ;   in Loop: Header=BB6_308 Depth=3
	v_bfe_u32 v40, v41, 16, 1
	s_delay_alu instid0(VALU_DEP_1)
	v_add3_u32 v40, v41, v40, 0x7fff
                                        ; implicit-def: $vgpr41
; %bb.338:                              ;   in Loop: Header=BB6_308 Depth=3
	s_and_not1_saveexec_b32 s60, s60
	s_cbranch_execz .LBB6_307
; %bb.339:                              ;   in Loop: Header=BB6_308 Depth=3
	v_and_b32_e32 v40, 0xffff, v41
	v_or_b32_e32 v77, 0x10000, v41
	s_delay_alu instid0(VALU_DEP_2) | instskip(NEXT) | instid1(VALU_DEP_2)
	v_cmp_eq_u32_e32 vcc_lo, 0, v40
	v_cndmask_b32_e32 v40, v77, v41, vcc_lo
	s_branch .LBB6_307
.LBB6_340:                              ;   in Loop: Header=BB6_57 Depth=2
	s_or_b32 exec_lo, exec_lo, s41
.LBB6_341:                              ;   in Loop: Header=BB6_57 Depth=2
	s_delay_alu instid0(SALU_CYCLE_1) | instskip(SKIP_1) | instid1(VALU_DEP_1)
	s_or_b32 exec_lo, exec_lo, s40
	v_lshlrev_b32_e32 v8, 9, v46
	v_cmp_ne_u32_e32 vcc_lo, v13, v8
	s_and_b32 exec_lo, exec_lo, vcc_lo
	s_cbranch_execz .LBB6_349
; %bb.342:                              ;   in Loop: Header=BB6_57 Depth=2
	v_dual_lshlrev_b32 v9, 5, v15 :: v_dual_lshlrev_b32 v10, 5, v45
	s_delay_alu instid0(VALU_DEP_1) | instskip(NEXT) | instid1(VALU_DEP_1)
	v_sub_nc_u32_e32 v9, v43, v9
	v_sub_nc_u32_e32 v9, v9, v10
	s_delay_alu instid0(VALU_DEP_1) | instskip(NEXT) | instid1(VALU_DEP_1)
	v_ashrrev_i32_e32 v10, 31, v9
	v_lshrrev_b32_e32 v10, 27, v10
	s_delay_alu instid0(VALU_DEP_1) | instskip(NEXT) | instid1(VALU_DEP_1)
	v_add_nc_u32_e32 v10, v9, v10
	v_and_b32_e32 v11, 0x7fffffe0, v10
	s_delay_alu instid0(VALU_DEP_1) | instskip(NEXT) | instid1(VALU_DEP_1)
	v_dual_lshlrev_b32 v10, 1, v10 :: v_dual_sub_nc_u32 v9, v9, v11
	v_and_b32_e32 v10, 0xffffffc0, v10
	s_delay_alu instid0(VALU_DEP_2) | instskip(NEXT) | instid1(VALU_DEP_1)
	v_lshlrev_b32_e32 v9, 1, v9
	v_add3_u32 v8, v10, v9, v8
	s_delay_alu instid0(VALU_DEP_1) | instskip(NEXT) | instid1(VALU_DEP_1)
	v_sub_nc_u32_e32 v10, v13, v8
	v_cmp_lt_i32_e32 vcc_lo, 1, v10
	s_and_b32 exec_lo, exec_lo, vcc_lo
	s_cbranch_execz .LBB6_349
; %bb.343:                              ;   in Loop: Header=BB6_57 Depth=2
	s_trap 2
	ds_load_b32 v11, v0
	v_add_nc_u32_e32 v8, v8, v42
	s_mov_b32 s40, 0
	s_wait_dscnt 0x0
	s_delay_alu instid0(VALU_DEP_1)
	v_dual_lshlrev_b32 v11, 16, v11 :: v_dual_ashrrev_i32 v9, 31, v8
	s_branch .LBB6_345
.LBB6_344:                              ;   in Loop: Header=BB6_345 Depth=3
	s_or_b32 exec_lo, exec_lo, s41
	v_sub_nc_u32_e32 v10, v10, v64
	v_add_nc_u64_e32 v[118:119], v[116:117], v[8:9]
	v_add_nc_u64_e32 v[8:9], v[8:9], v[64:65]
	s_delay_alu instid0(VALU_DEP_3)
	v_cmp_gt_i32_e32 vcc_lo, 2, v10
	flat_store_d16_hi_b16 v[118:119], v13 th:TH_STORE_NT
	s_or_b32 s40, vcc_lo, s40
	s_wait_xcnt 0x0
	s_and_not1_b32 exec_lo, exec_lo, s40
	s_cbranch_execz .LBB6_349
.LBB6_345:                              ;   Parent Loop BB6_47 Depth=1
                                        ;     Parent Loop BB6_57 Depth=2
                                        ; =>    This Inner Loop Header: Depth=3
	s_delay_alu instid0(VALU_DEP_1) | instskip(SKIP_3) | instid1(VALU_DEP_1)
	v_add_nc_u64_e32 v[118:119], v[114:115], v[8:9]
	flat_load_u16 v13, v[118:119] th:TH_LOAD_NT
	s_wait_loadcnt_dscnt 0x0
	v_lshlrev_b32_e32 v13, 16, v13
	v_mul_f32_e32 v15, v11, v13
	s_delay_alu instid0(VALU_DEP_1) | instskip(NEXT) | instid1(VALU_DEP_1)
	v_and_b32_e32 v13, 0x7f800000, v15
	v_cmp_ne_u32_e32 vcc_lo, 0x7f800000, v13
                                        ; implicit-def: $vgpr13
	s_wait_xcnt 0x0
	s_and_saveexec_b32 s41, vcc_lo
	s_delay_alu instid0(SALU_CYCLE_1)
	s_xor_b32 s41, exec_lo, s41
; %bb.346:                              ;   in Loop: Header=BB6_345 Depth=3
	v_bfe_u32 v13, v15, 16, 1
	s_delay_alu instid0(VALU_DEP_1)
	v_add3_u32 v13, v15, v13, 0x7fff
                                        ; implicit-def: $vgpr15
; %bb.347:                              ;   in Loop: Header=BB6_345 Depth=3
	s_and_not1_saveexec_b32 s41, s41
	s_cbranch_execz .LBB6_344
; %bb.348:                              ;   in Loop: Header=BB6_345 Depth=3
	v_and_b32_e32 v13, 0xffff, v15
	v_or_b32_e32 v118, 0x10000, v15
	s_delay_alu instid0(VALU_DEP_2) | instskip(NEXT) | instid1(VALU_DEP_2)
	v_cmp_eq_u32_e32 vcc_lo, 0, v13
	v_cndmask_b32_e32 v13, v118, v15, vcc_lo
	s_branch .LBB6_344
.LBB6_349:                              ;   in Loop: Header=BB6_57 Depth=2
	s_or_b32 exec_lo, exec_lo, s13
	v_cmp_lt_i32_e64 s13, 0, v2
	s_and_saveexec_b32 s40, s2
	s_cbranch_execz .LBB6_130
.LBB6_350:                              ;   in Loop: Header=BB6_57 Depth=2
	s_and_saveexec_b32 s41, s3
	s_delay_alu instid0(SALU_CYCLE_1)
	s_xor_b32 s41, exec_lo, s41
	s_cbranch_execz .LBB6_365
; %bb.351:                              ;   in Loop: Header=BB6_57 Depth=2
	s_and_saveexec_b32 s60, s6
	s_cbranch_execz .LBB6_364
; %bb.352:                              ;   in Loop: Header=BB6_57 Depth=2
	s_mov_b32 s62, exec_lo
	s_mov_b32 s61, exec_lo
	v_mbcnt_lo_u32_b32 v2, s62, 0
	global_wb scope:SCOPE_DEV
	s_wait_storecnt 0x0
	s_wait_loadcnt_dscnt 0x0
	global_inv scope:SCOPE_DEV
	v_cmpx_eq_u32_e32 0, v2
	s_cbranch_execz .LBB6_354
; %bb.353:                              ;   in Loop: Header=BB6_57 Depth=2
	s_bcnt1_i32_b32 s62, s62
	s_delay_alu instid0(SALU_CYCLE_1)
	v_mov_b32_e32 v2, s62
	s_wait_loadcnt 0x0
	ds_add_u64 v0, v[2:3]
	s_trap 2
.LBB6_354:                              ;   in Loop: Header=BB6_57 Depth=2
	s_or_b32 exec_lo, exec_lo, s61
	s_trap 2
	ds_load_b64 v[8:9], v0
	s_wait_dscnt 0x0
	v_add_nc_u64_e32 v[32:33], v[32:33], v[36:37]
	s_mov_b32 s61, exec_lo
	s_delay_alu instid0(VALU_DEP_1)
	v_cmpx_lt_u64_e64 v[8:9], v[32:33]
	s_cbranch_execz .LBB6_363
; %bb.355:                              ;   in Loop: Header=BB6_57 Depth=2
	s_mov_b32 s62, 0
	s_mov_b32 s73, 0
                                        ; implicit-def: $sgpr63
                                        ; implicit-def: $sgpr72
	s_branch .LBB6_357
.LBB6_356:                              ;   in Loop: Header=BB6_357 Depth=3
	s_or_b32 exec_lo, exec_lo, s75
	s_delay_alu instid0(SALU_CYCLE_1) | instskip(NEXT) | instid1(SALU_CYCLE_1)
	s_and_b32 s74, exec_lo, s76
	s_or_b32 s62, s74, s62
	s_and_not1_b32 s63, s63, exec_lo
	s_and_b32 s74, s72, exec_lo
	s_delay_alu instid0(SALU_CYCLE_1)
	s_or_b32 s63, s63, s74
	s_and_not1_b32 exec_lo, exec_lo, s62
	s_cbranch_execz .LBB6_361
.LBB6_357:                              ;   Parent Loop BB6_47 Depth=1
                                        ;     Parent Loop BB6_57 Depth=2
                                        ; =>    This Inner Loop Header: Depth=3
	s_add_co_i32 s73, s73, 1
	s_delay_alu instid0(SALU_CYCLE_1) | instskip(SKIP_1) | instid1(SALU_CYCLE_1)
	s_cmp_lg_u32 s73, 0x2710
	s_cselect_b32 s74, -1, 0
	s_and_b32 vcc_lo, exec_lo, s74
	s_cbranch_vccz .LBB6_359
; %bb.358:                              ;   in Loop: Header=BB6_357 Depth=3
	s_mov_b32 s76, -1
	s_or_b32 s72, s72, exec_lo
	s_and_saveexec_b32 s75, s74
	s_cbranch_execz .LBB6_356
	s_branch .LBB6_360
.LBB6_359:                              ;   in Loop: Header=BB6_357 Depth=3
	s_trap 2
	ds_load_b64 v[8:9], v0
	s_and_not1_b32 s74, s74, exec_lo
	s_mov_b32 s73, 0
	s_wait_loadcnt_dscnt 0x0
	flat_load_b32 v2, v[8:9] scope:SCOPE_SYS
	s_wait_loadcnt_dscnt 0x0
	global_inv scope:SCOPE_SYS
	v_cmp_eq_u32_e32 vcc_lo, 0, v2
	s_and_b32 s75, vcc_lo, exec_lo
	s_delay_alu instid0(SALU_CYCLE_1)
	s_or_b32 s74, s74, s75
	s_mov_b32 s76, -1
	s_or_b32 s72, s72, exec_lo
	s_and_saveexec_b32 s75, s74
	s_cbranch_execz .LBB6_356
.LBB6_360:                              ;   in Loop: Header=BB6_357 Depth=3
	s_sleep 1
	s_trap 2
	ds_load_b64 v[8:9], v0
	s_wait_dscnt 0x0
	s_and_not1_b32 s72, s72, exec_lo
	v_cmp_ge_u64_e32 vcc_lo, v[8:9], v[32:33]
	s_or_not1_b32 s76, vcc_lo, exec_lo
	s_branch .LBB6_356
.LBB6_361:                              ;   in Loop: Header=BB6_57 Depth=2
	s_or_b32 exec_lo, exec_lo, s62
	s_and_saveexec_b32 s62, s63
	s_delay_alu instid0(SALU_CYCLE_1)
	s_xor_b32 s62, exec_lo, s62
	s_cbranch_execz .LBB6_363
; %bb.362:                              ;   in Loop: Header=BB6_57 Depth=2
	ds_store_b32 v0, v63
	s_trap 2
.LBB6_363:                              ;   in Loop: Header=BB6_57 Depth=2
	s_or_b32 exec_lo, exec_lo, s61
	;;#ASMSTART
	s_wakeup
	;;#ASMEND
.LBB6_364:                              ;   in Loop: Header=BB6_57 Depth=2
	s_or_b32 exec_lo, exec_lo, s60
.LBB6_365:                              ;   in Loop: Header=BB6_57 Depth=2
	s_and_not1_saveexec_b32 s41, s41
	s_cbranch_execz .LBB6_367
; %bb.366:                              ;   in Loop: Header=BB6_57 Depth=2
	global_wb scope:SCOPE_DEV
	s_wait_storecnt 0x0
	s_wait_loadcnt_dscnt 0x0
	global_inv scope:SCOPE_DEV
	s_barrier_signal -1
	s_barrier_wait -1
.LBB6_367:                              ;   in Loop: Header=BB6_57 Depth=2
	s_or_b32 exec_lo, exec_lo, s41
	s_delay_alu instid0(SALU_CYCLE_1) | instskip(SKIP_1) | instid1(SALU_CYCLE_1)
	s_or_b32 exec_lo, exec_lo, s40
                                        ; implicit-def: $vgpr2
	s_and_saveexec_b32 s40, s12
	s_xor_b32 s40, exec_lo, s40
	s_cbranch_execnz .LBB6_131
.LBB6_368:                              ;   in Loop: Header=BB6_57 Depth=2
	s_and_not1_saveexec_b32 s13, s40
	s_cbranch_execz .LBB6_387
.LBB6_369:                              ;   in Loop: Header=BB6_57 Depth=2
	s_and_saveexec_b32 s40, s3
	s_delay_alu instid0(SALU_CYCLE_1)
	s_xor_b32 s40, exec_lo, s40
	s_cbranch_execz .LBB6_384
; %bb.370:                              ;   in Loop: Header=BB6_57 Depth=2
	s_and_saveexec_b32 s41, s6
	s_cbranch_execz .LBB6_383
; %bb.371:                              ;   in Loop: Header=BB6_57 Depth=2
	s_mov_b32 s61, exec_lo
	s_mov_b32 s60, exec_lo
	v_mbcnt_lo_u32_b32 v2, s61, 0
	;;#ASMSTART
	s_waitcnt lgkmcnt(0) vmcnt(0)
	;;#ASMEND
	s_delay_alu instid0(VALU_DEP_1)
	v_cmpx_eq_u32_e32 0, v2
	s_cbranch_execz .LBB6_373
; %bb.372:                              ;   in Loop: Header=BB6_57 Depth=2
	s_bcnt1_i32_b32 s61, s61
	s_delay_alu instid0(SALU_CYCLE_1)
	v_mov_b32_e32 v2, s61
	s_wait_storecnt 0x0
	s_wait_loadcnt_dscnt 0x0
	ds_add_u64 v0, v[2:3]
	s_trap 2
.LBB6_373:                              ;   in Loop: Header=BB6_57 Depth=2
	s_or_b32 exec_lo, exec_lo, s60
	s_trap 2
	ds_load_b64 v[8:9], v0
	s_wait_dscnt 0x0
	v_add_nc_u64_e32 v[32:33], v[32:33], v[36:37]
	s_mov_b32 s60, exec_lo
	s_delay_alu instid0(VALU_DEP_1)
	v_cmpx_lt_u64_e64 v[8:9], v[32:33]
	s_cbranch_execz .LBB6_382
; %bb.374:                              ;   in Loop: Header=BB6_57 Depth=2
	s_mov_b32 s61, 0
	s_mov_b32 s72, 0
                                        ; implicit-def: $sgpr62
                                        ; implicit-def: $sgpr63
	s_branch .LBB6_376
.LBB6_375:                              ;   in Loop: Header=BB6_376 Depth=3
	s_or_b32 exec_lo, exec_lo, s74
	s_delay_alu instid0(SALU_CYCLE_1) | instskip(NEXT) | instid1(SALU_CYCLE_1)
	s_and_b32 s73, exec_lo, s75
	s_or_b32 s61, s73, s61
	s_and_not1_b32 s62, s62, exec_lo
	s_and_b32 s73, s63, exec_lo
	s_delay_alu instid0(SALU_CYCLE_1)
	s_or_b32 s62, s62, s73
	s_and_not1_b32 exec_lo, exec_lo, s61
	s_cbranch_execz .LBB6_380
.LBB6_376:                              ;   Parent Loop BB6_47 Depth=1
                                        ;     Parent Loop BB6_57 Depth=2
                                        ; =>    This Inner Loop Header: Depth=3
	s_add_co_i32 s72, s72, 1
	s_delay_alu instid0(SALU_CYCLE_1) | instskip(SKIP_1) | instid1(SALU_CYCLE_1)
	s_cmp_lg_u32 s72, 0x2710
	s_cselect_b32 s73, -1, 0
	s_and_b32 vcc_lo, exec_lo, s73
	s_cbranch_vccz .LBB6_378
; %bb.377:                              ;   in Loop: Header=BB6_376 Depth=3
	s_mov_b32 s75, -1
	s_or_b32 s63, s63, exec_lo
	s_and_saveexec_b32 s74, s73
	s_cbranch_execz .LBB6_375
	s_branch .LBB6_379
.LBB6_378:                              ;   in Loop: Header=BB6_376 Depth=3
	s_trap 2
	ds_load_b64 v[8:9], v0
	s_and_not1_b32 s73, s73, exec_lo
	s_mov_b32 s72, 0
	s_wait_storecnt 0x0
	s_wait_loadcnt_dscnt 0x0
	flat_load_b32 v2, v[8:9] scope:SCOPE_SYS
	s_wait_loadcnt_dscnt 0x0
	global_inv scope:SCOPE_SYS
	v_cmp_eq_u32_e32 vcc_lo, 0, v2
	s_and_b32 s74, vcc_lo, exec_lo
	s_delay_alu instid0(SALU_CYCLE_1)
	s_or_b32 s73, s73, s74
	s_mov_b32 s75, -1
	s_or_b32 s63, s63, exec_lo
	s_and_saveexec_b32 s74, s73
	s_cbranch_execz .LBB6_375
.LBB6_379:                              ;   in Loop: Header=BB6_376 Depth=3
	s_sleep 1
	s_trap 2
	ds_load_b64 v[8:9], v0
	s_wait_dscnt 0x0
	s_and_not1_b32 s63, s63, exec_lo
	v_cmp_ge_u64_e32 vcc_lo, v[8:9], v[32:33]
	s_or_not1_b32 s75, vcc_lo, exec_lo
	s_branch .LBB6_375
.LBB6_380:                              ;   in Loop: Header=BB6_57 Depth=2
	s_or_b32 exec_lo, exec_lo, s61
	s_and_saveexec_b32 s61, s62
	s_delay_alu instid0(SALU_CYCLE_1)
	s_xor_b32 s61, exec_lo, s61
	s_cbranch_execz .LBB6_382
; %bb.381:                              ;   in Loop: Header=BB6_57 Depth=2
	ds_store_b32 v0, v63
	s_trap 2
.LBB6_382:                              ;   in Loop: Header=BB6_57 Depth=2
	s_or_b32 exec_lo, exec_lo, s60
	;;#ASMSTART
	s_wakeup
	;;#ASMEND
.LBB6_383:                              ;   in Loop: Header=BB6_57 Depth=2
	s_or_b32 exec_lo, exec_lo, s41
.LBB6_384:                              ;   in Loop: Header=BB6_57 Depth=2
	s_and_not1_saveexec_b32 s40, s40
	s_cbranch_execz .LBB6_386
; %bb.385:                              ;   in Loop: Header=BB6_57 Depth=2
	;;#ASMSTART
	s_waitcnt lgkmcnt(0) vmcnt(0)
	;;#ASMEND
	s_barrier_signal -1
	s_barrier_wait -1
.LBB6_386:                              ;   in Loop: Header=BB6_57 Depth=2
	s_or_b32 exec_lo, exec_lo, s40
	v_and_b32_e32 v2, 16, v30
.LBB6_387:                              ;   in Loop: Header=BB6_57 Depth=2
	s_or_b32 exec_lo, exec_lo, s13
	s_delay_alu instid0(SALU_CYCLE_1) | instskip(NEXT) | instid1(VALU_DEP_1)
	s_mov_b32 s13, exec_lo
	v_cmpx_ne_u32_e32 0, v2
	s_cbranch_execz .LBB6_56
; %bb.388:                              ;   in Loop: Header=BB6_57 Depth=2
	s_and_saveexec_b32 s40, s5
	s_cbranch_execz .LBB6_55
; %bb.389:                              ;   in Loop: Header=BB6_57 Depth=2
	global_wb scope:SCOPE_SYS
	s_wait_storecnt 0x0
	s_wait_loadcnt_dscnt 0x0
	flat_store_b32 v[28:29], v63 scope:SCOPE_SYS
	s_branch .LBB6_55
.LBB6_390:                              ;   in Loop: Header=BB6_47 Depth=1
	s_or_b32 exec_lo, exec_lo, s15
.LBB6_391:                              ;   in Loop: Header=BB6_47 Depth=1
	s_delay_alu instid0(SALU_CYCLE_1) | instskip(NEXT) | instid1(SALU_CYCLE_1)
	s_or_b32 exec_lo, exec_lo, s14
	s_mov_b32 s14, exec_lo
	v_cmpx_gt_i32_e32 2, v2
	s_cbranch_execz .LBB6_465
; %bb.392:                              ;   in Loop: Header=BB6_47 Depth=1
	v_cmp_eq_u32_e64 s18, 0, v2
	s_mov_b32 s15, 0
	s_branch .LBB6_395
.LBB6_393:                              ;   in Loop: Header=BB6_395 Depth=2
	s_wait_xcnt 0x0
	s_or_b32 exec_lo, exec_lo, s18
	v_add_nc_u64_e32 v[98:99], 2, v[98:99]
	global_wb scope:SCOPE_SYS
	s_wait_storecnt 0x0
	s_wait_loadcnt_dscnt 0x0
	flat_store_b64 v[22:23], v[98:99] scope:SCOPE_SYS
.LBB6_394:                              ;   in Loop: Header=BB6_395 Depth=2
	s_wait_xcnt 0x0
	s_or_b32 exec_lo, exec_lo, s13
	v_add_nc_u32_e32 v14, v12, v14
	s_mov_b32 s18, 0
	s_and_not1_b32 exec_lo, exec_lo, s15
	s_cbranch_execz .LBB6_464
.LBB6_395:                              ;   Parent Loop BB6_47 Depth=1
                                        ; =>  This Loop Header: Depth=2
                                        ;       Child Loop BB6_401 Depth 3
                                        ;       Child Loop BB6_425 Depth 3
	;; [unrolled: 1-line block ×3, first 2 shown]
	s_delay_alu instid0(VALU_DEP_1) | instskip(SKIP_2) | instid1(VALU_DEP_2)
	v_sub_nc_u32_e32 v2, v44, v14
	v_and_b32_e32 v8, 8, v30
	s_mov_b32 s27, exec_lo
	v_min_i32_e32 v12, v12, v2
	s_delay_alu instid0(VALU_DEP_2)
	v_cmpx_ne_u32_e32 0, v8
	s_cbranch_execz .LBB6_417
; %bb.396:                              ;   in Loop: Header=BB6_395 Depth=2
	s_wait_loadcnt_dscnt 0x1
	v_add_nc_u64_e32 v[10:11], 8, v[34:35]
	v_add_nc_u64_e32 v[8:9], 2, v[98:99]
	s_mov_b32 s40, exec_lo
	s_delay_alu instid0(VALU_DEP_1)
	v_cmpx_lt_u64_e64 v[10:11], v[8:9]
	s_cbranch_execz .LBB6_408
; %bb.397:                              ;   in Loop: Header=BB6_395 Depth=2
	v_and_b32_e32 v2, 64, v30
	s_mov_b32 s41, 0
	s_mov_b32 s63, 0
                                        ; implicit-def: $sgpr60
                                        ; implicit-def: $sgpr61
                                        ; implicit-def: $sgpr62
	s_delay_alu instid0(VALU_DEP_1)
	v_cmp_eq_u32_e32 vcc_lo, 0, v2
	s_branch .LBB6_401
.LBB6_398:                              ;   in Loop: Header=BB6_401 Depth=3
	s_wait_loadcnt_dscnt 0x0
	v_add_nc_u64_e32 v[10:11], 8, v[34:35]
	s_or_b32 s74, s74, exec_lo
	s_delay_alu instid0(VALU_DEP_1)
	v_cmp_ge_u64_e64 s13, v[10:11], v[8:9]
	s_or_not1_b32 s73, s13, exec_lo
.LBB6_399:                              ;   in Loop: Header=BB6_401 Depth=3
	s_or_b32 exec_lo, exec_lo, s76
	s_delay_alu instid0(SALU_CYCLE_1)
	s_and_not1_b32 s13, s62, exec_lo
	s_and_b32 s62, s74, exec_lo
	s_and_not1_b32 s61, s61, exec_lo
	s_and_b32 s73, s73, exec_lo
	s_or_b32 s62, s13, s62
	s_or_b32 s61, s61, s73
.LBB6_400:                              ;   in Loop: Header=BB6_401 Depth=3
	s_or_b32 exec_lo, exec_lo, s72
	s_delay_alu instid0(SALU_CYCLE_1) | instskip(NEXT) | instid1(SALU_CYCLE_1)
	s_and_b32 s13, exec_lo, s61
	s_or_b32 s41, s13, s41
	s_and_not1_b32 s13, s60, exec_lo
	s_and_b32 s60, s62, exec_lo
	s_delay_alu instid0(SALU_CYCLE_1)
	s_or_b32 s60, s13, s60
	s_and_not1_b32 exec_lo, exec_lo, s41
	s_cbranch_execz .LBB6_405
.LBB6_401:                              ;   Parent Loop BB6_47 Depth=1
                                        ;     Parent Loop BB6_395 Depth=2
                                        ; =>    This Inner Loop Header: Depth=3
	s_sleep 1
	s_wait_loadcnt_dscnt 0x0
	flat_load_b64 v[34:35], v[22:23] scope:SCOPE_SYS
	s_or_b32 s62, s62, exec_lo
	s_or_b32 s61, s61, exec_lo
                                        ; implicit-def: $vgpr2
	s_wait_xcnt 0x0
	s_and_saveexec_b32 s72, vcc_lo
	s_cbranch_execz .LBB6_400
; %bb.402:                              ;   in Loop: Header=BB6_401 Depth=3
	s_cmp_lt_i32 s63, 0x270f
	s_mov_b32 s73, -1
	s_cselect_b32 s75, -1, 0
	s_cmp_gt_i32 s63, 0x270e
	s_cbranch_scc0 .LBB6_404
; %bb.403:                              ;   in Loop: Header=BB6_401 Depth=3
	s_trap 2
	ds_load_b64 v[10:11], v0
	s_and_not1_b32 s63, s75, exec_lo
	s_mov_b32 s74, 0
	s_wait_storecnt 0x0
	s_wait_loadcnt_dscnt 0x0
	flat_load_b32 v2, v[10:11] scope:SCOPE_SYS
	s_wait_loadcnt_dscnt 0x0
	global_inv scope:SCOPE_SYS
	v_cmp_eq_u32_e64 s13, 0, v2
	s_and_b32 s13, s13, exec_lo
	s_delay_alu instid0(SALU_CYCLE_1)
	s_or_b32 s75, s63, s13
	s_mov_b32 s63, 0
	s_and_saveexec_b32 s76, s75
	s_cbranch_execz .LBB6_399
	s_branch .LBB6_398
.LBB6_404:                              ;   in Loop: Header=BB6_401 Depth=3
	s_add_co_i32 s63, s63, 1
	s_mov_b32 s74, -1
                                        ; implicit-def: $vgpr2
	s_and_saveexec_b32 s76, s75
	s_cbranch_execz .LBB6_399
	s_branch .LBB6_398
.LBB6_405:                              ;   in Loop: Header=BB6_395 Depth=2
	s_or_b32 exec_lo, exec_lo, s41
	s_xor_b32 s13, s60, -1
	s_delay_alu instid0(SALU_CYCLE_1) | instskip(NEXT) | instid1(SALU_CYCLE_1)
	s_and_saveexec_b32 s41, s13
	s_xor_b32 s13, exec_lo, s41
	s_cbranch_execz .LBB6_407
; %bb.406:                              ;   in Loop: Header=BB6_395 Depth=2
	v_or_b32_e32 v30, 64, v30
	s_wait_storecnt 0x0
	s_wait_loadcnt_dscnt 0x0
	ds_store_b32 v0, v2
	s_trap 2
.LBB6_407:                              ;   in Loop: Header=BB6_395 Depth=2
	s_or_b32 exec_lo, exec_lo, s13
.LBB6_408:                              ;   in Loop: Header=BB6_395 Depth=2
	s_delay_alu instid0(SALU_CYCLE_1) | instskip(SKIP_4) | instid1(VALU_DEP_1)
	s_or_b32 exec_lo, exec_lo, s40
	v_and_b32_e32 v2, 0x100, v30
	s_mov_b32 s40, 0
	s_mov_b32 s13, exec_lo
	;;#ASMSTART
	s_wakeup
	;;#ASMEND
                                        ; implicit-def: $vgpr10_vgpr11
	v_cmpx_ne_u32_e32 0, v2
	s_xor_b32 s13, exec_lo, s13
	s_cbranch_execz .LBB6_429
; %bb.409:                              ;   in Loop: Header=BB6_395 Depth=2
	v_dual_ashrrev_i32 v13, 31, v12 :: v_dual_bitop2_b32 v2, 7, v98 bitop3:0x40
	s_mov_b32 s40, -1
	s_mov_b32 s41, exec_lo
	s_delay_alu instid0(VALU_DEP_1) | instskip(NEXT) | instid1(VALU_DEP_2)
	v_mad_nc_u64_u32 v[98:99], v2, 24, v[6:7]
	v_lshlrev_b64_e32 v[10:11], 1, v[12:13]
	s_clause 0x1
	flat_load_b32 v15, v[98:99]
	flat_store_b64 v[98:99], v[10:11] offset:8
                                        ; implicit-def: $vgpr10_vgpr11
	s_wait_loadcnt_dscnt 0x1
	v_cmpx_eq_u32_e32 1, v15
	s_cbranch_execz .LBB6_411
; %bb.410:                              ;   in Loop: Header=BB6_395 Depth=2
	flat_load_b32 v10, v[98:99] offset:4 scope:SCOPE_SYS
	s_xor_b32 s40, exec_lo, -1
	s_wait_loadcnt_dscnt 0x0
	v_ashrrev_i32_e32 v11, 31, v10
	s_delay_alu instid0(VALU_DEP_1)
	v_lshrrev_b64 v[10:11], 1, v[10:11]
.LBB6_411:                              ;   in Loop: Header=BB6_395 Depth=2
	s_wait_xcnt 0x0
	s_or_b32 exec_lo, exec_lo, s41
	s_delay_alu instid0(SALU_CYCLE_1)
	s_and_b32 s40, s40, exec_lo
                                        ; implicit-def: $vgpr98_vgpr99
	s_and_not1_saveexec_b32 s13, s13
	s_cbranch_execnz .LBB6_430
.LBB6_412:                              ;   in Loop: Header=BB6_395 Depth=2
	s_or_b32 exec_lo, exec_lo, s13
	s_and_saveexec_b32 s13, s40
.LBB6_413:                              ;   in Loop: Header=BB6_395 Depth=2
	v_mul_u64_e32 v[10:11], v[2:3], v[24:25]
.LBB6_414:                              ;   in Loop: Header=BB6_395 Depth=2
	s_or_b32 exec_lo, exec_lo, s13
	v_and_b32_e32 v2, 0x2000, v30
	s_delay_alu instid0(VALU_DEP_2)
	v_lshl_add_u64 v[10:11], v[10:11], 1, v[26:27]
	s_mov_b32 s13, exec_lo
	ds_store_b64 v0, v[10:11] offset:784
	v_cmpx_ne_u32_e32 0, v2
	s_cbranch_execz .LBB6_416
; %bb.415:                              ;   in Loop: Header=BB6_395 Depth=2
	ds_load_b64 v[10:11], v0 offset:872
	s_wait_dscnt 0x0
	v_add_nc_u64_e32 v[10:11], 1, v[10:11]
	ds_store_b64 v0, v[10:11] offset:872
.LBB6_416:                              ;   in Loop: Header=BB6_395 Depth=2
	s_or_b32 exec_lo, exec_lo, s13
	v_mov_b64_e32 v[98:99], v[8:9]
.LBB6_417:                              ;   in Loop: Header=BB6_395 Depth=2
	s_or_b32 exec_lo, exec_lo, s27
	s_xor_b32 s13, s18, -1
	s_delay_alu instid0(SALU_CYCLE_1) | instskip(NEXT) | instid1(SALU_CYCLE_1)
	s_and_b32 s13, exec_lo, s13
	s_or_b32 s15, s13, s15
	s_and_saveexec_b32 s13, s2
	s_cbranch_execz .LBB6_438
; %bb.418:                              ;   in Loop: Header=BB6_395 Depth=2
	s_and_saveexec_b32 s18, s3
	s_delay_alu instid0(SALU_CYCLE_1)
	s_xor_b32 s18, exec_lo, s18
	s_cbranch_execz .LBB6_435
; %bb.419:                              ;   in Loop: Header=BB6_395 Depth=2
	s_and_saveexec_b32 s27, s6
	s_cbranch_execz .LBB6_434
; %bb.420:                              ;   in Loop: Header=BB6_395 Depth=2
	s_mov_b32 s41, exec_lo
	s_mov_b32 s40, exec_lo
	v_mbcnt_lo_u32_b32 v2, s41, 0
	global_wb scope:SCOPE_DEV
	s_wait_storecnt 0x0
	s_wait_loadcnt_dscnt 0x0
	global_inv scope:SCOPE_DEV
	v_cmpx_eq_u32_e32 0, v2
	s_cbranch_execz .LBB6_422
; %bb.421:                              ;   in Loop: Header=BB6_395 Depth=2
	s_bcnt1_i32_b32 s41, s41
	s_delay_alu instid0(SALU_CYCLE_1)
	v_mov_b32_e32 v2, s41
	s_wait_loadcnt 0x0
	ds_add_u64 v0, v[2:3]
	s_trap 2
.LBB6_422:                              ;   in Loop: Header=BB6_395 Depth=2
	s_or_b32 exec_lo, exec_lo, s40
	s_trap 2
	ds_load_b64 v[8:9], v0
	s_wait_dscnt 0x0
	v_add_nc_u64_e32 v[32:33], v[32:33], v[36:37]
	s_mov_b32 s40, exec_lo
	s_delay_alu instid0(VALU_DEP_1)
	v_cmpx_lt_u64_e64 v[8:9], v[32:33]
	s_cbranch_execz .LBB6_433
; %bb.423:                              ;   in Loop: Header=BB6_395 Depth=2
	s_mov_b32 s41, 0
	s_mov_b32 s62, 0
                                        ; implicit-def: $sgpr60
                                        ; implicit-def: $sgpr61
	s_branch .LBB6_425
.LBB6_424:                              ;   in Loop: Header=BB6_425 Depth=3
	s_or_b32 exec_lo, exec_lo, s72
	s_delay_alu instid0(SALU_CYCLE_1) | instskip(NEXT) | instid1(SALU_CYCLE_1)
	s_and_b32 s63, exec_lo, s73
	s_or_b32 s41, s63, s41
	s_and_not1_b32 s60, s60, exec_lo
	s_and_b32 s63, s61, exec_lo
	s_delay_alu instid0(SALU_CYCLE_1)
	s_or_b32 s60, s60, s63
	s_and_not1_b32 exec_lo, exec_lo, s41
	s_cbranch_execz .LBB6_431
.LBB6_425:                              ;   Parent Loop BB6_47 Depth=1
                                        ;     Parent Loop BB6_395 Depth=2
                                        ; =>    This Inner Loop Header: Depth=3
	s_add_co_i32 s62, s62, 1
	s_delay_alu instid0(SALU_CYCLE_1) | instskip(SKIP_1) | instid1(SALU_CYCLE_1)
	s_cmp_lg_u32 s62, 0x2710
	s_cselect_b32 s63, -1, 0
	s_and_b32 vcc_lo, exec_lo, s63
	s_cbranch_vccz .LBB6_427
; %bb.426:                              ;   in Loop: Header=BB6_425 Depth=3
	s_mov_b32 s73, -1
	s_or_b32 s61, s61, exec_lo
	s_and_saveexec_b32 s72, s63
	s_cbranch_execz .LBB6_424
	s_branch .LBB6_428
.LBB6_427:                              ;   in Loop: Header=BB6_425 Depth=3
	s_trap 2
	ds_load_b64 v[8:9], v0
	s_and_not1_b32 s63, s63, exec_lo
	s_mov_b32 s62, 0
	s_wait_loadcnt_dscnt 0x0
	flat_load_b32 v2, v[8:9] scope:SCOPE_SYS
	s_wait_loadcnt_dscnt 0x0
	global_inv scope:SCOPE_SYS
	v_cmp_eq_u32_e32 vcc_lo, 0, v2
	s_and_b32 s72, vcc_lo, exec_lo
	s_delay_alu instid0(SALU_CYCLE_1)
	s_or_b32 s63, s63, s72
	s_mov_b32 s73, -1
	s_or_b32 s61, s61, exec_lo
	s_and_saveexec_b32 s72, s63
	s_cbranch_execz .LBB6_424
.LBB6_428:                              ;   in Loop: Header=BB6_425 Depth=3
	s_sleep 1
	s_trap 2
	ds_load_b64 v[8:9], v0
	s_wait_dscnt 0x0
	s_and_not1_b32 s61, s61, exec_lo
	v_cmp_ge_u64_e32 vcc_lo, v[8:9], v[32:33]
	s_or_not1_b32 s73, vcc_lo, exec_lo
	s_branch .LBB6_424
.LBB6_429:                              ;   in Loop: Header=BB6_395 Depth=2
	s_and_not1_saveexec_b32 s13, s13
	s_cbranch_execz .LBB6_412
.LBB6_430:                              ;   in Loop: Header=BB6_395 Depth=2
	v_and_b32_e32 v2, 7, v98
	s_or_b32 s40, s40, exec_lo
	s_or_b32 exec_lo, exec_lo, s13
	s_and_saveexec_b32 s13, s40
	s_cbranch_execnz .LBB6_413
	s_branch .LBB6_414
.LBB6_431:                              ;   in Loop: Header=BB6_395 Depth=2
	s_or_b32 exec_lo, exec_lo, s41
	s_and_saveexec_b32 s41, s60
	s_delay_alu instid0(SALU_CYCLE_1)
	s_xor_b32 s41, exec_lo, s41
	s_cbranch_execz .LBB6_433
; %bb.432:                              ;   in Loop: Header=BB6_395 Depth=2
	ds_store_b32 v0, v63
	s_trap 2
.LBB6_433:                              ;   in Loop: Header=BB6_395 Depth=2
	s_or_b32 exec_lo, exec_lo, s40
	;;#ASMSTART
	s_wakeup
	;;#ASMEND
.LBB6_434:                              ;   in Loop: Header=BB6_395 Depth=2
	s_or_b32 exec_lo, exec_lo, s27
.LBB6_435:                              ;   in Loop: Header=BB6_395 Depth=2
	s_and_not1_saveexec_b32 s18, s18
	s_cbranch_execz .LBB6_437
; %bb.436:                              ;   in Loop: Header=BB6_395 Depth=2
	global_wb scope:SCOPE_DEV
	s_wait_storecnt 0x0
	s_wait_loadcnt_dscnt 0x0
	global_inv scope:SCOPE_DEV
	s_barrier_signal -1
	s_barrier_wait -1
.LBB6_437:                              ;   in Loop: Header=BB6_395 Depth=2
	s_or_b32 exec_lo, exec_lo, s18
.LBB6_438:                              ;   in Loop: Header=BB6_395 Depth=2
	s_delay_alu instid0(SALU_CYCLE_1) | instskip(SKIP_1) | instid1(SALU_CYCLE_1)
	s_or_b32 exec_lo, exec_lo, s13
                                        ; implicit-def: $vgpr2
	s_and_saveexec_b32 s13, s12
	s_xor_b32 s18, exec_lo, s13
	s_cbranch_execz .LBB6_442
; %bb.439:                              ;   in Loop: Header=BB6_395 Depth=2
	s_trap 2
	ds_load_b32 v2, v0
	v_cmp_lt_i32_e32 vcc_lo, 0, v12
	s_wait_dscnt 0x0
	v_readfirstlane_b32 s13, v2
	v_and_b32_e32 v2, 16, v30
	s_cmp_eq_u32 s13, 0
	s_delay_alu instid0(VALU_DEP_1) | instskip(SKIP_3) | instid1(SALU_CYCLE_1)
	v_cmp_ne_u32_e64 s13, 0, v2
	s_cselect_b32 s27, -1, 0
	v_and_b32_e32 v2, 16, v30
	s_and_b32 s27, vcc_lo, s27
	s_and_b32 s27, s13, s27
	s_delay_alu instid0(SALU_CYCLE_1)
	s_and_saveexec_b32 s13, s27
	s_cbranch_execz .LBB6_441
; %bb.440:                              ;   in Loop: Header=BB6_395 Depth=2
	v_mov_b32_e32 v2, 1
	global_wb scope:SCOPE_SYS
	s_wait_loadcnt 0x0
	s_wait_storecnt 0x0
	global_inv scope:SCOPE_SYS
.LBB6_441:                              ;   in Loop: Header=BB6_395 Depth=2
	s_or_b32 exec_lo, exec_lo, s13
	s_and_not1_saveexec_b32 s13, s18
	s_cbranch_execz .LBB6_461
	s_branch .LBB6_443
.LBB6_442:                              ;   in Loop: Header=BB6_395 Depth=2
	s_and_not1_saveexec_b32 s13, s18
	s_cbranch_execz .LBB6_461
.LBB6_443:                              ;   in Loop: Header=BB6_395 Depth=2
	s_and_saveexec_b32 s18, s3
	s_delay_alu instid0(SALU_CYCLE_1)
	s_xor_b32 s18, exec_lo, s18
	s_cbranch_execz .LBB6_458
; %bb.444:                              ;   in Loop: Header=BB6_395 Depth=2
	s_and_saveexec_b32 s27, s6
	s_cbranch_execz .LBB6_457
; %bb.445:                              ;   in Loop: Header=BB6_395 Depth=2
	s_mov_b32 s41, exec_lo
	s_mov_b32 s40, exec_lo
	v_mbcnt_lo_u32_b32 v2, s41, 0
	;;#ASMSTART
	s_waitcnt lgkmcnt(0) vmcnt(0)
	;;#ASMEND
	s_delay_alu instid0(VALU_DEP_1)
	v_cmpx_eq_u32_e32 0, v2
	s_cbranch_execz .LBB6_447
; %bb.446:                              ;   in Loop: Header=BB6_395 Depth=2
	s_bcnt1_i32_b32 s41, s41
	s_delay_alu instid0(SALU_CYCLE_1)
	v_mov_b32_e32 v2, s41
	s_wait_storecnt 0x0
	s_wait_loadcnt_dscnt 0x0
	ds_add_u64 v0, v[2:3]
	s_trap 2
.LBB6_447:                              ;   in Loop: Header=BB6_395 Depth=2
	s_or_b32 exec_lo, exec_lo, s40
	s_trap 2
	ds_load_b64 v[8:9], v0
	s_wait_dscnt 0x0
	v_add_nc_u64_e32 v[32:33], v[32:33], v[36:37]
	s_mov_b32 s40, exec_lo
	s_delay_alu instid0(VALU_DEP_1)
	v_cmpx_lt_u64_e64 v[8:9], v[32:33]
	s_cbranch_execz .LBB6_456
; %bb.448:                              ;   in Loop: Header=BB6_395 Depth=2
	s_mov_b32 s41, 0
	s_mov_b32 s62, 0
                                        ; implicit-def: $sgpr60
                                        ; implicit-def: $sgpr61
	s_branch .LBB6_450
.LBB6_449:                              ;   in Loop: Header=BB6_450 Depth=3
	s_or_b32 exec_lo, exec_lo, s72
	s_delay_alu instid0(SALU_CYCLE_1) | instskip(NEXT) | instid1(SALU_CYCLE_1)
	s_and_b32 s63, exec_lo, s73
	s_or_b32 s41, s63, s41
	s_and_not1_b32 s60, s60, exec_lo
	s_and_b32 s63, s61, exec_lo
	s_delay_alu instid0(SALU_CYCLE_1)
	s_or_b32 s60, s60, s63
	s_and_not1_b32 exec_lo, exec_lo, s41
	s_cbranch_execz .LBB6_454
.LBB6_450:                              ;   Parent Loop BB6_47 Depth=1
                                        ;     Parent Loop BB6_395 Depth=2
                                        ; =>    This Inner Loop Header: Depth=3
	s_add_co_i32 s62, s62, 1
	s_delay_alu instid0(SALU_CYCLE_1) | instskip(SKIP_1) | instid1(SALU_CYCLE_1)
	s_cmp_lg_u32 s62, 0x2710
	s_cselect_b32 s63, -1, 0
	s_and_b32 vcc_lo, exec_lo, s63
	s_cbranch_vccz .LBB6_452
; %bb.451:                              ;   in Loop: Header=BB6_450 Depth=3
	s_mov_b32 s73, -1
	s_or_b32 s61, s61, exec_lo
	s_and_saveexec_b32 s72, s63
	s_cbranch_execz .LBB6_449
	s_branch .LBB6_453
.LBB6_452:                              ;   in Loop: Header=BB6_450 Depth=3
	s_trap 2
	ds_load_b64 v[8:9], v0
	s_and_not1_b32 s63, s63, exec_lo
	s_mov_b32 s62, 0
	s_wait_storecnt 0x0
	s_wait_loadcnt_dscnt 0x0
	flat_load_b32 v2, v[8:9] scope:SCOPE_SYS
	s_wait_loadcnt_dscnt 0x0
	global_inv scope:SCOPE_SYS
	v_cmp_eq_u32_e32 vcc_lo, 0, v2
	s_and_b32 s72, vcc_lo, exec_lo
	s_delay_alu instid0(SALU_CYCLE_1)
	s_or_b32 s63, s63, s72
	s_mov_b32 s73, -1
	s_or_b32 s61, s61, exec_lo
	s_and_saveexec_b32 s72, s63
	s_cbranch_execz .LBB6_449
.LBB6_453:                              ;   in Loop: Header=BB6_450 Depth=3
	s_sleep 1
	s_trap 2
	ds_load_b64 v[8:9], v0
	s_wait_dscnt 0x0
	s_and_not1_b32 s61, s61, exec_lo
	v_cmp_ge_u64_e32 vcc_lo, v[8:9], v[32:33]
	s_or_not1_b32 s73, vcc_lo, exec_lo
	s_branch .LBB6_449
.LBB6_454:                              ;   in Loop: Header=BB6_395 Depth=2
	s_or_b32 exec_lo, exec_lo, s41
	s_and_saveexec_b32 s41, s60
	s_delay_alu instid0(SALU_CYCLE_1)
	s_xor_b32 s41, exec_lo, s41
	s_cbranch_execz .LBB6_456
; %bb.455:                              ;   in Loop: Header=BB6_395 Depth=2
	ds_store_b32 v0, v63
	s_trap 2
.LBB6_456:                              ;   in Loop: Header=BB6_395 Depth=2
	s_or_b32 exec_lo, exec_lo, s40
	;;#ASMSTART
	s_wakeup
	;;#ASMEND
.LBB6_457:                              ;   in Loop: Header=BB6_395 Depth=2
	s_or_b32 exec_lo, exec_lo, s27
.LBB6_458:                              ;   in Loop: Header=BB6_395 Depth=2
	s_and_not1_saveexec_b32 s18, s18
	s_cbranch_execz .LBB6_460
; %bb.459:                              ;   in Loop: Header=BB6_395 Depth=2
	;;#ASMSTART
	s_waitcnt lgkmcnt(0) vmcnt(0)
	;;#ASMEND
	s_barrier_signal -1
	s_barrier_wait -1
.LBB6_460:                              ;   in Loop: Header=BB6_395 Depth=2
	s_or_b32 exec_lo, exec_lo, s18
	v_and_b32_e32 v2, 16, v30
.LBB6_461:                              ;   in Loop: Header=BB6_395 Depth=2
	s_or_b32 exec_lo, exec_lo, s13
	s_delay_alu instid0(SALU_CYCLE_1) | instskip(NEXT) | instid1(VALU_DEP_1)
	s_mov_b32 s13, exec_lo
	v_cmpx_ne_u32_e32 0, v2
	s_cbranch_execz .LBB6_394
; %bb.462:                              ;   in Loop: Header=BB6_395 Depth=2
	s_and_saveexec_b32 s18, s5
	s_cbranch_execz .LBB6_393
; %bb.463:                              ;   in Loop: Header=BB6_395 Depth=2
	global_wb scope:SCOPE_SYS
	s_wait_storecnt 0x0
	s_wait_loadcnt_dscnt 0x0
	flat_store_b32 v[28:29], v63 scope:SCOPE_SYS
	s_branch .LBB6_393
.LBB6_464:                              ;   in Loop: Header=BB6_47 Depth=1
	s_or_b32 exec_lo, exec_lo, s15
.LBB6_465:                              ;   in Loop: Header=BB6_47 Depth=1
	s_delay_alu instid0(SALU_CYCLE_1) | instskip(NEXT) | instid1(SALU_CYCLE_1)
	s_or_b32 exec_lo, exec_lo, s14
	s_and_not1_b32 vcc_lo, exec_lo, s46
	s_cbranch_vccnz .LBB6_952
; %bb.466:                              ;   in Loop: Header=BB6_47 Depth=1
	s_mov_b32 s14, 2
	s_branch .LBB6_469
.LBB6_467:                              ;   in Loop: Header=BB6_469 Depth=2
	s_or_b32 exec_lo, exec_lo, s18
.LBB6_468:                              ;   in Loop: Header=BB6_469 Depth=2
	s_delay_alu instid0(SALU_CYCLE_1) | instskip(SKIP_1) | instid1(SALU_CYCLE_1)
	s_or_b32 exec_lo, exec_lo, s15
	s_add_co_i32 s14, s14, 1
	s_cmp_eq_u32 s14, s16
	s_cbranch_scc1 .LBB6_952
.LBB6_469:                              ;   Parent Loop BB6_47 Depth=1
                                        ; =>  This Loop Header: Depth=2
                                        ;       Child Loop BB6_472 Depth 3
                                        ;         Child Loop BB6_480 Depth 4
                                        ;         Child Loop BB6_508 Depth 4
	;; [unrolled: 1-line block ×9, first 2 shown]
                                        ;       Child Loop BB6_880 Depth 3
                                        ;         Child Loop BB6_886 Depth 4
                                        ;         Child Loop BB6_914 Depth 4
	;; [unrolled: 1-line block ×3, first 2 shown]
	s_sub_co_i32 s13, s44, s14
	s_mov_b32 s18, 0
	s_cmp_ge_i32 s13, s16
	v_mov_b32_e32 v114, 0
	s_cselect_b32 s15, s16, 0
	s_delay_alu instid0(SALU_CYCLE_1) | instskip(NEXT) | instid1(SALU_CYCLE_1)
	s_sub_co_i32 s40, s13, s15
	s_ashr_i32 s41, s40, 31
	s_delay_alu instid0(SALU_CYCLE_1) | instskip(NEXT) | instid1(VALU_DEP_1)
	v_mul_u64_e32 v[116:117], s[40:41], v[96:97]
	v_sub_nc_u64_e32 v[8:9], v[100:101], v[116:117]
	s_delay_alu instid0(VALU_DEP_1) | instskip(NEXT) | instid1(VALU_DEP_1)
	v_min_i64 v[8:9], v[96:97], v[8:9]
	v_max_i32_e32 v56, 0, v8
	v_cmp_lt_i32_e32 vcc_lo, 0, v8
	s_delay_alu instid0(VALU_DEP_2) | instskip(SKIP_1) | instid1(VALU_DEP_1)
	v_add_nc_u32_e32 v2, 31, v56
	s_and_b32 s13, s57, vcc_lo
	v_lshrrev_b32_e32 v2, 1, v2
	s_delay_alu instid0(VALU_DEP_1) | instskip(NEXT) | instid1(VALU_DEP_1)
	v_and_b32_e32 v9, 0x3ffffff0, v2
	v_dual_mov_b32 v2, 0 :: v_dual_max_i32 v112, s45, v9
	s_and_saveexec_b32 s15, s13
	s_cbranch_execz .LBB6_877
; %bb.470:                              ;   in Loop: Header=BB6_469 Depth=2
	v_mov_b32_e32 v114, 0
	s_mov_b32 s40, 1
	s_mov_b32 s27, -1
	s_branch .LBB6_472
.LBB6_471:                              ;   in Loop: Header=BB6_472 Depth=3
	s_wait_xcnt 0x0
	s_or_b32 exec_lo, exec_lo, s13
	v_dual_add_nc_u32 v114, v112, v114 :: v_dual_mov_b32 v2, s40
	s_xor_b32 s13, s27, -1
	s_mov_b32 s27, 0
	s_mov_b32 s40, 2
	s_delay_alu instid0(VALU_DEP_1) | instskip(SKIP_1) | instid1(SALU_CYCLE_1)
	v_cmp_ge_i32_e32 vcc_lo, v114, v56
	s_or_b32 s13, s13, vcc_lo
	s_and_b32 s13, exec_lo, s13
	s_delay_alu instid0(SALU_CYCLE_1) | instskip(NEXT) | instid1(SALU_CYCLE_1)
	s_or_b32 s18, s13, s18
	s_and_not1_b32 exec_lo, exec_lo, s18
	s_cbranch_execz .LBB6_876
.LBB6_472:                              ;   Parent Loop BB6_47 Depth=1
                                        ;     Parent Loop BB6_469 Depth=2
                                        ; =>    This Loop Header: Depth=3
                                        ;         Child Loop BB6_480 Depth 4
                                        ;         Child Loop BB6_508 Depth 4
	;; [unrolled: 1-line block ×9, first 2 shown]
	s_and_saveexec_b32 s13, s0
	s_cbranch_execz .LBB6_474
; %bb.473:                              ;   in Loop: Header=BB6_472 Depth=3
	s_trap 2
	ds_load_b64 v[8:9], v0
	v_ashrrev_i32_e32 v115, 31, v114
	s_wait_dscnt 0x0
	v_lshl_add_u64 v[8:9], v[102:103], 1, v[8:9]
	s_delay_alu instid0(VALU_DEP_1) | instskip(NEXT) | instid1(VALU_DEP_1)
	v_lshl_add_u64 v[8:9], v[116:117], 1, v[8:9]
	v_lshl_add_u64 v[8:9], v[114:115], 1, v[8:9]
	ds_store_b64 v0, v[8:9]
	ds_store_b64 v0, v[38:39]
.LBB6_474:                              ;   in Loop: Header=BB6_472 Depth=3
	s_or_b32 exec_lo, exec_lo, s13
	v_sub_nc_u32_e32 v2, v56, v114
	v_and_b32_e32 v8, 12, v30
	s_mov_b32 s41, exec_lo
	s_delay_alu instid0(VALU_DEP_2) | instskip(NEXT) | instid1(VALU_DEP_2)
	v_min_i32_e32 v112, v112, v2
	v_cmpx_ne_u32_e32 0, v8
	s_cbranch_execz .LBB6_500
; %bb.475:                              ;   in Loop: Header=BB6_472 Depth=3
	v_and_b32_e32 v2, 8, v30
	v_add_nc_u64_e32 v[8:9], 2, v[98:99]
	s_mov_b32 s60, exec_lo
	s_wait_loadcnt_dscnt 0x1
	s_delay_alu instid0(VALU_DEP_2) | instskip(NEXT) | instid1(VALU_DEP_1)
	v_add_nc_u64_e32 v[10:11], v[34:35], v[2:3]
	v_cmpx_lt_u64_e64 v[10:11], v[8:9]
	s_cbranch_execz .LBB6_487
; %bb.476:                              ;   in Loop: Header=BB6_472 Depth=3
	v_and_b32_e32 v10, 64, v30
	s_mov_b32 s61, 0
	s_mov_b32 s73, 0
                                        ; implicit-def: $sgpr62
                                        ; implicit-def: $sgpr63
                                        ; implicit-def: $sgpr72
	s_delay_alu instid0(VALU_DEP_1)
	v_cmp_eq_u32_e32 vcc_lo, 0, v10
	s_branch .LBB6_480
.LBB6_477:                              ;   in Loop: Header=BB6_480 Depth=4
	s_wait_loadcnt_dscnt 0x0
	v_add_nc_u64_e32 v[12:13], v[34:35], v[2:3]
	s_or_b32 s76, s76, exec_lo
	s_delay_alu instid0(VALU_DEP_1)
	v_cmp_ge_u64_e64 s13, v[12:13], v[8:9]
	s_or_not1_b32 s75, s13, exec_lo
.LBB6_478:                              ;   in Loop: Header=BB6_480 Depth=4
	s_or_b32 exec_lo, exec_lo, s78
	s_delay_alu instid0(SALU_CYCLE_1)
	s_and_not1_b32 s13, s72, exec_lo
	s_and_b32 s72, s76, exec_lo
	s_and_not1_b32 s63, s63, exec_lo
	s_and_b32 s75, s75, exec_lo
	s_or_b32 s72, s13, s72
	s_or_b32 s63, s63, s75
.LBB6_479:                              ;   in Loop: Header=BB6_480 Depth=4
	s_or_b32 exec_lo, exec_lo, s74
	s_delay_alu instid0(SALU_CYCLE_1) | instskip(NEXT) | instid1(SALU_CYCLE_1)
	s_and_b32 s13, exec_lo, s63
	s_or_b32 s61, s13, s61
	s_and_not1_b32 s13, s62, exec_lo
	s_and_b32 s62, s72, exec_lo
	s_delay_alu instid0(SALU_CYCLE_1)
	s_or_b32 s62, s13, s62
	s_and_not1_b32 exec_lo, exec_lo, s61
	s_cbranch_execz .LBB6_484
.LBB6_480:                              ;   Parent Loop BB6_47 Depth=1
                                        ;     Parent Loop BB6_469 Depth=2
                                        ;       Parent Loop BB6_472 Depth=3
                                        ; =>      This Inner Loop Header: Depth=4
	s_sleep 1
	s_wait_loadcnt_dscnt 0x0
	flat_load_b64 v[34:35], v[22:23] scope:SCOPE_SYS
	s_or_b32 s72, s72, exec_lo
	s_or_b32 s63, s63, exec_lo
                                        ; implicit-def: $vgpr10
	s_wait_xcnt 0x0
	s_and_saveexec_b32 s74, vcc_lo
	s_cbranch_execz .LBB6_479
; %bb.481:                              ;   in Loop: Header=BB6_480 Depth=4
	s_cmp_lt_i32 s73, 0x270f
	s_mov_b32 s75, -1
	s_cselect_b32 s77, -1, 0
	s_cmp_gt_i32 s73, 0x270e
	s_cbranch_scc0 .LBB6_483
; %bb.482:                              ;   in Loop: Header=BB6_480 Depth=4
	s_trap 2
	ds_load_b64 v[10:11], v0
	s_and_not1_b32 s73, s77, exec_lo
	s_mov_b32 s76, 0
	s_wait_storecnt 0x0
	s_wait_loadcnt_dscnt 0x0
	flat_load_b32 v10, v[10:11] scope:SCOPE_SYS
	s_wait_loadcnt_dscnt 0x0
	global_inv scope:SCOPE_SYS
	v_cmp_eq_u32_e64 s13, 0, v10
	s_and_b32 s13, s13, exec_lo
	s_delay_alu instid0(SALU_CYCLE_1)
	s_or_b32 s77, s73, s13
	s_mov_b32 s73, 0
	s_and_saveexec_b32 s78, s77
	s_cbranch_execz .LBB6_478
	s_branch .LBB6_477
.LBB6_483:                              ;   in Loop: Header=BB6_480 Depth=4
	s_add_co_i32 s73, s73, 1
	s_mov_b32 s76, -1
                                        ; implicit-def: $vgpr10
	s_and_saveexec_b32 s78, s77
	s_cbranch_execz .LBB6_478
	s_branch .LBB6_477
.LBB6_484:                              ;   in Loop: Header=BB6_472 Depth=3
	s_or_b32 exec_lo, exec_lo, s61
	s_xor_b32 s13, s62, -1
	s_delay_alu instid0(SALU_CYCLE_1) | instskip(NEXT) | instid1(SALU_CYCLE_1)
	s_and_saveexec_b32 s61, s13
	s_xor_b32 s13, exec_lo, s61
	s_cbranch_execz .LBB6_486
; %bb.485:                              ;   in Loop: Header=BB6_472 Depth=3
	v_or_b32_e32 v30, 64, v30
	s_wait_storecnt 0x0
	s_wait_loadcnt_dscnt 0x0
	ds_store_b32 v0, v10
	s_trap 2
.LBB6_486:                              ;   in Loop: Header=BB6_472 Depth=3
	s_or_b32 exec_lo, exec_lo, s13
.LBB6_487:                              ;   in Loop: Header=BB6_472 Depth=3
	s_delay_alu instid0(SALU_CYCLE_1) | instskip(SKIP_2) | instid1(VALU_DEP_1)
	s_or_b32 exec_lo, exec_lo, s60
	v_and_b32_e32 v10, 0x108, v30
	;;#ASMSTART
	s_wakeup
	;;#ASMEND
	v_cmp_ne_u32_e32 vcc_lo, 0x108, v10
                                        ; implicit-def: $vgpr10_vgpr11
	s_and_saveexec_b32 s13, vcc_lo
	s_delay_alu instid0(SALU_CYCLE_1)
	s_xor_b32 s13, exec_lo, s13
; %bb.488:                              ;   in Loop: Header=BB6_472 Depth=3
	v_dual_mov_b32 v11, v3 :: v_dual_bitop2_b32 v10, 7, v98 bitop3:0x40
                                        ; implicit-def: $vgpr98_vgpr99
; %bb.489:                              ;   in Loop: Header=BB6_472 Depth=3
	s_and_not1_saveexec_b32 s13, s13
	s_cbranch_execz .LBB6_491
; %bb.490:                              ;   in Loop: Header=BB6_472 Depth=3
	v_dual_ashrrev_i32 v113, 31, v112 :: v_dual_bitop2_b32 v10, 7, v98 bitop3:0x40
	v_mov_b32_e32 v11, v3
	s_delay_alu instid0(VALU_DEP_2) | instskip(NEXT) | instid1(VALU_DEP_3)
	v_mad_nc_u64_u32 v[12:13], v10, 24, v[6:7]
	v_lshlrev_b64_e32 v[14:15], 1, v[112:113]
	flat_store_b64 v[12:13], v[14:15] offset:8
.LBB6_491:                              ;   in Loop: Header=BB6_472 Depth=3
	s_wait_xcnt 0x0
	s_or_b32 exec_lo, exec_lo, s13
	v_and_b32_e32 v12, 0x100, v30
	s_mov_b32 s13, -1
	s_delay_alu instid0(VALU_DEP_1)
	v_cmp_ne_u32_e32 vcc_lo, 0, v12
                                        ; implicit-def: $vgpr12_vgpr13
	s_and_saveexec_b32 s60, vcc_lo
	s_cbranch_execz .LBB6_495
; %bb.492:                              ;   in Loop: Header=BB6_472 Depth=3
	v_mad_nc_u64_u32 v[14:15], v10, 24, v[6:7]
	s_delay_alu instid0(VALU_DEP_1)
	v_mad_u32 v15, v11, 24, v15
	flat_load_b32 v12, v[14:15]
	s_wait_loadcnt_dscnt 0x0
	v_cmp_eq_u32_e64 s13, 1, v12
	v_cmp_ne_u32_e32 vcc_lo, 1, v12
                                        ; implicit-def: $vgpr12_vgpr13
	s_wait_xcnt 0x0
	s_and_saveexec_b32 s61, s13
	s_cbranch_execz .LBB6_494
; %bb.493:                              ;   in Loop: Header=BB6_472 Depth=3
	flat_load_b32 v12, v[14:15] offset:4 scope:SCOPE_SYS
	s_wait_loadcnt_dscnt 0x0
	v_ashrrev_i32_e32 v13, 31, v12
	s_delay_alu instid0(VALU_DEP_1)
	v_lshrrev_b64 v[12:13], 1, v[12:13]
.LBB6_494:                              ;   in Loop: Header=BB6_472 Depth=3
	s_wait_xcnt 0x0
	s_or_b32 exec_lo, exec_lo, s61
	s_delay_alu instid0(SALU_CYCLE_1)
	s_or_not1_b32 s13, vcc_lo, exec_lo
.LBB6_495:                              ;   in Loop: Header=BB6_472 Depth=3
	s_or_b32 exec_lo, exec_lo, s60
	s_and_saveexec_b32 s60, s13
; %bb.496:                              ;   in Loop: Header=BB6_472 Depth=3
	v_mul_u64_e32 v[12:13], v[10:11], v[24:25]
; %bb.497:                              ;   in Loop: Header=BB6_472 Depth=3
	s_or_b32 exec_lo, exec_lo, s60
	v_cmp_eq_u32_e32 vcc_lo, 0, v2
	v_and_b32_e32 v14, 0x2000, v30
	s_delay_alu instid0(VALU_DEP_3) | instskip(SKIP_2) | instid1(VALU_DEP_1)
	v_lshl_add_u64 v[10:11], v[12:13], 1, v[26:27]
	s_mov_b32 s13, exec_lo
	v_cndmask_b32_e32 v2, 0xc8, v72, vcc_lo
	v_add_nc_u32_e32 v2, v0, v2
	ds_store_b64 v2, v[10:11] offset:584
	v_cmpx_ne_u32_e32 0, v14
	s_cbranch_execz .LBB6_499
; %bb.498:                              ;   in Loop: Header=BB6_472 Depth=3
	ds_load_b64 v[10:11], v0 offset:872
	s_wait_dscnt 0x0
	v_add_nc_u64_e32 v[10:11], 1, v[10:11]
	ds_store_b64 v0, v[10:11] offset:872
.LBB6_499:                              ;   in Loop: Header=BB6_472 Depth=3
	s_or_b32 exec_lo, exec_lo, s13
	v_mov_b64_e32 v[98:99], v[8:9]
.LBB6_500:                              ;   in Loop: Header=BB6_472 Depth=3
	s_or_b32 exec_lo, exec_lo, s41
	s_and_saveexec_b32 s13, s2
	s_cbranch_execz .LBB6_519
; %bb.501:                              ;   in Loop: Header=BB6_472 Depth=3
	s_and_saveexec_b32 s41, s3
	s_delay_alu instid0(SALU_CYCLE_1)
	s_xor_b32 s41, exec_lo, s41
	s_cbranch_execz .LBB6_516
; %bb.502:                              ;   in Loop: Header=BB6_472 Depth=3
	s_and_saveexec_b32 s60, s6
	s_cbranch_execz .LBB6_515
; %bb.503:                              ;   in Loop: Header=BB6_472 Depth=3
	s_mov_b32 s62, exec_lo
	s_mov_b32 s61, exec_lo
	v_mbcnt_lo_u32_b32 v2, s62, 0
	global_wb scope:SCOPE_DEV
	s_wait_storecnt 0x0
	s_wait_loadcnt_dscnt 0x0
	global_inv scope:SCOPE_DEV
	v_cmpx_eq_u32_e32 0, v2
	s_cbranch_execz .LBB6_505
; %bb.504:                              ;   in Loop: Header=BB6_472 Depth=3
	s_bcnt1_i32_b32 s62, s62
	s_delay_alu instid0(SALU_CYCLE_1)
	v_mov_b32_e32 v2, s62
	s_wait_loadcnt 0x0
	ds_add_u64 v0, v[2:3]
	s_trap 2
.LBB6_505:                              ;   in Loop: Header=BB6_472 Depth=3
	s_or_b32 exec_lo, exec_lo, s61
	s_trap 2
	ds_load_b64 v[8:9], v0
	s_wait_dscnt 0x0
	v_add_nc_u64_e32 v[32:33], v[32:33], v[36:37]
	s_mov_b32 s61, exec_lo
	s_delay_alu instid0(VALU_DEP_1)
	v_cmpx_lt_u64_e64 v[8:9], v[32:33]
	s_cbranch_execz .LBB6_514
; %bb.506:                              ;   in Loop: Header=BB6_472 Depth=3
	s_mov_b32 s62, 0
	s_mov_b32 s73, 0
                                        ; implicit-def: $sgpr63
                                        ; implicit-def: $sgpr72
	s_branch .LBB6_508
.LBB6_507:                              ;   in Loop: Header=BB6_508 Depth=4
	s_or_b32 exec_lo, exec_lo, s75
	s_delay_alu instid0(SALU_CYCLE_1) | instskip(NEXT) | instid1(SALU_CYCLE_1)
	s_and_b32 s74, exec_lo, s76
	s_or_b32 s62, s74, s62
	s_and_not1_b32 s63, s63, exec_lo
	s_and_b32 s74, s72, exec_lo
	s_delay_alu instid0(SALU_CYCLE_1)
	s_or_b32 s63, s63, s74
	s_and_not1_b32 exec_lo, exec_lo, s62
	s_cbranch_execz .LBB6_512
.LBB6_508:                              ;   Parent Loop BB6_47 Depth=1
                                        ;     Parent Loop BB6_469 Depth=2
                                        ;       Parent Loop BB6_472 Depth=3
                                        ; =>      This Inner Loop Header: Depth=4
	s_add_co_i32 s73, s73, 1
	s_delay_alu instid0(SALU_CYCLE_1) | instskip(SKIP_1) | instid1(SALU_CYCLE_1)
	s_cmp_lg_u32 s73, 0x2710
	s_cselect_b32 s74, -1, 0
	s_and_b32 vcc_lo, exec_lo, s74
	s_cbranch_vccz .LBB6_510
; %bb.509:                              ;   in Loop: Header=BB6_508 Depth=4
	s_mov_b32 s76, -1
	s_or_b32 s72, s72, exec_lo
	s_and_saveexec_b32 s75, s74
	s_cbranch_execz .LBB6_507
	s_branch .LBB6_511
.LBB6_510:                              ;   in Loop: Header=BB6_508 Depth=4
	s_trap 2
	ds_load_b64 v[8:9], v0
	s_and_not1_b32 s74, s74, exec_lo
	s_mov_b32 s73, 0
	s_wait_loadcnt_dscnt 0x0
	flat_load_b32 v2, v[8:9] scope:SCOPE_SYS
	s_wait_loadcnt_dscnt 0x0
	global_inv scope:SCOPE_SYS
	v_cmp_eq_u32_e32 vcc_lo, 0, v2
	s_and_b32 s75, vcc_lo, exec_lo
	s_delay_alu instid0(SALU_CYCLE_1)
	s_or_b32 s74, s74, s75
	s_mov_b32 s76, -1
	s_or_b32 s72, s72, exec_lo
	s_and_saveexec_b32 s75, s74
	s_cbranch_execz .LBB6_507
.LBB6_511:                              ;   in Loop: Header=BB6_508 Depth=4
	s_sleep 1
	s_trap 2
	ds_load_b64 v[8:9], v0
	s_wait_dscnt 0x0
	s_and_not1_b32 s72, s72, exec_lo
	v_cmp_ge_u64_e32 vcc_lo, v[8:9], v[32:33]
	s_or_not1_b32 s76, vcc_lo, exec_lo
	s_branch .LBB6_507
.LBB6_512:                              ;   in Loop: Header=BB6_472 Depth=3
	s_or_b32 exec_lo, exec_lo, s62
	s_and_saveexec_b32 s62, s63
	s_delay_alu instid0(SALU_CYCLE_1)
	s_xor_b32 s62, exec_lo, s62
	s_cbranch_execz .LBB6_514
; %bb.513:                              ;   in Loop: Header=BB6_472 Depth=3
	ds_store_b32 v0, v63
	s_trap 2
.LBB6_514:                              ;   in Loop: Header=BB6_472 Depth=3
	s_or_b32 exec_lo, exec_lo, s61
	;;#ASMSTART
	s_wakeup
	;;#ASMEND
.LBB6_515:                              ;   in Loop: Header=BB6_472 Depth=3
	s_or_b32 exec_lo, exec_lo, s60
.LBB6_516:                              ;   in Loop: Header=BB6_472 Depth=3
	s_and_not1_saveexec_b32 s41, s41
	s_cbranch_execz .LBB6_518
; %bb.517:                              ;   in Loop: Header=BB6_472 Depth=3
	global_wb scope:SCOPE_DEV
	s_wait_storecnt 0x0
	s_wait_loadcnt_dscnt 0x0
	global_inv scope:SCOPE_DEV
	s_barrier_signal -1
	s_barrier_wait -1
.LBB6_518:                              ;   in Loop: Header=BB6_472 Depth=3
	s_or_b32 exec_lo, exec_lo, s41
.LBB6_519:                              ;   in Loop: Header=BB6_472 Depth=3
	s_delay_alu instid0(SALU_CYCLE_1) | instskip(SKIP_4) | instid1(VALU_DEP_1)
	s_or_b32 exec_lo, exec_lo, s13
	s_trap 2
	ds_load_b32 v8, v0
	v_and_b32_e32 v2, 0x4000, v30
	s_xor_b32 s13, s1, -1
	v_cmp_ne_u32_e32 vcc_lo, 0, v2
	s_and_b32 s41, s13, vcc_lo
	s_delay_alu instid0(SALU_CYCLE_1)
	s_and_saveexec_b32 s13, s41
	s_cbranch_execz .LBB6_538
; %bb.520:                              ;   in Loop: Header=BB6_472 Depth=3
	s_and_saveexec_b32 s41, s3
	s_delay_alu instid0(SALU_CYCLE_1)
	s_xor_b32 s41, exec_lo, s41
	s_cbranch_execz .LBB6_535
; %bb.521:                              ;   in Loop: Header=BB6_472 Depth=3
	s_and_saveexec_b32 s60, s6
	s_cbranch_execz .LBB6_534
; %bb.522:                              ;   in Loop: Header=BB6_472 Depth=3
	s_mov_b32 s62, exec_lo
	s_mov_b32 s61, exec_lo
	v_mbcnt_lo_u32_b32 v2, s62, 0
	global_wb scope:SCOPE_DEV
	s_wait_storecnt 0x0
	s_wait_loadcnt_dscnt 0x0
	global_inv scope:SCOPE_DEV
	v_cmpx_eq_u32_e32 0, v2
	s_cbranch_execz .LBB6_524
; %bb.523:                              ;   in Loop: Header=BB6_472 Depth=3
	s_bcnt1_i32_b32 s62, s62
	s_delay_alu instid0(SALU_CYCLE_1)
	v_mov_b32_e32 v2, s62
	s_wait_loadcnt 0x0
	ds_add_u64 v0, v[2:3]
	s_trap 2
.LBB6_524:                              ;   in Loop: Header=BB6_472 Depth=3
	s_or_b32 exec_lo, exec_lo, s61
	s_trap 2
	ds_load_b64 v[10:11], v0
	s_wait_dscnt 0x0
	v_add_nc_u64_e32 v[32:33], v[32:33], v[36:37]
	s_mov_b32 s61, exec_lo
	s_delay_alu instid0(VALU_DEP_1)
	v_cmpx_lt_u64_e64 v[10:11], v[32:33]
	s_cbranch_execz .LBB6_533
; %bb.525:                              ;   in Loop: Header=BB6_472 Depth=3
	s_mov_b32 s62, 0
	s_mov_b32 s73, 0
                                        ; implicit-def: $sgpr63
                                        ; implicit-def: $sgpr72
	s_branch .LBB6_527
.LBB6_526:                              ;   in Loop: Header=BB6_527 Depth=4
	s_or_b32 exec_lo, exec_lo, s75
	s_delay_alu instid0(SALU_CYCLE_1) | instskip(NEXT) | instid1(SALU_CYCLE_1)
	s_and_b32 s74, exec_lo, s76
	s_or_b32 s62, s74, s62
	s_and_not1_b32 s63, s63, exec_lo
	s_and_b32 s74, s72, exec_lo
	s_delay_alu instid0(SALU_CYCLE_1)
	s_or_b32 s63, s63, s74
	s_and_not1_b32 exec_lo, exec_lo, s62
	s_cbranch_execz .LBB6_531
.LBB6_527:                              ;   Parent Loop BB6_47 Depth=1
                                        ;     Parent Loop BB6_469 Depth=2
                                        ;       Parent Loop BB6_472 Depth=3
                                        ; =>      This Inner Loop Header: Depth=4
	s_add_co_i32 s73, s73, 1
	s_delay_alu instid0(SALU_CYCLE_1) | instskip(SKIP_1) | instid1(SALU_CYCLE_1)
	s_cmp_lg_u32 s73, 0x2710
	s_cselect_b32 s74, -1, 0
	s_and_b32 vcc_lo, exec_lo, s74
	s_cbranch_vccz .LBB6_529
; %bb.528:                              ;   in Loop: Header=BB6_527 Depth=4
	s_mov_b32 s76, -1
	s_or_b32 s72, s72, exec_lo
	s_and_saveexec_b32 s75, s74
	s_cbranch_execz .LBB6_526
	s_branch .LBB6_530
.LBB6_529:                              ;   in Loop: Header=BB6_527 Depth=4
	s_trap 2
	ds_load_b64 v[10:11], v0
	s_and_not1_b32 s74, s74, exec_lo
	s_mov_b32 s73, 0
	s_wait_loadcnt_dscnt 0x0
	flat_load_b32 v2, v[10:11] scope:SCOPE_SYS
	s_wait_loadcnt_dscnt 0x0
	global_inv scope:SCOPE_SYS
	v_cmp_eq_u32_e32 vcc_lo, 0, v2
	s_and_b32 s75, vcc_lo, exec_lo
	s_delay_alu instid0(SALU_CYCLE_1)
	s_or_b32 s74, s74, s75
	s_mov_b32 s76, -1
	s_or_b32 s72, s72, exec_lo
	s_and_saveexec_b32 s75, s74
	s_cbranch_execz .LBB6_526
.LBB6_530:                              ;   in Loop: Header=BB6_527 Depth=4
	s_sleep 1
	s_trap 2
	ds_load_b64 v[10:11], v0
	s_wait_dscnt 0x0
	s_and_not1_b32 s72, s72, exec_lo
	v_cmp_ge_u64_e32 vcc_lo, v[10:11], v[32:33]
	s_or_not1_b32 s76, vcc_lo, exec_lo
	s_branch .LBB6_526
.LBB6_531:                              ;   in Loop: Header=BB6_472 Depth=3
	s_or_b32 exec_lo, exec_lo, s62
	s_and_saveexec_b32 s62, s63
	s_delay_alu instid0(SALU_CYCLE_1)
	s_xor_b32 s62, exec_lo, s62
	s_cbranch_execz .LBB6_533
; %bb.532:                              ;   in Loop: Header=BB6_472 Depth=3
	ds_store_b32 v0, v63
	s_trap 2
.LBB6_533:                              ;   in Loop: Header=BB6_472 Depth=3
	s_or_b32 exec_lo, exec_lo, s61
	;;#ASMSTART
	s_wakeup
	;;#ASMEND
.LBB6_534:                              ;   in Loop: Header=BB6_472 Depth=3
	s_or_b32 exec_lo, exec_lo, s60
.LBB6_535:                              ;   in Loop: Header=BB6_472 Depth=3
	s_and_not1_saveexec_b32 s41, s41
	s_cbranch_execz .LBB6_537
; %bb.536:                              ;   in Loop: Header=BB6_472 Depth=3
	global_wb scope:SCOPE_DEV
	s_wait_storecnt 0x0
	s_wait_loadcnt_dscnt 0x0
	global_inv scope:SCOPE_DEV
	s_barrier_signal -1
	s_barrier_wait -1
.LBB6_537:                              ;   in Loop: Header=BB6_472 Depth=3
	s_or_b32 exec_lo, exec_lo, s41
.LBB6_538:                              ;   in Loop: Header=BB6_472 Depth=3
	s_delay_alu instid0(SALU_CYCLE_1)
	s_or_b32 exec_lo, exec_lo, s13
	s_trap 2
	ds_load_b64 v[118:119], v0
	s_wait_dscnt 0x0
	v_cmp_eq_u64_e32 vcc_lo, 0, v[118:119]
	s_cbranch_vccnz .LBB6_546
; %bb.539:                              ;   in Loop: Header=BB6_472 Depth=3
	s_trap 2
	ds_load_b64 v[40:41], v0
	s_wait_dscnt 0x0
	v_cmp_eq_u64_e32 vcc_lo, 0, v[40:41]
	s_cbranch_vccnz .LBB6_546
; %bb.540:                              ;   in Loop: Header=BB6_472 Depth=3
	s_mov_b32 s13, -1
	s_and_saveexec_b32 s41, s11
	s_cbranch_execz .LBB6_542
; %bb.541:                              ;   in Loop: Header=BB6_472 Depth=3
	ds_load_b32 v2, v0 offset:720
	s_wait_dscnt 0x0
	v_and_b32_e32 v2, 15, v2
	s_delay_alu instid0(VALU_DEP_1)
	v_cmp_eq_u32_e32 vcc_lo, 0, v2
	s_or_not1_b32 s13, vcc_lo, exec_lo
.LBB6_542:                              ;   in Loop: Header=BB6_472 Depth=3
	s_or_b32 exec_lo, exec_lo, s41
	s_and_saveexec_b32 s41, s10
	s_cbranch_execz .LBB6_544
; %bb.543:                              ;   in Loop: Header=BB6_472 Depth=3
	ds_load_b32 v2, v0 offset:784
	s_wait_dscnt 0x0
	v_and_b32_e32 v2, 15, v2
	s_delay_alu instid0(VALU_DEP_1) | instskip(SKIP_3) | instid1(SALU_CYCLE_1)
	v_cmp_eq_u32_e32 vcc_lo, 0, v2
	s_and_b32 s60, s13, vcc_lo
	s_and_not1_b32 s13, s13, exec_lo
	s_and_b32 s60, s60, exec_lo
	s_or_b32 s13, s13, s60
.LBB6_544:                              ;   in Loop: Header=BB6_472 Depth=3
	s_or_b32 exec_lo, exec_lo, s41
	v_cmp_eq_u32_e32 vcc_lo, 0, v8
	s_xor_b32 s13, s13, -1
	s_mov_b32 s60, -1
	v_cndmask_b32_e64 v9, 0, 1, s13
	v_dual_mov_b32 v14, 0 :: v_dual_cndmask_b32 v2, 0, v112, vcc_lo
	s_delay_alu instid0(VALU_DEP_2) | instskip(NEXT) | instid1(VALU_DEP_2)
	v_cmp_ne_u32_e32 vcc_lo, 0, v9
	v_lshlrev_b32_e32 v113, 1, v2
	s_cbranch_vccz .LBB6_551
; %bb.545:                              ;   in Loop: Header=BB6_472 Depth=3
	v_mov_b32_e32 v15, v0
	s_and_saveexec_b32 s13, s60
	s_cbranch_execnz .LBB6_754
	s_branch .LBB6_834
.LBB6_546:                              ;   in Loop: Header=BB6_472 Depth=3
	s_mov_b32 s13, 0
	s_and_saveexec_b32 s41, s2
	s_cbranch_execnz .LBB6_835
.LBB6_547:                              ;   in Loop: Header=BB6_472 Depth=3
	s_or_b32 exec_lo, exec_lo, s41
                                        ; implicit-def: $vgpr2
	s_and_saveexec_b32 s41, s12
	s_delay_alu instid0(SALU_CYCLE_1)
	s_xor_b32 s41, exec_lo, s41
	s_cbranch_execz .LBB6_853
.LBB6_548:                              ;   in Loop: Header=BB6_472 Depth=3
	v_and_b32_e32 v2, 16, v30
	s_delay_alu instid0(VALU_DEP_1) | instskip(SKIP_2) | instid1(SALU_CYCLE_1)
	v_cmp_ne_u32_e32 vcc_lo, 0, v2
	v_and_b32_e32 v2, 16, v30
	s_and_b32 s60, vcc_lo, s13
	s_and_saveexec_b32 s13, s60
	s_cbranch_execz .LBB6_550
; %bb.549:                              ;   in Loop: Header=BB6_472 Depth=3
	v_mov_b32_e32 v2, 1
	global_wb scope:SCOPE_SYS
	s_wait_storecnt 0x0
	s_wait_loadcnt_dscnt 0x0
	global_inv scope:SCOPE_SYS
.LBB6_550:                              ;   in Loop: Header=BB6_472 Depth=3
	s_or_b32 exec_lo, exec_lo, s13
	s_and_not1_saveexec_b32 s13, s41
	s_cbranch_execz .LBB6_872
	s_branch .LBB6_854
.LBB6_551:                              ;   in Loop: Header=BB6_472 Depth=3
	s_delay_alu instid0(VALU_DEP_1) | instskip(SKIP_1) | instid1(VALU_DEP_1)
	v_ashrrev_i32_e32 v8, 31, v113
	s_mov_b32 s13, exec_lo
	v_lshrrev_b32_e32 v8, 22, v8
	s_delay_alu instid0(VALU_DEP_1) | instskip(NEXT) | instid1(VALU_DEP_1)
	v_add_nc_u32_e32 v8, v113, v8
	v_ashrrev_i32_e32 v57, 10, v8
	s_delay_alu instid0(VALU_DEP_1) | instskip(NEXT) | instid1(VALU_DEP_1)
	v_sub_nc_u32_e32 v115, v57, v62
	v_cmpx_lt_i32_e32 0, v115
	s_cbranch_execz .LBB6_683
; %bb.552:                              ;   in Loop: Header=BB6_472 Depth=3
	s_trap 2
	ds_load_b64 v[8:9], v0
	ds_load_b32 v10, v0
	v_add_nc_u64_e32 v[42:43], v[118:119], v[66:67]
	v_add_nc_u64_e32 v[46:47], v[40:41], v[66:67]
	s_mov_b32 s41, 0
	s_wait_dscnt 0x1
	v_add_nc_u64_e32 v[44:45], v[8:9], v[66:67]
	s_wait_dscnt 0x0
	v_lshlrev_b32_e32 v58, 16, v10
	s_branch .LBB6_554
.LBB6_553:                              ;   in Loop: Header=BB6_554 Depth=4
	s_or_b32 exec_lo, exec_lo, s60
	v_dual_lshrrev_b32 v59, 16, v95 :: v_dual_lshrrev_b32 v75, 16, v76
	v_lshrrev_b32_e32 v76, 16, v93
	v_dual_lshrrev_b32 v77, 16, v77 :: v_dual_lshrrev_b32 v74, 16, v74
	s_delay_alu instid0(VALU_DEP_3) | instskip(SKIP_4) | instid1(VALU_DEP_4)
	v_and_or_b32 v13, 0xffff0000, v13, v59
	v_lshrrev_b32_e32 v59, 16, v91
	v_and_or_b32 v12, 0xffff0000, v12, v75
	v_and_or_b32 v14, 0xffff0000, v14, v76
	v_dual_lshrrev_b32 v75, 16, v79 :: v_dual_lshrrev_b32 v76, 16, v89
	v_and_or_b32 v15, 0xffff0000, v15, v59
	v_sub_nc_u32_e32 v115, v115, v36
	v_and_or_b32 v10, 0xffff0000, v10, v77
	s_delay_alu instid0(VALU_DEP_4)
	v_and_or_b32 v9, 0xffff0000, v9, v75
	v_and_or_b32 v8, 0xffff0000, v8, v76
	;; [unrolled: 1-line block ×3, first 2 shown]
	s_clause 0x1
	global_store_b128 v[46:47], v[12:15], off th:TH_STORE_NT
	global_store_b128 v[46:47], v[8:11], off offset:512 th:TH_STORE_NT
	v_add_nc_u64_e32 v[42:43], v[42:43], v[68:69]
	v_add_nc_u64_e32 v[44:45], v[44:45], v[68:69]
	v_cmp_gt_i32_e32 vcc_lo, 1, v115
	s_wait_xcnt 0x0
	v_add_nc_u64_e32 v[46:47], v[46:47], v[68:69]
	s_or_b32 s41, vcc_lo, s41
	s_delay_alu instid0(SALU_CYCLE_1)
	s_and_not1_b32 exec_lo, exec_lo, s41
	s_cbranch_execz .LBB6_682
.LBB6_554:                              ;   Parent Loop BB6_47 Depth=1
                                        ;     Parent Loop BB6_469 Depth=2
                                        ;       Parent Loop BB6_472 Depth=3
                                        ; =>      This Inner Loop Header: Depth=4
	global_load_b128 v[8:11], v[42:43], off th:TH_LOAD_NT
	s_mov_b32 s60, exec_lo
                                        ; implicit-def: $vgpr76
	s_wait_loadcnt 0x0
	v_lshlrev_b32_e32 v12, 16, v8
	s_delay_alu instid0(VALU_DEP_1) | instskip(NEXT) | instid1(VALU_DEP_1)
	v_mul_f32_e32 v12, v58, v12
	v_and_b32_e32 v13, 0x7f800000, v12
	s_wait_xcnt 0x0
	s_delay_alu instid0(VALU_DEP_1)
	v_cmpx_ne_u32_e32 0x7f800000, v13
	s_xor_b32 s60, exec_lo, s60
; %bb.555:                              ;   in Loop: Header=BB6_554 Depth=4
	v_bfe_u32 v13, v12, 16, 1
	s_delay_alu instid0(VALU_DEP_1)
	v_add3_u32 v76, v12, v13, 0x7fff
                                        ; implicit-def: $vgpr12
; %bb.556:                              ;   in Loop: Header=BB6_554 Depth=4
	s_and_not1_saveexec_b32 s60, s60
; %bb.557:                              ;   in Loop: Header=BB6_554 Depth=4
	v_and_b32_e32 v13, 0xffff, v12
	v_or_b32_e32 v14, 0x10000, v12
	s_delay_alu instid0(VALU_DEP_2) | instskip(NEXT) | instid1(VALU_DEP_2)
	v_cmp_eq_u32_e32 vcc_lo, 0, v13
	v_cndmask_b32_e32 v76, v14, v12, vcc_lo
; %bb.558:                              ;   in Loop: Header=BB6_554 Depth=4
	s_or_b32 exec_lo, exec_lo, s60
	v_and_b32_e32 v8, 0xffff0000, v8
	s_mov_b32 s60, exec_lo
                                        ; implicit-def: $vgpr95
	s_delay_alu instid0(VALU_DEP_1) | instskip(NEXT) | instid1(VALU_DEP_1)
	v_mul_f32_e32 v8, v58, v8
	v_and_b32_e32 v12, 0x7f800000, v8
	s_delay_alu instid0(VALU_DEP_1)
	v_cmpx_ne_u32_e32 0x7f800000, v12
	s_xor_b32 s60, exec_lo, s60
; %bb.559:                              ;   in Loop: Header=BB6_554 Depth=4
	v_bfe_u32 v12, v8, 16, 1
	s_delay_alu instid0(VALU_DEP_1)
	v_add3_u32 v95, v8, v12, 0x7fff
                                        ; implicit-def: $vgpr8
; %bb.560:                              ;   in Loop: Header=BB6_554 Depth=4
	s_and_not1_saveexec_b32 s60, s60
; %bb.561:                              ;   in Loop: Header=BB6_554 Depth=4
	v_and_b32_e32 v12, 0xffff, v8
	v_or_b32_e32 v13, 0x10000, v8
	s_delay_alu instid0(VALU_DEP_2) | instskip(NEXT) | instid1(VALU_DEP_2)
	v_cmp_eq_u32_e32 vcc_lo, 0, v12
	v_cndmask_b32_e32 v95, v13, v8, vcc_lo
; %bb.562:                              ;   in Loop: Header=BB6_554 Depth=4
	s_or_b32 exec_lo, exec_lo, s60
	v_lshlrev_b32_e32 v8, 16, v9
	s_mov_b32 s60, exec_lo
                                        ; implicit-def: $vgpr104
	s_delay_alu instid0(VALU_DEP_1) | instskip(NEXT) | instid1(VALU_DEP_1)
	v_mul_f32_e32 v8, v58, v8
	v_and_b32_e32 v12, 0x7f800000, v8
	s_delay_alu instid0(VALU_DEP_1)
	v_cmpx_ne_u32_e32 0x7f800000, v12
	s_xor_b32 s60, exec_lo, s60
; %bb.563:                              ;   in Loop: Header=BB6_554 Depth=4
	v_bfe_u32 v12, v8, 16, 1
	s_delay_alu instid0(VALU_DEP_1)
	v_add3_u32 v104, v8, v12, 0x7fff
                                        ; implicit-def: $vgpr8
; %bb.564:                              ;   in Loop: Header=BB6_554 Depth=4
	s_and_not1_saveexec_b32 s60, s60
; %bb.565:                              ;   in Loop: Header=BB6_554 Depth=4
	v_and_b32_e32 v12, 0xffff, v8
	v_or_b32_e32 v13, 0x10000, v8
	s_delay_alu instid0(VALU_DEP_2) | instskip(NEXT) | instid1(VALU_DEP_2)
	v_cmp_eq_u32_e32 vcc_lo, 0, v12
	v_cndmask_b32_e32 v104, v13, v8, vcc_lo
; %bb.566:                              ;   in Loop: Header=BB6_554 Depth=4
	s_or_b32 exec_lo, exec_lo, s60
	v_and_b32_e32 v8, 0xffff0000, v9
	s_mov_b32 s60, exec_lo
                                        ; implicit-def: $vgpr93
	s_delay_alu instid0(VALU_DEP_1) | instskip(NEXT) | instid1(VALU_DEP_1)
	v_mul_f32_e32 v8, v58, v8
	v_and_b32_e32 v9, 0x7f800000, v8
	s_delay_alu instid0(VALU_DEP_1)
	v_cmpx_ne_u32_e32 0x7f800000, v9
	s_xor_b32 s60, exec_lo, s60
; %bb.567:                              ;   in Loop: Header=BB6_554 Depth=4
	v_bfe_u32 v9, v8, 16, 1
	s_delay_alu instid0(VALU_DEP_1)
	v_add3_u32 v93, v8, v9, 0x7fff
                                        ; implicit-def: $vgpr8
; %bb.568:                              ;   in Loop: Header=BB6_554 Depth=4
	s_and_not1_saveexec_b32 s60, s60
; %bb.569:                              ;   in Loop: Header=BB6_554 Depth=4
	v_and_b32_e32 v9, 0xffff, v8
	v_or_b32_e32 v12, 0x10000, v8
	s_delay_alu instid0(VALU_DEP_2) | instskip(NEXT) | instid1(VALU_DEP_2)
	v_cmp_eq_u32_e32 vcc_lo, 0, v9
	v_cndmask_b32_e32 v93, v12, v8, vcc_lo
; %bb.570:                              ;   in Loop: Header=BB6_554 Depth=4
	s_or_b32 exec_lo, exec_lo, s60
	v_lshlrev_b32_e32 v8, 16, v10
	s_mov_b32 s60, exec_lo
                                        ; implicit-def: $vgpr94
	s_delay_alu instid0(VALU_DEP_1) | instskip(NEXT) | instid1(VALU_DEP_1)
	v_mul_f32_e32 v8, v58, v8
	v_and_b32_e32 v9, 0x7f800000, v8
	s_delay_alu instid0(VALU_DEP_1)
	v_cmpx_ne_u32_e32 0x7f800000, v9
	s_xor_b32 s60, exec_lo, s60
; %bb.571:                              ;   in Loop: Header=BB6_554 Depth=4
	v_bfe_u32 v9, v8, 16, 1
	s_delay_alu instid0(VALU_DEP_1)
	v_add3_u32 v94, v8, v9, 0x7fff
                                        ; implicit-def: $vgpr8
; %bb.572:                              ;   in Loop: Header=BB6_554 Depth=4
	s_and_not1_saveexec_b32 s60, s60
; %bb.573:                              ;   in Loop: Header=BB6_554 Depth=4
	v_and_b32_e32 v9, 0xffff, v8
	v_or_b32_e32 v12, 0x10000, v8
	s_delay_alu instid0(VALU_DEP_2) | instskip(NEXT) | instid1(VALU_DEP_2)
	v_cmp_eq_u32_e32 vcc_lo, 0, v9
	v_cndmask_b32_e32 v94, v12, v8, vcc_lo
; %bb.574:                              ;   in Loop: Header=BB6_554 Depth=4
	s_or_b32 exec_lo, exec_lo, s60
	v_and_b32_e32 v8, 0xffff0000, v10
	s_mov_b32 s60, exec_lo
                                        ; implicit-def: $vgpr91
	s_delay_alu instid0(VALU_DEP_1) | instskip(NEXT) | instid1(VALU_DEP_1)
	v_mul_f32_e32 v8, v58, v8
	v_and_b32_e32 v9, 0x7f800000, v8
	s_delay_alu instid0(VALU_DEP_1)
	v_cmpx_ne_u32_e32 0x7f800000, v9
	s_xor_b32 s60, exec_lo, s60
; %bb.575:                              ;   in Loop: Header=BB6_554 Depth=4
	v_bfe_u32 v9, v8, 16, 1
	s_delay_alu instid0(VALU_DEP_1)
	v_add3_u32 v91, v8, v9, 0x7fff
                                        ; implicit-def: $vgpr8
; %bb.576:                              ;   in Loop: Header=BB6_554 Depth=4
	s_and_not1_saveexec_b32 s60, s60
; %bb.577:                              ;   in Loop: Header=BB6_554 Depth=4
	v_and_b32_e32 v9, 0xffff, v8
	v_or_b32_e32 v10, 0x10000, v8
	s_delay_alu instid0(VALU_DEP_2) | instskip(NEXT) | instid1(VALU_DEP_2)
	v_cmp_eq_u32_e32 vcc_lo, 0, v9
	v_cndmask_b32_e32 v91, v10, v8, vcc_lo
; %bb.578:                              ;   in Loop: Header=BB6_554 Depth=4
	s_or_b32 exec_lo, exec_lo, s60
	v_lshlrev_b32_e32 v8, 16, v11
	s_mov_b32 s60, exec_lo
                                        ; implicit-def: $vgpr92
	s_delay_alu instid0(VALU_DEP_1) | instskip(NEXT) | instid1(VALU_DEP_1)
	v_mul_f32_e32 v8, v58, v8
	v_and_b32_e32 v9, 0x7f800000, v8
	s_delay_alu instid0(VALU_DEP_1)
	v_cmpx_ne_u32_e32 0x7f800000, v9
	s_xor_b32 s60, exec_lo, s60
; %bb.579:                              ;   in Loop: Header=BB6_554 Depth=4
	v_bfe_u32 v9, v8, 16, 1
	s_delay_alu instid0(VALU_DEP_1)
	v_add3_u32 v92, v8, v9, 0x7fff
                                        ; implicit-def: $vgpr8
; %bb.580:                              ;   in Loop: Header=BB6_554 Depth=4
	s_and_not1_saveexec_b32 s60, s60
; %bb.581:                              ;   in Loop: Header=BB6_554 Depth=4
	v_and_b32_e32 v9, 0xffff, v8
	v_or_b32_e32 v10, 0x10000, v8
	s_delay_alu instid0(VALU_DEP_2) | instskip(NEXT) | instid1(VALU_DEP_2)
	v_cmp_eq_u32_e32 vcc_lo, 0, v9
	v_cndmask_b32_e32 v92, v10, v8, vcc_lo
; %bb.582:                              ;   in Loop: Header=BB6_554 Depth=4
	s_or_b32 exec_lo, exec_lo, s60
	v_and_b32_e32 v8, 0xffff0000, v11
	s_mov_b32 s60, exec_lo
                                        ; implicit-def: $vgpr89
	s_delay_alu instid0(VALU_DEP_1) | instskip(NEXT) | instid1(VALU_DEP_1)
	v_mul_f32_e32 v8, v58, v8
	v_and_b32_e32 v9, 0x7f800000, v8
	s_delay_alu instid0(VALU_DEP_1)
	v_cmpx_ne_u32_e32 0x7f800000, v9
	s_xor_b32 s60, exec_lo, s60
; %bb.583:                              ;   in Loop: Header=BB6_554 Depth=4
	v_bfe_u32 v9, v8, 16, 1
	s_delay_alu instid0(VALU_DEP_1)
	v_add3_u32 v89, v8, v9, 0x7fff
                                        ; implicit-def: $vgpr8
; %bb.584:                              ;   in Loop: Header=BB6_554 Depth=4
	s_and_not1_saveexec_b32 s60, s60
; %bb.585:                              ;   in Loop: Header=BB6_554 Depth=4
	v_and_b32_e32 v9, 0xffff, v8
	v_or_b32_e32 v10, 0x10000, v8
	s_delay_alu instid0(VALU_DEP_2) | instskip(NEXT) | instid1(VALU_DEP_2)
	v_cmp_eq_u32_e32 vcc_lo, 0, v9
	v_cndmask_b32_e32 v89, v10, v8, vcc_lo
; %bb.586:                              ;   in Loop: Header=BB6_554 Depth=4
	s_or_b32 exec_lo, exec_lo, s60
	global_load_b128 v[8:11], v[42:43], off offset:512 th:TH_LOAD_NT
	s_mov_b32 s60, exec_lo
                                        ; implicit-def: $vgpr90
	s_wait_loadcnt 0x0
	v_lshlrev_b32_e32 v12, 16, v8
	s_delay_alu instid0(VALU_DEP_1) | instskip(NEXT) | instid1(VALU_DEP_1)
	v_mul_f32_e32 v12, v58, v12
	v_and_b32_e32 v13, 0x7f800000, v12
	s_wait_xcnt 0x0
	s_delay_alu instid0(VALU_DEP_1)
	v_cmpx_ne_u32_e32 0x7f800000, v13
	s_xor_b32 s60, exec_lo, s60
; %bb.587:                              ;   in Loop: Header=BB6_554 Depth=4
	v_bfe_u32 v13, v12, 16, 1
	s_delay_alu instid0(VALU_DEP_1)
	v_add3_u32 v90, v12, v13, 0x7fff
                                        ; implicit-def: $vgpr12
; %bb.588:                              ;   in Loop: Header=BB6_554 Depth=4
	s_and_not1_saveexec_b32 s60, s60
; %bb.589:                              ;   in Loop: Header=BB6_554 Depth=4
	v_and_b32_e32 v13, 0xffff, v12
	v_or_b32_e32 v14, 0x10000, v12
	s_delay_alu instid0(VALU_DEP_2) | instskip(NEXT) | instid1(VALU_DEP_2)
	v_cmp_eq_u32_e32 vcc_lo, 0, v13
	v_cndmask_b32_e32 v90, v14, v12, vcc_lo
; %bb.590:                              ;   in Loop: Header=BB6_554 Depth=4
	s_or_b32 exec_lo, exec_lo, s60
	v_and_b32_e32 v8, 0xffff0000, v8
	s_mov_b32 s60, exec_lo
                                        ; implicit-def: $vgpr79
	s_delay_alu instid0(VALU_DEP_1) | instskip(NEXT) | instid1(VALU_DEP_1)
	v_mul_f32_e32 v8, v58, v8
	v_and_b32_e32 v12, 0x7f800000, v8
	s_delay_alu instid0(VALU_DEP_1)
	v_cmpx_ne_u32_e32 0x7f800000, v12
	s_xor_b32 s60, exec_lo, s60
; %bb.591:                              ;   in Loop: Header=BB6_554 Depth=4
	v_bfe_u32 v12, v8, 16, 1
	s_delay_alu instid0(VALU_DEP_1)
	v_add3_u32 v79, v8, v12, 0x7fff
                                        ; implicit-def: $vgpr8
; %bb.592:                              ;   in Loop: Header=BB6_554 Depth=4
	s_and_not1_saveexec_b32 s60, s60
; %bb.593:                              ;   in Loop: Header=BB6_554 Depth=4
	v_and_b32_e32 v12, 0xffff, v8
	v_or_b32_e32 v13, 0x10000, v8
	s_delay_alu instid0(VALU_DEP_2) | instskip(NEXT) | instid1(VALU_DEP_2)
	v_cmp_eq_u32_e32 vcc_lo, 0, v12
	v_cndmask_b32_e32 v79, v13, v8, vcc_lo
; %bb.594:                              ;   in Loop: Header=BB6_554 Depth=4
	s_or_b32 exec_lo, exec_lo, s60
	v_lshlrev_b32_e32 v8, 16, v9
	s_mov_b32 s60, exec_lo
                                        ; implicit-def: $vgpr88
	s_delay_alu instid0(VALU_DEP_1) | instskip(NEXT) | instid1(VALU_DEP_1)
	v_mul_f32_e32 v8, v58, v8
	v_and_b32_e32 v12, 0x7f800000, v8
	s_delay_alu instid0(VALU_DEP_1)
	v_cmpx_ne_u32_e32 0x7f800000, v12
	s_xor_b32 s60, exec_lo, s60
; %bb.595:                              ;   in Loop: Header=BB6_554 Depth=4
	v_bfe_u32 v12, v8, 16, 1
	s_delay_alu instid0(VALU_DEP_1)
	v_add3_u32 v88, v8, v12, 0x7fff
                                        ; implicit-def: $vgpr8
; %bb.596:                              ;   in Loop: Header=BB6_554 Depth=4
	s_and_not1_saveexec_b32 s60, s60
; %bb.597:                              ;   in Loop: Header=BB6_554 Depth=4
	v_and_b32_e32 v12, 0xffff, v8
	v_or_b32_e32 v13, 0x10000, v8
	s_delay_alu instid0(VALU_DEP_2) | instskip(NEXT) | instid1(VALU_DEP_2)
	v_cmp_eq_u32_e32 vcc_lo, 0, v12
	v_cndmask_b32_e32 v88, v13, v8, vcc_lo
; %bb.598:                              ;   in Loop: Header=BB6_554 Depth=4
	s_or_b32 exec_lo, exec_lo, s60
	v_and_b32_e32 v8, 0xffff0000, v9
	s_mov_b32 s60, exec_lo
                                        ; implicit-def: $vgpr77
	s_delay_alu instid0(VALU_DEP_1) | instskip(NEXT) | instid1(VALU_DEP_1)
	v_mul_f32_e32 v8, v58, v8
	v_and_b32_e32 v9, 0x7f800000, v8
	s_delay_alu instid0(VALU_DEP_1)
	v_cmpx_ne_u32_e32 0x7f800000, v9
	s_xor_b32 s60, exec_lo, s60
; %bb.599:                              ;   in Loop: Header=BB6_554 Depth=4
	v_bfe_u32 v9, v8, 16, 1
	s_delay_alu instid0(VALU_DEP_1)
	v_add3_u32 v77, v8, v9, 0x7fff
                                        ; implicit-def: $vgpr8
; %bb.600:                              ;   in Loop: Header=BB6_554 Depth=4
	s_and_not1_saveexec_b32 s60, s60
; %bb.601:                              ;   in Loop: Header=BB6_554 Depth=4
	v_and_b32_e32 v9, 0xffff, v8
	v_or_b32_e32 v12, 0x10000, v8
	s_delay_alu instid0(VALU_DEP_2) | instskip(NEXT) | instid1(VALU_DEP_2)
	v_cmp_eq_u32_e32 vcc_lo, 0, v9
	v_cndmask_b32_e32 v77, v12, v8, vcc_lo
; %bb.602:                              ;   in Loop: Header=BB6_554 Depth=4
	s_or_b32 exec_lo, exec_lo, s60
	v_lshlrev_b32_e32 v8, 16, v10
	s_mov_b32 s60, exec_lo
                                        ; implicit-def: $vgpr78
	s_delay_alu instid0(VALU_DEP_1) | instskip(NEXT) | instid1(VALU_DEP_1)
	v_mul_f32_e32 v8, v58, v8
	v_and_b32_e32 v9, 0x7f800000, v8
	s_delay_alu instid0(VALU_DEP_1)
	v_cmpx_ne_u32_e32 0x7f800000, v9
	s_xor_b32 s60, exec_lo, s60
; %bb.603:                              ;   in Loop: Header=BB6_554 Depth=4
	v_bfe_u32 v9, v8, 16, 1
	s_delay_alu instid0(VALU_DEP_1)
	v_add3_u32 v78, v8, v9, 0x7fff
                                        ; implicit-def: $vgpr8
; %bb.604:                              ;   in Loop: Header=BB6_554 Depth=4
	s_and_not1_saveexec_b32 s60, s60
; %bb.605:                              ;   in Loop: Header=BB6_554 Depth=4
	v_and_b32_e32 v9, 0xffff, v8
	v_or_b32_e32 v12, 0x10000, v8
	s_delay_alu instid0(VALU_DEP_2) | instskip(NEXT) | instid1(VALU_DEP_2)
	v_cmp_eq_u32_e32 vcc_lo, 0, v9
	v_cndmask_b32_e32 v78, v12, v8, vcc_lo
; %bb.606:                              ;   in Loop: Header=BB6_554 Depth=4
	s_or_b32 exec_lo, exec_lo, s60
	v_and_b32_e32 v8, 0xffff0000, v10
	s_mov_b32 s60, exec_lo
                                        ; implicit-def: $vgpr74
	s_delay_alu instid0(VALU_DEP_1) | instskip(NEXT) | instid1(VALU_DEP_1)
	v_mul_f32_e32 v8, v58, v8
	v_and_b32_e32 v9, 0x7f800000, v8
	s_delay_alu instid0(VALU_DEP_1)
	v_cmpx_ne_u32_e32 0x7f800000, v9
	s_xor_b32 s60, exec_lo, s60
; %bb.607:                              ;   in Loop: Header=BB6_554 Depth=4
	v_bfe_u32 v9, v8, 16, 1
	s_delay_alu instid0(VALU_DEP_1)
	v_add3_u32 v74, v8, v9, 0x7fff
                                        ; implicit-def: $vgpr8
; %bb.608:                              ;   in Loop: Header=BB6_554 Depth=4
	s_and_not1_saveexec_b32 s60, s60
; %bb.609:                              ;   in Loop: Header=BB6_554 Depth=4
	v_and_b32_e32 v9, 0xffff, v8
	v_or_b32_e32 v10, 0x10000, v8
	s_delay_alu instid0(VALU_DEP_2) | instskip(NEXT) | instid1(VALU_DEP_2)
	v_cmp_eq_u32_e32 vcc_lo, 0, v9
	v_cndmask_b32_e32 v74, v10, v8, vcc_lo
; %bb.610:                              ;   in Loop: Header=BB6_554 Depth=4
	s_or_b32 exec_lo, exec_lo, s60
	v_lshlrev_b32_e32 v8, 16, v11
	s_mov_b32 s60, exec_lo
                                        ; implicit-def: $vgpr75
	s_delay_alu instid0(VALU_DEP_1) | instskip(NEXT) | instid1(VALU_DEP_1)
	v_mul_f32_e32 v8, v58, v8
	v_and_b32_e32 v9, 0x7f800000, v8
	s_delay_alu instid0(VALU_DEP_1)
	v_cmpx_ne_u32_e32 0x7f800000, v9
	s_xor_b32 s60, exec_lo, s60
; %bb.611:                              ;   in Loop: Header=BB6_554 Depth=4
	v_bfe_u32 v9, v8, 16, 1
	s_delay_alu instid0(VALU_DEP_1)
	v_add3_u32 v75, v8, v9, 0x7fff
                                        ; implicit-def: $vgpr8
; %bb.612:                              ;   in Loop: Header=BB6_554 Depth=4
	s_and_not1_saveexec_b32 s60, s60
; %bb.613:                              ;   in Loop: Header=BB6_554 Depth=4
	v_and_b32_e32 v9, 0xffff, v8
	v_or_b32_e32 v10, 0x10000, v8
	s_delay_alu instid0(VALU_DEP_2) | instskip(NEXT) | instid1(VALU_DEP_2)
	v_cmp_eq_u32_e32 vcc_lo, 0, v9
	v_cndmask_b32_e32 v75, v10, v8, vcc_lo
; %bb.614:                              ;   in Loop: Header=BB6_554 Depth=4
	s_or_b32 exec_lo, exec_lo, s60
	v_and_b32_e32 v8, 0xffff0000, v11
	s_mov_b32 s60, exec_lo
                                        ; implicit-def: $vgpr59
	s_delay_alu instid0(VALU_DEP_1) | instskip(NEXT) | instid1(VALU_DEP_1)
	v_mul_f32_e32 v8, v58, v8
	v_and_b32_e32 v9, 0x7f800000, v8
	s_delay_alu instid0(VALU_DEP_1)
	v_cmpx_ne_u32_e32 0x7f800000, v9
	s_xor_b32 s60, exec_lo, s60
; %bb.615:                              ;   in Loop: Header=BB6_554 Depth=4
	v_bfe_u32 v9, v8, 16, 1
	s_delay_alu instid0(VALU_DEP_1)
	v_add3_u32 v59, v8, v9, 0x7fff
                                        ; implicit-def: $vgpr8
; %bb.616:                              ;   in Loop: Header=BB6_554 Depth=4
	s_and_not1_saveexec_b32 s60, s60
; %bb.617:                              ;   in Loop: Header=BB6_554 Depth=4
	v_and_b32_e32 v9, 0xffff, v8
	v_or_b32_e32 v10, 0x10000, v8
	s_delay_alu instid0(VALU_DEP_2) | instskip(NEXT) | instid1(VALU_DEP_2)
	v_cmp_eq_u32_e32 vcc_lo, 0, v9
	v_cndmask_b32_e32 v59, v10, v8, vcc_lo
; %bb.618:                              ;   in Loop: Header=BB6_554 Depth=4
	s_or_b32 exec_lo, exec_lo, s60
	s_clause 0x1
	global_load_b128 v[12:15], v[44:45], off th:TH_LOAD_NT
	global_load_b128 v[8:11], v[44:45], off offset:512 th:TH_LOAD_NT
	v_and_b32_e32 v76, 0xffff0000, v76
	s_wait_loadcnt 0x1
	v_lshlrev_b32_e32 v105, 16, v12
	s_delay_alu instid0(VALU_DEP_1) | instskip(NEXT) | instid1(VALU_DEP_1)
	v_add_f32_e32 v105, v76, v105
	v_and_b32_e32 v76, 0x7f800000, v105
	s_delay_alu instid0(VALU_DEP_1) | instskip(SKIP_2) | instid1(SALU_CYCLE_1)
	v_cmp_ne_u32_e32 vcc_lo, 0x7f800000, v76
                                        ; implicit-def: $vgpr76
	s_wait_xcnt 0x0
	s_and_saveexec_b32 s60, vcc_lo
	s_xor_b32 s60, exec_lo, s60
; %bb.619:                              ;   in Loop: Header=BB6_554 Depth=4
	v_bfe_u32 v76, v105, 16, 1
	s_delay_alu instid0(VALU_DEP_1)
	v_add3_u32 v76, v105, v76, 0x7fff
                                        ; implicit-def: $vgpr105
; %bb.620:                              ;   in Loop: Header=BB6_554 Depth=4
	s_and_not1_saveexec_b32 s60, s60
; %bb.621:                              ;   in Loop: Header=BB6_554 Depth=4
	v_and_b32_e32 v76, 0xffff, v105
	v_or_b32_e32 v106, 0x10000, v105
	s_delay_alu instid0(VALU_DEP_2) | instskip(NEXT) | instid1(VALU_DEP_2)
	v_cmp_eq_u32_e32 vcc_lo, 0, v76
	v_cndmask_b32_e32 v76, v106, v105, vcc_lo
; %bb.622:                              ;   in Loop: Header=BB6_554 Depth=4
	s_or_b32 exec_lo, exec_lo, s60
	v_and_b32_e32 v12, 0xffff0000, v12
	v_and_b32_e32 v95, 0xffff0000, v95
	s_delay_alu instid0(VALU_DEP_1) | instskip(NEXT) | instid1(VALU_DEP_1)
	v_add_f32_e32 v95, v95, v12
	v_and_b32_e32 v12, 0x7f800000, v95
	s_delay_alu instid0(VALU_DEP_1) | instskip(SKIP_1) | instid1(SALU_CYCLE_1)
	v_cmp_ne_u32_e32 vcc_lo, 0x7f800000, v12
                                        ; implicit-def: $vgpr12
	s_and_saveexec_b32 s60, vcc_lo
	s_xor_b32 s60, exec_lo, s60
; %bb.623:                              ;   in Loop: Header=BB6_554 Depth=4
	v_bfe_u32 v12, v95, 16, 1
	s_delay_alu instid0(VALU_DEP_1)
	v_add3_u32 v12, v95, v12, 0x7fff
                                        ; implicit-def: $vgpr95
; %bb.624:                              ;   in Loop: Header=BB6_554 Depth=4
	s_and_not1_saveexec_b32 s60, s60
; %bb.625:                              ;   in Loop: Header=BB6_554 Depth=4
	v_and_b32_e32 v12, 0xffff, v95
	v_or_b32_e32 v105, 0x10000, v95
	s_delay_alu instid0(VALU_DEP_2) | instskip(NEXT) | instid1(VALU_DEP_2)
	v_cmp_eq_u32_e32 vcc_lo, 0, v12
	v_cndmask_b32_e32 v12, v105, v95, vcc_lo
; %bb.626:                              ;   in Loop: Header=BB6_554 Depth=4
	s_or_b32 exec_lo, exec_lo, s60
	v_and_b32_e32 v95, 0xffff0000, v104
	v_lshlrev_b32_e32 v104, 16, v13
	s_delay_alu instid0(VALU_DEP_1) | instskip(NEXT) | instid1(VALU_DEP_1)
	v_add_f32_e32 v104, v95, v104
	v_and_b32_e32 v95, 0x7f800000, v104
	s_delay_alu instid0(VALU_DEP_1) | instskip(SKIP_1) | instid1(SALU_CYCLE_1)
	v_cmp_ne_u32_e32 vcc_lo, 0x7f800000, v95
                                        ; implicit-def: $vgpr95
	s_and_saveexec_b32 s60, vcc_lo
	s_xor_b32 s60, exec_lo, s60
; %bb.627:                              ;   in Loop: Header=BB6_554 Depth=4
	v_bfe_u32 v95, v104, 16, 1
	s_delay_alu instid0(VALU_DEP_1)
	v_add3_u32 v95, v104, v95, 0x7fff
                                        ; implicit-def: $vgpr104
; %bb.628:                              ;   in Loop: Header=BB6_554 Depth=4
	s_and_not1_saveexec_b32 s60, s60
; %bb.629:                              ;   in Loop: Header=BB6_554 Depth=4
	v_and_b32_e32 v95, 0xffff, v104
	v_or_b32_e32 v105, 0x10000, v104
	s_delay_alu instid0(VALU_DEP_2) | instskip(NEXT) | instid1(VALU_DEP_2)
	v_cmp_eq_u32_e32 vcc_lo, 0, v95
	v_cndmask_b32_e32 v95, v105, v104, vcc_lo
; %bb.630:                              ;   in Loop: Header=BB6_554 Depth=4
	s_or_b32 exec_lo, exec_lo, s60
	v_and_b32_e32 v13, 0xffff0000, v13
	v_and_b32_e32 v93, 0xffff0000, v93
	s_delay_alu instid0(VALU_DEP_1) | instskip(NEXT) | instid1(VALU_DEP_1)
	v_add_f32_e32 v93, v93, v13
	v_and_b32_e32 v13, 0x7f800000, v93
	s_delay_alu instid0(VALU_DEP_1) | instskip(SKIP_1) | instid1(SALU_CYCLE_1)
	v_cmp_ne_u32_e32 vcc_lo, 0x7f800000, v13
                                        ; implicit-def: $vgpr13
	s_and_saveexec_b32 s60, vcc_lo
	s_xor_b32 s60, exec_lo, s60
; %bb.631:                              ;   in Loop: Header=BB6_554 Depth=4
	v_bfe_u32 v13, v93, 16, 1
	s_delay_alu instid0(VALU_DEP_1)
	v_add3_u32 v13, v93, v13, 0x7fff
                                        ; implicit-def: $vgpr93
; %bb.632:                              ;   in Loop: Header=BB6_554 Depth=4
	s_and_not1_saveexec_b32 s60, s60
; %bb.633:                              ;   in Loop: Header=BB6_554 Depth=4
	v_and_b32_e32 v13, 0xffff, v93
	v_or_b32_e32 v104, 0x10000, v93
	s_delay_alu instid0(VALU_DEP_2) | instskip(NEXT) | instid1(VALU_DEP_2)
	v_cmp_eq_u32_e32 vcc_lo, 0, v13
	v_cndmask_b32_e32 v13, v104, v93, vcc_lo
; %bb.634:                              ;   in Loop: Header=BB6_554 Depth=4
	s_or_b32 exec_lo, exec_lo, s60
	v_and_b32_e32 v93, 0xffff0000, v94
	v_lshlrev_b32_e32 v94, 16, v14
	s_delay_alu instid0(VALU_DEP_1) | instskip(NEXT) | instid1(VALU_DEP_1)
	v_add_f32_e32 v94, v93, v94
	v_and_b32_e32 v93, 0x7f800000, v94
	s_delay_alu instid0(VALU_DEP_1) | instskip(SKIP_1) | instid1(SALU_CYCLE_1)
	v_cmp_ne_u32_e32 vcc_lo, 0x7f800000, v93
                                        ; implicit-def: $vgpr93
	s_and_saveexec_b32 s60, vcc_lo
	s_xor_b32 s60, exec_lo, s60
; %bb.635:                              ;   in Loop: Header=BB6_554 Depth=4
	v_bfe_u32 v93, v94, 16, 1
	s_delay_alu instid0(VALU_DEP_1)
	v_add3_u32 v93, v94, v93, 0x7fff
                                        ; implicit-def: $vgpr94
; %bb.636:                              ;   in Loop: Header=BB6_554 Depth=4
	s_and_not1_saveexec_b32 s60, s60
; %bb.637:                              ;   in Loop: Header=BB6_554 Depth=4
	v_and_b32_e32 v93, 0xffff, v94
	v_or_b32_e32 v104, 0x10000, v94
	s_delay_alu instid0(VALU_DEP_2) | instskip(NEXT) | instid1(VALU_DEP_2)
	v_cmp_eq_u32_e32 vcc_lo, 0, v93
	v_cndmask_b32_e32 v93, v104, v94, vcc_lo
; %bb.638:                              ;   in Loop: Header=BB6_554 Depth=4
	s_or_b32 exec_lo, exec_lo, s60
	v_and_b32_e32 v14, 0xffff0000, v14
	v_and_b32_e32 v91, 0xffff0000, v91
	s_delay_alu instid0(VALU_DEP_1) | instskip(NEXT) | instid1(VALU_DEP_1)
	v_add_f32_e32 v91, v91, v14
	v_and_b32_e32 v14, 0x7f800000, v91
	s_delay_alu instid0(VALU_DEP_1) | instskip(SKIP_1) | instid1(SALU_CYCLE_1)
	v_cmp_ne_u32_e32 vcc_lo, 0x7f800000, v14
                                        ; implicit-def: $vgpr14
	s_and_saveexec_b32 s60, vcc_lo
	s_xor_b32 s60, exec_lo, s60
; %bb.639:                              ;   in Loop: Header=BB6_554 Depth=4
	v_bfe_u32 v14, v91, 16, 1
	s_delay_alu instid0(VALU_DEP_1)
	v_add3_u32 v14, v91, v14, 0x7fff
                                        ; implicit-def: $vgpr91
; %bb.640:                              ;   in Loop: Header=BB6_554 Depth=4
	s_and_not1_saveexec_b32 s60, s60
; %bb.641:                              ;   in Loop: Header=BB6_554 Depth=4
	v_and_b32_e32 v14, 0xffff, v91
	v_or_b32_e32 v94, 0x10000, v91
	s_delay_alu instid0(VALU_DEP_2) | instskip(NEXT) | instid1(VALU_DEP_2)
	v_cmp_eq_u32_e32 vcc_lo, 0, v14
	v_cndmask_b32_e32 v14, v94, v91, vcc_lo
; %bb.642:                              ;   in Loop: Header=BB6_554 Depth=4
	s_or_b32 exec_lo, exec_lo, s60
	v_and_b32_e32 v91, 0xffff0000, v92
	v_lshlrev_b32_e32 v92, 16, v15
	s_delay_alu instid0(VALU_DEP_1) | instskip(NEXT) | instid1(VALU_DEP_1)
	v_add_f32_e32 v92, v91, v92
	v_and_b32_e32 v91, 0x7f800000, v92
	s_delay_alu instid0(VALU_DEP_1) | instskip(SKIP_1) | instid1(SALU_CYCLE_1)
	v_cmp_ne_u32_e32 vcc_lo, 0x7f800000, v91
                                        ; implicit-def: $vgpr91
	s_and_saveexec_b32 s60, vcc_lo
	s_xor_b32 s60, exec_lo, s60
; %bb.643:                              ;   in Loop: Header=BB6_554 Depth=4
	v_bfe_u32 v91, v92, 16, 1
	s_delay_alu instid0(VALU_DEP_1)
	v_add3_u32 v91, v92, v91, 0x7fff
                                        ; implicit-def: $vgpr92
; %bb.644:                              ;   in Loop: Header=BB6_554 Depth=4
	s_and_not1_saveexec_b32 s60, s60
; %bb.645:                              ;   in Loop: Header=BB6_554 Depth=4
	v_and_b32_e32 v91, 0xffff, v92
	v_or_b32_e32 v94, 0x10000, v92
	s_delay_alu instid0(VALU_DEP_2) | instskip(NEXT) | instid1(VALU_DEP_2)
	v_cmp_eq_u32_e32 vcc_lo, 0, v91
	v_cndmask_b32_e32 v91, v94, v92, vcc_lo
; %bb.646:                              ;   in Loop: Header=BB6_554 Depth=4
	s_or_b32 exec_lo, exec_lo, s60
	v_and_b32_e32 v15, 0xffff0000, v15
	v_and_b32_e32 v89, 0xffff0000, v89
	s_delay_alu instid0(VALU_DEP_1) | instskip(NEXT) | instid1(VALU_DEP_1)
	v_add_f32_e32 v89, v89, v15
	v_and_b32_e32 v15, 0x7f800000, v89
	s_delay_alu instid0(VALU_DEP_1) | instskip(SKIP_1) | instid1(SALU_CYCLE_1)
	v_cmp_ne_u32_e32 vcc_lo, 0x7f800000, v15
                                        ; implicit-def: $vgpr15
	s_and_saveexec_b32 s60, vcc_lo
	s_xor_b32 s60, exec_lo, s60
; %bb.647:                              ;   in Loop: Header=BB6_554 Depth=4
	v_bfe_u32 v15, v89, 16, 1
	s_delay_alu instid0(VALU_DEP_1)
	v_add3_u32 v15, v89, v15, 0x7fff
                                        ; implicit-def: $vgpr89
; %bb.648:                              ;   in Loop: Header=BB6_554 Depth=4
	s_and_not1_saveexec_b32 s60, s60
; %bb.649:                              ;   in Loop: Header=BB6_554 Depth=4
	v_and_b32_e32 v15, 0xffff, v89
	v_or_b32_e32 v92, 0x10000, v89
	s_delay_alu instid0(VALU_DEP_2) | instskip(NEXT) | instid1(VALU_DEP_2)
	v_cmp_eq_u32_e32 vcc_lo, 0, v15
	v_cndmask_b32_e32 v15, v92, v89, vcc_lo
; %bb.650:                              ;   in Loop: Header=BB6_554 Depth=4
	s_or_b32 exec_lo, exec_lo, s60
	v_and_b32_e32 v89, 0xffff0000, v90
	s_wait_loadcnt 0x0
	v_lshlrev_b32_e32 v90, 16, v8
	s_delay_alu instid0(VALU_DEP_1) | instskip(NEXT) | instid1(VALU_DEP_1)
	v_add_f32_e32 v90, v89, v90
	v_and_b32_e32 v89, 0x7f800000, v90
	s_delay_alu instid0(VALU_DEP_1) | instskip(SKIP_1) | instid1(SALU_CYCLE_1)
	v_cmp_ne_u32_e32 vcc_lo, 0x7f800000, v89
                                        ; implicit-def: $vgpr89
	s_and_saveexec_b32 s60, vcc_lo
	s_xor_b32 s60, exec_lo, s60
; %bb.651:                              ;   in Loop: Header=BB6_554 Depth=4
	v_bfe_u32 v89, v90, 16, 1
	s_delay_alu instid0(VALU_DEP_1)
	v_add3_u32 v89, v90, v89, 0x7fff
                                        ; implicit-def: $vgpr90
; %bb.652:                              ;   in Loop: Header=BB6_554 Depth=4
	s_and_not1_saveexec_b32 s60, s60
; %bb.653:                              ;   in Loop: Header=BB6_554 Depth=4
	v_and_b32_e32 v89, 0xffff, v90
	v_or_b32_e32 v92, 0x10000, v90
	s_delay_alu instid0(VALU_DEP_2) | instskip(NEXT) | instid1(VALU_DEP_2)
	v_cmp_eq_u32_e32 vcc_lo, 0, v89
	v_cndmask_b32_e32 v89, v92, v90, vcc_lo
; %bb.654:                              ;   in Loop: Header=BB6_554 Depth=4
	s_or_b32 exec_lo, exec_lo, s60
	v_and_b32_e32 v8, 0xffff0000, v8
	v_and_b32_e32 v79, 0xffff0000, v79
	s_delay_alu instid0(VALU_DEP_1) | instskip(NEXT) | instid1(VALU_DEP_1)
	v_add_f32_e32 v79, v79, v8
	v_and_b32_e32 v8, 0x7f800000, v79
	s_delay_alu instid0(VALU_DEP_1) | instskip(SKIP_1) | instid1(SALU_CYCLE_1)
	v_cmp_ne_u32_e32 vcc_lo, 0x7f800000, v8
                                        ; implicit-def: $vgpr8
	s_and_saveexec_b32 s60, vcc_lo
	s_xor_b32 s60, exec_lo, s60
; %bb.655:                              ;   in Loop: Header=BB6_554 Depth=4
	v_bfe_u32 v8, v79, 16, 1
	s_delay_alu instid0(VALU_DEP_1)
	v_add3_u32 v8, v79, v8, 0x7fff
                                        ; implicit-def: $vgpr79
; %bb.656:                              ;   in Loop: Header=BB6_554 Depth=4
	s_and_not1_saveexec_b32 s60, s60
; %bb.657:                              ;   in Loop: Header=BB6_554 Depth=4
	v_and_b32_e32 v8, 0xffff, v79
	v_or_b32_e32 v90, 0x10000, v79
	s_delay_alu instid0(VALU_DEP_2) | instskip(NEXT) | instid1(VALU_DEP_2)
	v_cmp_eq_u32_e32 vcc_lo, 0, v8
	v_cndmask_b32_e32 v8, v90, v79, vcc_lo
; %bb.658:                              ;   in Loop: Header=BB6_554 Depth=4
	s_or_b32 exec_lo, exec_lo, s60
	v_and_b32_e32 v79, 0xffff0000, v88
	v_lshlrev_b32_e32 v88, 16, v9
	s_delay_alu instid0(VALU_DEP_1) | instskip(NEXT) | instid1(VALU_DEP_1)
	v_add_f32_e32 v88, v79, v88
	v_and_b32_e32 v79, 0x7f800000, v88
	s_delay_alu instid0(VALU_DEP_1) | instskip(SKIP_1) | instid1(SALU_CYCLE_1)
	v_cmp_ne_u32_e32 vcc_lo, 0x7f800000, v79
                                        ; implicit-def: $vgpr79
	s_and_saveexec_b32 s60, vcc_lo
	s_xor_b32 s60, exec_lo, s60
; %bb.659:                              ;   in Loop: Header=BB6_554 Depth=4
	v_bfe_u32 v79, v88, 16, 1
	s_delay_alu instid0(VALU_DEP_1)
	v_add3_u32 v79, v88, v79, 0x7fff
                                        ; implicit-def: $vgpr88
; %bb.660:                              ;   in Loop: Header=BB6_554 Depth=4
	s_and_not1_saveexec_b32 s60, s60
; %bb.661:                              ;   in Loop: Header=BB6_554 Depth=4
	v_and_b32_e32 v79, 0xffff, v88
	v_or_b32_e32 v90, 0x10000, v88
	s_delay_alu instid0(VALU_DEP_2) | instskip(NEXT) | instid1(VALU_DEP_2)
	v_cmp_eq_u32_e32 vcc_lo, 0, v79
	v_cndmask_b32_e32 v79, v90, v88, vcc_lo
; %bb.662:                              ;   in Loop: Header=BB6_554 Depth=4
	s_or_b32 exec_lo, exec_lo, s60
	v_and_b32_e32 v9, 0xffff0000, v9
	v_and_b32_e32 v77, 0xffff0000, v77
	s_delay_alu instid0(VALU_DEP_1) | instskip(NEXT) | instid1(VALU_DEP_1)
	v_add_f32_e32 v77, v77, v9
	v_and_b32_e32 v9, 0x7f800000, v77
	s_delay_alu instid0(VALU_DEP_1) | instskip(SKIP_1) | instid1(SALU_CYCLE_1)
	v_cmp_ne_u32_e32 vcc_lo, 0x7f800000, v9
                                        ; implicit-def: $vgpr9
	s_and_saveexec_b32 s60, vcc_lo
	s_xor_b32 s60, exec_lo, s60
; %bb.663:                              ;   in Loop: Header=BB6_554 Depth=4
	v_bfe_u32 v9, v77, 16, 1
	s_delay_alu instid0(VALU_DEP_1)
	v_add3_u32 v9, v77, v9, 0x7fff
                                        ; implicit-def: $vgpr77
; %bb.664:                              ;   in Loop: Header=BB6_554 Depth=4
	s_and_not1_saveexec_b32 s60, s60
; %bb.665:                              ;   in Loop: Header=BB6_554 Depth=4
	v_and_b32_e32 v9, 0xffff, v77
	v_or_b32_e32 v88, 0x10000, v77
	s_delay_alu instid0(VALU_DEP_2) | instskip(NEXT) | instid1(VALU_DEP_2)
	v_cmp_eq_u32_e32 vcc_lo, 0, v9
	v_cndmask_b32_e32 v9, v88, v77, vcc_lo
; %bb.666:                              ;   in Loop: Header=BB6_554 Depth=4
	s_or_b32 exec_lo, exec_lo, s60
	v_and_b32_e32 v77, 0xffff0000, v78
	v_lshlrev_b32_e32 v78, 16, v10
	s_delay_alu instid0(VALU_DEP_1) | instskip(NEXT) | instid1(VALU_DEP_1)
	v_add_f32_e32 v78, v77, v78
	v_and_b32_e32 v77, 0x7f800000, v78
	s_delay_alu instid0(VALU_DEP_1) | instskip(SKIP_1) | instid1(SALU_CYCLE_1)
	v_cmp_ne_u32_e32 vcc_lo, 0x7f800000, v77
                                        ; implicit-def: $vgpr77
	s_and_saveexec_b32 s60, vcc_lo
	s_xor_b32 s60, exec_lo, s60
; %bb.667:                              ;   in Loop: Header=BB6_554 Depth=4
	v_bfe_u32 v77, v78, 16, 1
	s_delay_alu instid0(VALU_DEP_1)
	v_add3_u32 v77, v78, v77, 0x7fff
                                        ; implicit-def: $vgpr78
; %bb.668:                              ;   in Loop: Header=BB6_554 Depth=4
	s_and_not1_saveexec_b32 s60, s60
; %bb.669:                              ;   in Loop: Header=BB6_554 Depth=4
	v_and_b32_e32 v77, 0xffff, v78
	v_or_b32_e32 v88, 0x10000, v78
	s_delay_alu instid0(VALU_DEP_2) | instskip(NEXT) | instid1(VALU_DEP_2)
	v_cmp_eq_u32_e32 vcc_lo, 0, v77
	v_cndmask_b32_e32 v77, v88, v78, vcc_lo
; %bb.670:                              ;   in Loop: Header=BB6_554 Depth=4
	s_or_b32 exec_lo, exec_lo, s60
	v_and_b32_e32 v10, 0xffff0000, v10
	v_and_b32_e32 v74, 0xffff0000, v74
	s_delay_alu instid0(VALU_DEP_1) | instskip(NEXT) | instid1(VALU_DEP_1)
	v_add_f32_e32 v74, v74, v10
	v_and_b32_e32 v10, 0x7f800000, v74
	s_delay_alu instid0(VALU_DEP_1) | instskip(SKIP_1) | instid1(SALU_CYCLE_1)
	v_cmp_ne_u32_e32 vcc_lo, 0x7f800000, v10
                                        ; implicit-def: $vgpr10
	s_and_saveexec_b32 s60, vcc_lo
	s_xor_b32 s60, exec_lo, s60
; %bb.671:                              ;   in Loop: Header=BB6_554 Depth=4
	v_bfe_u32 v10, v74, 16, 1
	s_delay_alu instid0(VALU_DEP_1)
	v_add3_u32 v10, v74, v10, 0x7fff
                                        ; implicit-def: $vgpr74
; %bb.672:                              ;   in Loop: Header=BB6_554 Depth=4
	s_and_not1_saveexec_b32 s60, s60
; %bb.673:                              ;   in Loop: Header=BB6_554 Depth=4
	v_and_b32_e32 v10, 0xffff, v74
	v_or_b32_e32 v78, 0x10000, v74
	s_delay_alu instid0(VALU_DEP_2) | instskip(NEXT) | instid1(VALU_DEP_2)
	v_cmp_eq_u32_e32 vcc_lo, 0, v10
	v_cndmask_b32_e32 v10, v78, v74, vcc_lo
; %bb.674:                              ;   in Loop: Header=BB6_554 Depth=4
	s_or_b32 exec_lo, exec_lo, s60
	v_and_b32_e32 v74, 0xffff0000, v75
	v_lshlrev_b32_e32 v75, 16, v11
	s_delay_alu instid0(VALU_DEP_1) | instskip(NEXT) | instid1(VALU_DEP_1)
	v_add_f32_e32 v75, v74, v75
	v_and_b32_e32 v74, 0x7f800000, v75
	s_delay_alu instid0(VALU_DEP_1) | instskip(SKIP_1) | instid1(SALU_CYCLE_1)
	v_cmp_ne_u32_e32 vcc_lo, 0x7f800000, v74
                                        ; implicit-def: $vgpr74
	s_and_saveexec_b32 s60, vcc_lo
	s_xor_b32 s60, exec_lo, s60
; %bb.675:                              ;   in Loop: Header=BB6_554 Depth=4
	v_bfe_u32 v74, v75, 16, 1
	s_delay_alu instid0(VALU_DEP_1)
	v_add3_u32 v74, v75, v74, 0x7fff
                                        ; implicit-def: $vgpr75
; %bb.676:                              ;   in Loop: Header=BB6_554 Depth=4
	s_and_not1_saveexec_b32 s60, s60
; %bb.677:                              ;   in Loop: Header=BB6_554 Depth=4
	v_and_b32_e32 v74, 0xffff, v75
	v_or_b32_e32 v78, 0x10000, v75
	s_delay_alu instid0(VALU_DEP_2) | instskip(NEXT) | instid1(VALU_DEP_2)
	v_cmp_eq_u32_e32 vcc_lo, 0, v74
	v_cndmask_b32_e32 v74, v78, v75, vcc_lo
; %bb.678:                              ;   in Loop: Header=BB6_554 Depth=4
	s_or_b32 exec_lo, exec_lo, s60
	v_and_b32_e32 v11, 0xffff0000, v11
	v_and_b32_e32 v59, 0xffff0000, v59
	s_delay_alu instid0(VALU_DEP_1) | instskip(NEXT) | instid1(VALU_DEP_1)
	v_add_f32_e32 v59, v59, v11
	v_and_b32_e32 v11, 0x7f800000, v59
	s_delay_alu instid0(VALU_DEP_1) | instskip(SKIP_1) | instid1(SALU_CYCLE_1)
	v_cmp_ne_u32_e32 vcc_lo, 0x7f800000, v11
                                        ; implicit-def: $vgpr11
	s_and_saveexec_b32 s60, vcc_lo
	s_xor_b32 s60, exec_lo, s60
; %bb.679:                              ;   in Loop: Header=BB6_554 Depth=4
	v_bfe_u32 v11, v59, 16, 1
	s_delay_alu instid0(VALU_DEP_1)
	v_add3_u32 v11, v59, v11, 0x7fff
                                        ; implicit-def: $vgpr59
; %bb.680:                              ;   in Loop: Header=BB6_554 Depth=4
	s_and_not1_saveexec_b32 s60, s60
	s_cbranch_execz .LBB6_553
; %bb.681:                              ;   in Loop: Header=BB6_554 Depth=4
	v_and_b32_e32 v11, 0xffff, v59
	v_or_b32_e32 v75, 0x10000, v59
	s_delay_alu instid0(VALU_DEP_2) | instskip(NEXT) | instid1(VALU_DEP_2)
	v_cmp_eq_u32_e32 vcc_lo, 0, v11
	v_cndmask_b32_e32 v11, v75, v59, vcc_lo
	s_branch .LBB6_553
.LBB6_682:                              ;   in Loop: Header=BB6_472 Depth=3
	s_or_b32 exec_lo, exec_lo, s41
.LBB6_683:                              ;   in Loop: Header=BB6_472 Depth=3
	s_delay_alu instid0(SALU_CYCLE_1) | instskip(SKIP_3) | instid1(VALU_DEP_1)
	s_or_b32 exec_lo, exec_lo, s13
	v_dual_lshlrev_b32 v44, 10, v57 :: v_dual_mov_b32 v14, 0
	s_mov_b32 s60, 0
	s_mov_b32 s41, exec_lo
                                        ; implicit-def: $vgpr15
	v_cmpx_ne_u32_e64 v113, v44
	s_cbranch_execz .LBB6_753
; %bb.684:                              ;   in Loop: Header=BB6_472 Depth=3
	v_dual_lshlrev_b32 v8, 5, v115 :: v_dual_sub_nc_u32 v10, v113, v44
	s_mov_b32 s60, exec_lo
	s_delay_alu instid0(VALU_DEP_1) | instskip(NEXT) | instid1(VALU_DEP_1)
	v_dual_sub_nc_u32 v8, v61, v8 :: v_dual_ashrrev_i32 v11, 31, v10
	v_dual_ashrrev_i32 v9, 31, v8 :: v_dual_lshrrev_b32 v11, 23, v11
	s_delay_alu instid0(VALU_DEP_1) | instskip(NEXT) | instid1(VALU_DEP_1)
	v_lshrrev_b32_e32 v9, 27, v9
	v_add_nc_u32_e32 v9, v8, v9
	s_delay_alu instid0(VALU_DEP_1) | instskip(NEXT) | instid1(VALU_DEP_1)
	v_and_b32_e32 v12, 0xffffffe0, v9
	v_dual_add_nc_u32 v11, v10, v11 :: v_dual_sub_nc_u32 v115, v8, v12
	s_delay_alu instid0(VALU_DEP_1) | instskip(SKIP_1) | instid1(VALU_DEP_2)
	v_and_b32_e32 v45, 0xfffffe00, v11
	v_dual_ashrrev_i32 v9, 5, v9 :: v_dual_ashrrev_i32 v11, 9, v11
	v_dual_lshlrev_b32 v8, 4, v115 :: v_dual_sub_nc_u32 v46, v10, v45
	s_delay_alu instid0(VALU_DEP_1) | instskip(NEXT) | instid1(VALU_DEP_2)
	v_lshl_add_u32 v8, v9, 9, v8
	v_cmp_lt_i32_e32 vcc_lo, 15, v46
	s_delay_alu instid0(VALU_DEP_4) | instskip(NEXT) | instid1(VALU_DEP_1)
	v_add_co_ci_u32_e64 v11, null, 0, v11, vcc_lo
	v_dual_sub_nc_u32 v57, v10, v8 :: v_dual_sub_nc_u32 v47, v11, v9
	s_delay_alu instid0(VALU_DEP_1)
	v_cmpx_lt_i32_e32 15, v57
	s_cbranch_execz .LBB6_752
; %bb.685:                              ;   in Loop: Header=BB6_472 Depth=3
	s_trap 2
	ds_load_b64 v[10:11], v0
	ds_load_b32 v58, v0
	v_add_nc_u32_e32 v8, v8, v44
	s_mov_b32 s61, 0
	s_wait_dscnt 0x0
	s_delay_alu instid0(VALU_DEP_1) | instskip(NEXT) | instid1(VALU_DEP_1)
	v_dual_lshlrev_b32 v58, 16, v58 :: v_dual_ashrrev_i32 v9, 31, v8
	v_add_nc_u64_e32 v[12:13], v[8:9], v[118:119]
	v_add_nc_u64_e32 v[14:15], v[10:11], v[8:9]
	;; [unrolled: 1-line block ×3, first 2 shown]
	s_branch .LBB6_687
.LBB6_686:                              ;   in Loop: Header=BB6_687 Depth=4
	s_or_b32 exec_lo, exec_lo, s62
	v_dual_lshrrev_b32 v59, 16, v79 :: v_dual_lshrrev_b32 v74, 16, v74
	v_dual_lshrrev_b32 v76, 16, v77 :: v_dual_lshrrev_b32 v75, 16, v75
	v_dual_sub_nc_u32 v57, v57, v54 :: v_dual_sub_nc_u32 v47, v47, v36
	s_delay_alu instid0(VALU_DEP_3) | instskip(NEXT) | instid1(VALU_DEP_4)
	v_and_or_b32 v9, 0xffff0000, v9, v59
	v_and_or_b32 v8, 0xffff0000, v8, v74
	s_delay_alu instid0(VALU_DEP_4)
	v_and_or_b32 v10, 0xffff0000, v10, v76
	v_and_or_b32 v11, 0xffff0000, v11, v75
	v_add_nc_u64_e32 v[12:13], v[12:13], v[54:55]
	v_add_nc_u64_e32 v[14:15], v[14:15], v[54:55]
	v_cmp_gt_i32_e64 s13, 16, v57
	global_store_b128 v[42:43], v[8:11], off th:TH_STORE_NT
	s_wait_xcnt 0x0
	v_add_nc_u64_e32 v[42:43], v[42:43], v[54:55]
	s_or_b32 s61, s13, s61
	s_delay_alu instid0(SALU_CYCLE_1)
	s_and_not1_b32 exec_lo, exec_lo, s61
	s_cbranch_execz .LBB6_751
.LBB6_687:                              ;   Parent Loop BB6_47 Depth=1
                                        ;     Parent Loop BB6_469 Depth=2
                                        ;       Parent Loop BB6_472 Depth=3
                                        ; =>      This Inner Loop Header: Depth=4
	global_load_b128 v[8:11], v[12:13], off th:TH_LOAD_NT
	s_wait_loadcnt 0x0
	v_lshlrev_b32_e32 v59, 16, v8
	s_delay_alu instid0(VALU_DEP_1) | instskip(NEXT) | instid1(VALU_DEP_1)
	v_mul_f32_e32 v59, v58, v59
	v_and_b32_e32 v74, 0x7f800000, v59
	s_delay_alu instid0(VALU_DEP_1) | instskip(SKIP_2) | instid1(SALU_CYCLE_1)
	v_cmp_ne_u32_e64 s13, 0x7f800000, v74
                                        ; implicit-def: $vgpr74
	s_wait_xcnt 0x0
	s_and_saveexec_b32 s62, s13
	s_xor_b32 s13, exec_lo, s62
; %bb.688:                              ;   in Loop: Header=BB6_687 Depth=4
	v_bfe_u32 v74, v59, 16, 1
	s_delay_alu instid0(VALU_DEP_1)
	v_add3_u32 v74, v59, v74, 0x7fff
                                        ; implicit-def: $vgpr59
; %bb.689:                              ;   in Loop: Header=BB6_687 Depth=4
	s_and_not1_saveexec_b32 s62, s13
; %bb.690:                              ;   in Loop: Header=BB6_687 Depth=4
	v_and_b32_e32 v74, 0xffff, v59
	v_or_b32_e32 v75, 0x10000, v59
	s_delay_alu instid0(VALU_DEP_2) | instskip(NEXT) | instid1(VALU_DEP_1)
	v_cmp_eq_u32_e64 s13, 0, v74
	v_cndmask_b32_e64 v74, v75, v59, s13
; %bb.691:                              ;   in Loop: Header=BB6_687 Depth=4
	s_or_b32 exec_lo, exec_lo, s62
	v_and_b32_e32 v8, 0xffff0000, v8
                                        ; implicit-def: $vgpr88
	s_delay_alu instid0(VALU_DEP_1) | instskip(NEXT) | instid1(VALU_DEP_1)
	v_mul_f32_e32 v8, v58, v8
	v_and_b32_e32 v59, 0x7f800000, v8
	s_delay_alu instid0(VALU_DEP_1) | instskip(SKIP_1) | instid1(SALU_CYCLE_1)
	v_cmp_ne_u32_e64 s13, 0x7f800000, v59
	s_and_saveexec_b32 s62, s13
	s_xor_b32 s13, exec_lo, s62
; %bb.692:                              ;   in Loop: Header=BB6_687 Depth=4
	v_bfe_u32 v59, v8, 16, 1
	s_delay_alu instid0(VALU_DEP_1)
	v_add3_u32 v88, v8, v59, 0x7fff
                                        ; implicit-def: $vgpr8
; %bb.693:                              ;   in Loop: Header=BB6_687 Depth=4
	s_and_not1_saveexec_b32 s62, s13
; %bb.694:                              ;   in Loop: Header=BB6_687 Depth=4
	v_and_b32_e32 v59, 0xffff, v8
	v_or_b32_e32 v75, 0x10000, v8
	s_delay_alu instid0(VALU_DEP_2) | instskip(NEXT) | instid1(VALU_DEP_1)
	v_cmp_eq_u32_e64 s13, 0, v59
	v_cndmask_b32_e64 v88, v75, v8, s13
; %bb.695:                              ;   in Loop: Header=BB6_687 Depth=4
	s_or_b32 exec_lo, exec_lo, s62
	v_lshlrev_b32_e32 v8, 16, v9
                                        ; implicit-def: $vgpr79
	s_delay_alu instid0(VALU_DEP_1) | instskip(NEXT) | instid1(VALU_DEP_1)
	v_mul_f32_e32 v8, v58, v8
	v_and_b32_e32 v59, 0x7f800000, v8
	s_delay_alu instid0(VALU_DEP_1) | instskip(SKIP_1) | instid1(SALU_CYCLE_1)
	v_cmp_ne_u32_e64 s13, 0x7f800000, v59
	s_and_saveexec_b32 s62, s13
	s_xor_b32 s13, exec_lo, s62
; %bb.696:                              ;   in Loop: Header=BB6_687 Depth=4
	v_bfe_u32 v59, v8, 16, 1
	s_delay_alu instid0(VALU_DEP_1)
	v_add3_u32 v79, v8, v59, 0x7fff
                                        ; implicit-def: $vgpr8
; %bb.697:                              ;   in Loop: Header=BB6_687 Depth=4
	s_and_not1_saveexec_b32 s62, s13
; %bb.698:                              ;   in Loop: Header=BB6_687 Depth=4
	v_and_b32_e32 v59, 0xffff, v8
	v_or_b32_e32 v75, 0x10000, v8
	s_delay_alu instid0(VALU_DEP_2) | instskip(NEXT) | instid1(VALU_DEP_1)
	v_cmp_eq_u32_e64 s13, 0, v59
	v_cndmask_b32_e64 v79, v75, v8, s13
; %bb.699:                              ;   in Loop: Header=BB6_687 Depth=4
	s_or_b32 exec_lo, exec_lo, s62
	v_and_b32_e32 v8, 0xffff0000, v9
                                        ; implicit-def: $vgpr78
	s_delay_alu instid0(VALU_DEP_1) | instskip(NEXT) | instid1(VALU_DEP_1)
	v_mul_f32_e32 v8, v58, v8
	v_and_b32_e32 v9, 0x7f800000, v8
	s_delay_alu instid0(VALU_DEP_1) | instskip(SKIP_1) | instid1(SALU_CYCLE_1)
	v_cmp_ne_u32_e64 s13, 0x7f800000, v9
	s_and_saveexec_b32 s62, s13
	s_xor_b32 s13, exec_lo, s62
; %bb.700:                              ;   in Loop: Header=BB6_687 Depth=4
	v_bfe_u32 v9, v8, 16, 1
	s_delay_alu instid0(VALU_DEP_1)
	v_add3_u32 v78, v8, v9, 0x7fff
                                        ; implicit-def: $vgpr8
; %bb.701:                              ;   in Loop: Header=BB6_687 Depth=4
	s_and_not1_saveexec_b32 s62, s13
; %bb.702:                              ;   in Loop: Header=BB6_687 Depth=4
	v_and_b32_e32 v9, 0xffff, v8
	v_or_b32_e32 v59, 0x10000, v8
	s_delay_alu instid0(VALU_DEP_2) | instskip(NEXT) | instid1(VALU_DEP_1)
	v_cmp_eq_u32_e64 s13, 0, v9
	v_cndmask_b32_e64 v78, v59, v8, s13
; %bb.703:                              ;   in Loop: Header=BB6_687 Depth=4
	s_or_b32 exec_lo, exec_lo, s62
	v_lshlrev_b32_e32 v8, 16, v10
                                        ; implicit-def: $vgpr77
	s_delay_alu instid0(VALU_DEP_1) | instskip(NEXT) | instid1(VALU_DEP_1)
	v_mul_f32_e32 v8, v58, v8
	v_and_b32_e32 v9, 0x7f800000, v8
	s_delay_alu instid0(VALU_DEP_1) | instskip(SKIP_1) | instid1(SALU_CYCLE_1)
	v_cmp_ne_u32_e64 s13, 0x7f800000, v9
	s_and_saveexec_b32 s62, s13
	s_xor_b32 s13, exec_lo, s62
; %bb.704:                              ;   in Loop: Header=BB6_687 Depth=4
	v_bfe_u32 v9, v8, 16, 1
	s_delay_alu instid0(VALU_DEP_1)
	v_add3_u32 v77, v8, v9, 0x7fff
                                        ; implicit-def: $vgpr8
; %bb.705:                              ;   in Loop: Header=BB6_687 Depth=4
	s_and_not1_saveexec_b32 s62, s13
; %bb.706:                              ;   in Loop: Header=BB6_687 Depth=4
	v_and_b32_e32 v9, 0xffff, v8
	v_or_b32_e32 v59, 0x10000, v8
	s_delay_alu instid0(VALU_DEP_2) | instskip(NEXT) | instid1(VALU_DEP_1)
	v_cmp_eq_u32_e64 s13, 0, v9
	v_cndmask_b32_e64 v77, v59, v8, s13
; %bb.707:                              ;   in Loop: Header=BB6_687 Depth=4
	s_or_b32 exec_lo, exec_lo, s62
	v_and_b32_e32 v8, 0xffff0000, v10
                                        ; implicit-def: $vgpr76
	s_delay_alu instid0(VALU_DEP_1) | instskip(NEXT) | instid1(VALU_DEP_1)
	v_mul_f32_e32 v8, v58, v8
	v_and_b32_e32 v9, 0x7f800000, v8
	s_delay_alu instid0(VALU_DEP_1) | instskip(SKIP_1) | instid1(SALU_CYCLE_1)
	v_cmp_ne_u32_e64 s13, 0x7f800000, v9
	s_and_saveexec_b32 s62, s13
	s_xor_b32 s13, exec_lo, s62
; %bb.708:                              ;   in Loop: Header=BB6_687 Depth=4
	v_bfe_u32 v9, v8, 16, 1
	s_delay_alu instid0(VALU_DEP_1)
	v_add3_u32 v76, v8, v9, 0x7fff
                                        ; implicit-def: $vgpr8
; %bb.709:                              ;   in Loop: Header=BB6_687 Depth=4
	s_and_not1_saveexec_b32 s62, s13
; %bb.710:                              ;   in Loop: Header=BB6_687 Depth=4
	v_and_b32_e32 v9, 0xffff, v8
	v_or_b32_e32 v10, 0x10000, v8
	s_delay_alu instid0(VALU_DEP_2) | instskip(NEXT) | instid1(VALU_DEP_1)
	v_cmp_eq_u32_e64 s13, 0, v9
	v_cndmask_b32_e64 v76, v10, v8, s13
; %bb.711:                              ;   in Loop: Header=BB6_687 Depth=4
	s_or_b32 exec_lo, exec_lo, s62
	v_lshlrev_b32_e32 v8, 16, v11
                                        ; implicit-def: $vgpr75
	s_delay_alu instid0(VALU_DEP_1) | instskip(NEXT) | instid1(VALU_DEP_1)
	v_mul_f32_e32 v8, v58, v8
	v_and_b32_e32 v9, 0x7f800000, v8
	s_delay_alu instid0(VALU_DEP_1) | instskip(SKIP_1) | instid1(SALU_CYCLE_1)
	v_cmp_ne_u32_e64 s13, 0x7f800000, v9
	s_and_saveexec_b32 s62, s13
	s_xor_b32 s13, exec_lo, s62
; %bb.712:                              ;   in Loop: Header=BB6_687 Depth=4
	v_bfe_u32 v9, v8, 16, 1
	s_delay_alu instid0(VALU_DEP_1)
	v_add3_u32 v75, v8, v9, 0x7fff
                                        ; implicit-def: $vgpr8
; %bb.713:                              ;   in Loop: Header=BB6_687 Depth=4
	s_and_not1_saveexec_b32 s62, s13
; %bb.714:                              ;   in Loop: Header=BB6_687 Depth=4
	v_and_b32_e32 v9, 0xffff, v8
	v_or_b32_e32 v10, 0x10000, v8
	s_delay_alu instid0(VALU_DEP_2) | instskip(NEXT) | instid1(VALU_DEP_1)
	v_cmp_eq_u32_e64 s13, 0, v9
	v_cndmask_b32_e64 v75, v10, v8, s13
; %bb.715:                              ;   in Loop: Header=BB6_687 Depth=4
	s_or_b32 exec_lo, exec_lo, s62
	v_and_b32_e32 v8, 0xffff0000, v11
                                        ; implicit-def: $vgpr59
	s_delay_alu instid0(VALU_DEP_1) | instskip(NEXT) | instid1(VALU_DEP_1)
	v_mul_f32_e32 v8, v58, v8
	v_and_b32_e32 v9, 0x7f800000, v8
	s_delay_alu instid0(VALU_DEP_1) | instskip(SKIP_1) | instid1(SALU_CYCLE_1)
	v_cmp_ne_u32_e64 s13, 0x7f800000, v9
	s_and_saveexec_b32 s62, s13
	s_xor_b32 s13, exec_lo, s62
; %bb.716:                              ;   in Loop: Header=BB6_687 Depth=4
	v_bfe_u32 v9, v8, 16, 1
	s_delay_alu instid0(VALU_DEP_1)
	v_add3_u32 v59, v8, v9, 0x7fff
                                        ; implicit-def: $vgpr8
; %bb.717:                              ;   in Loop: Header=BB6_687 Depth=4
	s_and_not1_saveexec_b32 s62, s13
; %bb.718:                              ;   in Loop: Header=BB6_687 Depth=4
	v_and_b32_e32 v9, 0xffff, v8
	v_or_b32_e32 v10, 0x10000, v8
	s_delay_alu instid0(VALU_DEP_2) | instskip(NEXT) | instid1(VALU_DEP_1)
	v_cmp_eq_u32_e64 s13, 0, v9
	v_cndmask_b32_e64 v59, v10, v8, s13
; %bb.719:                              ;   in Loop: Header=BB6_687 Depth=4
	s_or_b32 exec_lo, exec_lo, s62
	global_load_b128 v[8:11], v[14:15], off th:TH_LOAD_NT
	v_and_b32_e32 v74, 0xffff0000, v74
	s_wait_loadcnt 0x0
	v_lshlrev_b32_e32 v89, 16, v8
	s_delay_alu instid0(VALU_DEP_1) | instskip(NEXT) | instid1(VALU_DEP_1)
	v_add_f32_e32 v89, v74, v89
	v_and_b32_e32 v74, 0x7f800000, v89
	s_delay_alu instid0(VALU_DEP_1) | instskip(SKIP_2) | instid1(SALU_CYCLE_1)
	v_cmp_ne_u32_e64 s13, 0x7f800000, v74
                                        ; implicit-def: $vgpr74
	s_wait_xcnt 0x0
	s_and_saveexec_b32 s62, s13
	s_xor_b32 s13, exec_lo, s62
; %bb.720:                              ;   in Loop: Header=BB6_687 Depth=4
	v_bfe_u32 v74, v89, 16, 1
	s_delay_alu instid0(VALU_DEP_1)
	v_add3_u32 v74, v89, v74, 0x7fff
                                        ; implicit-def: $vgpr89
; %bb.721:                              ;   in Loop: Header=BB6_687 Depth=4
	s_and_not1_saveexec_b32 s62, s13
; %bb.722:                              ;   in Loop: Header=BB6_687 Depth=4
	v_and_b32_e32 v74, 0xffff, v89
	v_or_b32_e32 v90, 0x10000, v89
	s_delay_alu instid0(VALU_DEP_2) | instskip(NEXT) | instid1(VALU_DEP_1)
	v_cmp_eq_u32_e64 s13, 0, v74
	v_cndmask_b32_e64 v74, v90, v89, s13
; %bb.723:                              ;   in Loop: Header=BB6_687 Depth=4
	s_or_b32 exec_lo, exec_lo, s62
	v_and_b32_e32 v88, 0xffff0000, v88
	v_and_b32_e32 v8, 0xffff0000, v8
	s_delay_alu instid0(VALU_DEP_1) | instskip(NEXT) | instid1(VALU_DEP_1)
	v_add_f32_e32 v88, v88, v8
	v_and_b32_e32 v8, 0x7f800000, v88
	s_delay_alu instid0(VALU_DEP_1) | instskip(SKIP_1) | instid1(SALU_CYCLE_1)
	v_cmp_ne_u32_e64 s13, 0x7f800000, v8
                                        ; implicit-def: $vgpr8
	s_and_saveexec_b32 s62, s13
	s_xor_b32 s13, exec_lo, s62
; %bb.724:                              ;   in Loop: Header=BB6_687 Depth=4
	v_bfe_u32 v8, v88, 16, 1
	s_delay_alu instid0(VALU_DEP_1)
	v_add3_u32 v8, v88, v8, 0x7fff
                                        ; implicit-def: $vgpr88
; %bb.725:                              ;   in Loop: Header=BB6_687 Depth=4
	s_and_not1_saveexec_b32 s62, s13
; %bb.726:                              ;   in Loop: Header=BB6_687 Depth=4
	v_and_b32_e32 v8, 0xffff, v88
	v_or_b32_e32 v89, 0x10000, v88
	s_delay_alu instid0(VALU_DEP_2) | instskip(NEXT) | instid1(VALU_DEP_1)
	v_cmp_eq_u32_e64 s13, 0, v8
	v_cndmask_b32_e64 v8, v89, v88, s13
; %bb.727:                              ;   in Loop: Header=BB6_687 Depth=4
	s_or_b32 exec_lo, exec_lo, s62
	v_and_b32_e32 v79, 0xffff0000, v79
	v_lshlrev_b32_e32 v88, 16, v9
	s_delay_alu instid0(VALU_DEP_1) | instskip(NEXT) | instid1(VALU_DEP_1)
	v_add_f32_e32 v88, v79, v88
	v_and_b32_e32 v79, 0x7f800000, v88
	s_delay_alu instid0(VALU_DEP_1) | instskip(SKIP_1) | instid1(SALU_CYCLE_1)
	v_cmp_ne_u32_e64 s13, 0x7f800000, v79
                                        ; implicit-def: $vgpr79
	s_and_saveexec_b32 s62, s13
	s_xor_b32 s13, exec_lo, s62
; %bb.728:                              ;   in Loop: Header=BB6_687 Depth=4
	v_bfe_u32 v79, v88, 16, 1
	s_delay_alu instid0(VALU_DEP_1)
	v_add3_u32 v79, v88, v79, 0x7fff
                                        ; implicit-def: $vgpr88
; %bb.729:                              ;   in Loop: Header=BB6_687 Depth=4
	s_and_not1_saveexec_b32 s62, s13
; %bb.730:                              ;   in Loop: Header=BB6_687 Depth=4
	v_and_b32_e32 v79, 0xffff, v88
	v_or_b32_e32 v89, 0x10000, v88
	s_delay_alu instid0(VALU_DEP_2) | instskip(NEXT) | instid1(VALU_DEP_1)
	v_cmp_eq_u32_e64 s13, 0, v79
	v_cndmask_b32_e64 v79, v89, v88, s13
; %bb.731:                              ;   in Loop: Header=BB6_687 Depth=4
	s_or_b32 exec_lo, exec_lo, s62
	v_and_b32_e32 v78, 0xffff0000, v78
	v_and_b32_e32 v9, 0xffff0000, v9
	s_delay_alu instid0(VALU_DEP_1) | instskip(NEXT) | instid1(VALU_DEP_1)
	v_add_f32_e32 v78, v78, v9
	v_and_b32_e32 v9, 0x7f800000, v78
	s_delay_alu instid0(VALU_DEP_1) | instskip(SKIP_1) | instid1(SALU_CYCLE_1)
	v_cmp_ne_u32_e64 s13, 0x7f800000, v9
                                        ; implicit-def: $vgpr9
	s_and_saveexec_b32 s62, s13
	s_xor_b32 s13, exec_lo, s62
; %bb.732:                              ;   in Loop: Header=BB6_687 Depth=4
	v_bfe_u32 v9, v78, 16, 1
	s_delay_alu instid0(VALU_DEP_1)
	v_add3_u32 v9, v78, v9, 0x7fff
                                        ; implicit-def: $vgpr78
; %bb.733:                              ;   in Loop: Header=BB6_687 Depth=4
	s_and_not1_saveexec_b32 s62, s13
; %bb.734:                              ;   in Loop: Header=BB6_687 Depth=4
	v_and_b32_e32 v9, 0xffff, v78
	v_or_b32_e32 v88, 0x10000, v78
	s_delay_alu instid0(VALU_DEP_2) | instskip(NEXT) | instid1(VALU_DEP_1)
	v_cmp_eq_u32_e64 s13, 0, v9
	v_cndmask_b32_e64 v9, v88, v78, s13
; %bb.735:                              ;   in Loop: Header=BB6_687 Depth=4
	s_or_b32 exec_lo, exec_lo, s62
	v_and_b32_e32 v77, 0xffff0000, v77
	v_lshlrev_b32_e32 v78, 16, v10
	s_delay_alu instid0(VALU_DEP_1) | instskip(NEXT) | instid1(VALU_DEP_1)
	v_add_f32_e32 v78, v77, v78
	v_and_b32_e32 v77, 0x7f800000, v78
	s_delay_alu instid0(VALU_DEP_1) | instskip(SKIP_1) | instid1(SALU_CYCLE_1)
	v_cmp_ne_u32_e64 s13, 0x7f800000, v77
                                        ; implicit-def: $vgpr77
	s_and_saveexec_b32 s62, s13
	s_xor_b32 s13, exec_lo, s62
; %bb.736:                              ;   in Loop: Header=BB6_687 Depth=4
	v_bfe_u32 v77, v78, 16, 1
	s_delay_alu instid0(VALU_DEP_1)
	v_add3_u32 v77, v78, v77, 0x7fff
                                        ; implicit-def: $vgpr78
; %bb.737:                              ;   in Loop: Header=BB6_687 Depth=4
	s_and_not1_saveexec_b32 s62, s13
; %bb.738:                              ;   in Loop: Header=BB6_687 Depth=4
	v_and_b32_e32 v77, 0xffff, v78
	v_or_b32_e32 v88, 0x10000, v78
	s_delay_alu instid0(VALU_DEP_2) | instskip(NEXT) | instid1(VALU_DEP_1)
	v_cmp_eq_u32_e64 s13, 0, v77
	v_cndmask_b32_e64 v77, v88, v78, s13
; %bb.739:                              ;   in Loop: Header=BB6_687 Depth=4
	s_or_b32 exec_lo, exec_lo, s62
	v_and_b32_e32 v76, 0xffff0000, v76
	v_and_b32_e32 v10, 0xffff0000, v10
	s_delay_alu instid0(VALU_DEP_1) | instskip(NEXT) | instid1(VALU_DEP_1)
	v_add_f32_e32 v76, v76, v10
	v_and_b32_e32 v10, 0x7f800000, v76
	s_delay_alu instid0(VALU_DEP_1) | instskip(SKIP_1) | instid1(SALU_CYCLE_1)
	v_cmp_ne_u32_e64 s13, 0x7f800000, v10
                                        ; implicit-def: $vgpr10
	s_and_saveexec_b32 s62, s13
	s_xor_b32 s13, exec_lo, s62
; %bb.740:                              ;   in Loop: Header=BB6_687 Depth=4
	v_bfe_u32 v10, v76, 16, 1
	s_delay_alu instid0(VALU_DEP_1)
	v_add3_u32 v10, v76, v10, 0x7fff
                                        ; implicit-def: $vgpr76
; %bb.741:                              ;   in Loop: Header=BB6_687 Depth=4
	s_and_not1_saveexec_b32 s62, s13
; %bb.742:                              ;   in Loop: Header=BB6_687 Depth=4
	v_and_b32_e32 v10, 0xffff, v76
	v_or_b32_e32 v78, 0x10000, v76
	s_delay_alu instid0(VALU_DEP_2) | instskip(NEXT) | instid1(VALU_DEP_1)
	v_cmp_eq_u32_e64 s13, 0, v10
	v_cndmask_b32_e64 v10, v78, v76, s13
; %bb.743:                              ;   in Loop: Header=BB6_687 Depth=4
	s_or_b32 exec_lo, exec_lo, s62
	v_and_b32_e32 v75, 0xffff0000, v75
	v_lshlrev_b32_e32 v76, 16, v11
	s_delay_alu instid0(VALU_DEP_1) | instskip(NEXT) | instid1(VALU_DEP_1)
	v_add_f32_e32 v76, v75, v76
	v_and_b32_e32 v75, 0x7f800000, v76
	s_delay_alu instid0(VALU_DEP_1) | instskip(SKIP_1) | instid1(SALU_CYCLE_1)
	v_cmp_ne_u32_e64 s13, 0x7f800000, v75
                                        ; implicit-def: $vgpr75
	s_and_saveexec_b32 s62, s13
	s_xor_b32 s13, exec_lo, s62
; %bb.744:                              ;   in Loop: Header=BB6_687 Depth=4
	v_bfe_u32 v75, v76, 16, 1
	s_delay_alu instid0(VALU_DEP_1)
	v_add3_u32 v75, v76, v75, 0x7fff
                                        ; implicit-def: $vgpr76
; %bb.745:                              ;   in Loop: Header=BB6_687 Depth=4
	s_and_not1_saveexec_b32 s62, s13
; %bb.746:                              ;   in Loop: Header=BB6_687 Depth=4
	v_and_b32_e32 v75, 0xffff, v76
	v_or_b32_e32 v78, 0x10000, v76
	s_delay_alu instid0(VALU_DEP_2) | instskip(NEXT) | instid1(VALU_DEP_1)
	v_cmp_eq_u32_e64 s13, 0, v75
	v_cndmask_b32_e64 v75, v78, v76, s13
; %bb.747:                              ;   in Loop: Header=BB6_687 Depth=4
	s_or_b32 exec_lo, exec_lo, s62
	v_and_b32_e32 v59, 0xffff0000, v59
	v_and_b32_e32 v11, 0xffff0000, v11
	s_delay_alu instid0(VALU_DEP_1) | instskip(NEXT) | instid1(VALU_DEP_1)
	v_add_f32_e32 v59, v59, v11
	v_and_b32_e32 v11, 0x7f800000, v59
	s_delay_alu instid0(VALU_DEP_1) | instskip(SKIP_1) | instid1(SALU_CYCLE_1)
	v_cmp_ne_u32_e64 s13, 0x7f800000, v11
                                        ; implicit-def: $vgpr11
	s_and_saveexec_b32 s62, s13
	s_xor_b32 s13, exec_lo, s62
; %bb.748:                              ;   in Loop: Header=BB6_687 Depth=4
	v_bfe_u32 v11, v59, 16, 1
	s_delay_alu instid0(VALU_DEP_1)
	v_add3_u32 v11, v59, v11, 0x7fff
                                        ; implicit-def: $vgpr59
; %bb.749:                              ;   in Loop: Header=BB6_687 Depth=4
	s_and_not1_saveexec_b32 s62, s13
	s_cbranch_execz .LBB6_686
; %bb.750:                              ;   in Loop: Header=BB6_687 Depth=4
	v_and_b32_e32 v11, 0xffff, v59
	v_or_b32_e32 v76, 0x10000, v59
	s_delay_alu instid0(VALU_DEP_2) | instskip(NEXT) | instid1(VALU_DEP_1)
	v_cmp_eq_u32_e64 s13, 0, v11
	v_cndmask_b32_e64 v11, v76, v59, s13
	s_branch .LBB6_686
.LBB6_751:                              ;   in Loop: Header=BB6_472 Depth=3
	s_or_b32 exec_lo, exec_lo, s61
.LBB6_752:                              ;   in Loop: Header=BB6_472 Depth=3
	s_delay_alu instid0(SALU_CYCLE_1) | instskip(NEXT) | instid1(VALU_DEP_2)
	s_or_b32 exec_lo, exec_lo, s60
	v_cmp_lt_i32_e64 s13, 0, v47
	s_delay_alu instid0(VALU_DEP_1) | instskip(NEXT) | instid1(VALU_DEP_1)
	v_dual_cndmask_b32 v10, 0, v36, s13 :: v_dual_bitop2_b32 v8, 14, v113 bitop3:0x40
	v_dual_sub_nc_u32 v9, v46, v8 :: v_dual_cndmask_b32 v113, v46, v8, vcc_lo
	s_delay_alu instid0(VALU_DEP_1) | instskip(NEXT) | instid1(VALU_DEP_2)
	v_dual_cndmask_b32 v8, 0, v9 :: v_dual_sub_nc_u32 v9, v10, v47
	v_cmp_ne_u32_e32 vcc_lo, 0, v113
	s_delay_alu instid0(VALU_DEP_2) | instskip(NEXT) | instid1(VALU_DEP_3)
	v_add3_u32 v14, v45, v44, v8
	v_lshl_add_u32 v15, v9, 5, v115
	s_and_b32 s60, vcc_lo, exec_lo
.LBB6_753:                              ;   in Loop: Header=BB6_472 Depth=3
	s_or_b32 exec_lo, exec_lo, s41
	s_and_saveexec_b32 s13, s60
	s_cbranch_execz .LBB6_834
.LBB6_754:                              ;   in Loop: Header=BB6_472 Depth=3
	s_delay_alu instid0(VALU_DEP_1) | instskip(SKIP_1) | instid1(VALU_DEP_1)
	v_dual_ashrrev_i32 v8, 31, v15 :: v_dual_ashrrev_i32 v9, 31, v113
	s_mov_b32 s41, exec_lo
	v_dual_lshrrev_b32 v8, 27, v8 :: v_dual_lshrrev_b32 v9, 23, v9
	s_delay_alu instid0(VALU_DEP_1) | instskip(NEXT) | instid1(VALU_DEP_1)
	v_dual_add_nc_u32 v8, v15, v8 :: v_dual_add_nc_u32 v9, v113, v9
	v_dual_ashrrev_i32 v115, 5, v8 :: v_dual_ashrrev_i32 v43, 9, v9
	s_delay_alu instid0(VALU_DEP_1) | instskip(NEXT) | instid1(VALU_DEP_1)
	v_sub_nc_u32_e32 v42, v43, v115
	v_cmpx_lt_i32_e32 0, v42
	s_cbranch_execz .LBB6_822
; %bb.755:                              ;   in Loop: Header=BB6_472 Depth=3
	v_and_b32_e32 v8, 0x7fffffe0, v8
	s_trap 2
	ds_load_b64 v[10:11], v0
	ds_load_b32 v46, v0
	v_add_nc_u64_e32 v[44:45], 0x1c0, v[40:41]
	v_dual_sub_nc_u32 v8, v15, v8 :: v_dual_lshlrev_b32 v9, 9, v115
	s_mov_b32 s60, 0
	s_delay_alu instid0(VALU_DEP_1) | instskip(NEXT) | instid1(VALU_DEP_1)
	v_lshlrev_b32_e32 v8, 1, v8
	v_add3_u32 v12, v8, v14, v9
	s_delay_alu instid0(VALU_DEP_1) | instskip(NEXT) | instid1(VALU_DEP_1)
	v_ashrrev_i32_e32 v13, 31, v12
	v_add_nc_u64_e32 v[8:9], v[12:13], v[118:119]
	s_wait_dscnt 0x1
	v_add_nc_u64_e32 v[10:11], v[10:11], v[12:13]
	v_add_nc_u64_e32 v[12:13], v[44:45], v[12:13]
	s_wait_dscnt 0x0
	v_lshlrev_b32_e32 v44, 16, v46
	s_branch .LBB6_757
.LBB6_756:                              ;   in Loop: Header=BB6_757 Depth=4
	s_or_b32 exec_lo, exec_lo, s61
	v_sub_nc_u32_e32 v42, v42, v36
	s_clause 0x7
	flat_store_d16_hi_b16 v[12:13], v45 offset:-448 th:TH_STORE_NT
	flat_store_d16_hi_b16 v[12:13], v46 offset:-384 th:TH_STORE_NT
	;; [unrolled: 1-line block ×7, first 2 shown]
	flat_store_d16_hi_b16 v[12:13], v75 th:TH_STORE_NT
	v_add_nc_u64_e32 v[8:9], v[8:9], v[54:55]
	v_add_nc_u64_e32 v[10:11], v[10:11], v[54:55]
	s_wait_xcnt 0x0
	v_add_nc_u64_e32 v[12:13], v[12:13], v[54:55]
	v_cmp_gt_i32_e32 vcc_lo, 1, v42
	s_or_b32 s60, vcc_lo, s60
	s_delay_alu instid0(SALU_CYCLE_1)
	s_and_not1_b32 exec_lo, exec_lo, s60
	s_cbranch_execz .LBB6_821
.LBB6_757:                              ;   Parent Loop BB6_47 Depth=1
                                        ;     Parent Loop BB6_469 Depth=2
                                        ;       Parent Loop BB6_472 Depth=3
                                        ; =>      This Inner Loop Header: Depth=4
	flat_load_u16 v45, v[8:9] th:TH_LOAD_NT
	s_wait_loadcnt_dscnt 0x0
	v_lshlrev_b32_e32 v45, 16, v45
	s_delay_alu instid0(VALU_DEP_1) | instskip(NEXT) | instid1(VALU_DEP_1)
	v_mul_f32_e32 v46, v44, v45
	v_and_b32_e32 v45, 0x7f800000, v46
	s_delay_alu instid0(VALU_DEP_1) | instskip(SKIP_2) | instid1(SALU_CYCLE_1)
	v_cmp_ne_u32_e32 vcc_lo, 0x7f800000, v45
                                        ; implicit-def: $vgpr45
	s_wait_xcnt 0x0
	s_and_saveexec_b32 s61, vcc_lo
	s_xor_b32 s61, exec_lo, s61
; %bb.758:                              ;   in Loop: Header=BB6_757 Depth=4
	v_bfe_u32 v45, v46, 16, 1
	s_delay_alu instid0(VALU_DEP_1)
	v_add3_u32 v45, v46, v45, 0x7fff
                                        ; implicit-def: $vgpr46
; %bb.759:                              ;   in Loop: Header=BB6_757 Depth=4
	s_and_not1_saveexec_b32 s61, s61
; %bb.760:                              ;   in Loop: Header=BB6_757 Depth=4
	v_and_b32_e32 v45, 0xffff, v46
	v_or_b32_e32 v47, 0x10000, v46
	s_delay_alu instid0(VALU_DEP_2) | instskip(NEXT) | instid1(VALU_DEP_2)
	v_cmp_eq_u32_e32 vcc_lo, 0, v45
	v_cndmask_b32_e32 v45, v47, v46, vcc_lo
; %bb.761:                              ;   in Loop: Header=BB6_757 Depth=4
	s_or_b32 exec_lo, exec_lo, s61
	flat_load_u16 v46, v[8:9] offset:64 th:TH_LOAD_NT
	s_wait_loadcnt_dscnt 0x0
	v_lshlrev_b32_e32 v46, 16, v46
	s_delay_alu instid0(VALU_DEP_1) | instskip(NEXT) | instid1(VALU_DEP_1)
	v_mul_f32_e32 v47, v44, v46
	v_and_b32_e32 v46, 0x7f800000, v47
	s_delay_alu instid0(VALU_DEP_1) | instskip(SKIP_2) | instid1(SALU_CYCLE_1)
	v_cmp_ne_u32_e32 vcc_lo, 0x7f800000, v46
                                        ; implicit-def: $vgpr46
	s_wait_xcnt 0x0
	s_and_saveexec_b32 s61, vcc_lo
	s_xor_b32 s61, exec_lo, s61
; %bb.762:                              ;   in Loop: Header=BB6_757 Depth=4
	v_bfe_u32 v46, v47, 16, 1
	s_delay_alu instid0(VALU_DEP_1)
	v_add3_u32 v46, v47, v46, 0x7fff
                                        ; implicit-def: $vgpr47
; %bb.763:                              ;   in Loop: Header=BB6_757 Depth=4
	s_and_not1_saveexec_b32 s61, s61
; %bb.764:                              ;   in Loop: Header=BB6_757 Depth=4
	v_and_b32_e32 v46, 0xffff, v47
	v_or_b32_e32 v57, 0x10000, v47
	s_delay_alu instid0(VALU_DEP_2) | instskip(NEXT) | instid1(VALU_DEP_2)
	v_cmp_eq_u32_e32 vcc_lo, 0, v46
	v_cndmask_b32_e32 v46, v57, v47, vcc_lo
; %bb.765:                              ;   in Loop: Header=BB6_757 Depth=4
	s_or_b32 exec_lo, exec_lo, s61
	flat_load_u16 v47, v[8:9] offset:128 th:TH_LOAD_NT
	s_wait_loadcnt_dscnt 0x0
	v_lshlrev_b32_e32 v47, 16, v47
	s_delay_alu instid0(VALU_DEP_1) | instskip(NEXT) | instid1(VALU_DEP_1)
	v_mul_f32_e32 v57, v44, v47
	v_and_b32_e32 v47, 0x7f800000, v57
	s_delay_alu instid0(VALU_DEP_1) | instskip(SKIP_2) | instid1(SALU_CYCLE_1)
	v_cmp_ne_u32_e32 vcc_lo, 0x7f800000, v47
                                        ; implicit-def: $vgpr47
	s_wait_xcnt 0x0
	s_and_saveexec_b32 s61, vcc_lo
	s_xor_b32 s61, exec_lo, s61
; %bb.766:                              ;   in Loop: Header=BB6_757 Depth=4
	v_bfe_u32 v47, v57, 16, 1
	s_delay_alu instid0(VALU_DEP_1)
	v_add3_u32 v47, v57, v47, 0x7fff
                                        ; implicit-def: $vgpr57
; %bb.767:                              ;   in Loop: Header=BB6_757 Depth=4
	s_and_not1_saveexec_b32 s61, s61
; %bb.768:                              ;   in Loop: Header=BB6_757 Depth=4
	v_and_b32_e32 v47, 0xffff, v57
	v_or_b32_e32 v58, 0x10000, v57
	s_delay_alu instid0(VALU_DEP_2) | instskip(NEXT) | instid1(VALU_DEP_2)
	v_cmp_eq_u32_e32 vcc_lo, 0, v47
	v_cndmask_b32_e32 v47, v58, v57, vcc_lo
; %bb.769:                              ;   in Loop: Header=BB6_757 Depth=4
	s_or_b32 exec_lo, exec_lo, s61
	flat_load_u16 v57, v[8:9] offset:192 th:TH_LOAD_NT
	s_wait_loadcnt_dscnt 0x0
	v_lshlrev_b32_e32 v57, 16, v57
	s_delay_alu instid0(VALU_DEP_1) | instskip(NEXT) | instid1(VALU_DEP_1)
	v_mul_f32_e32 v58, v44, v57
	v_and_b32_e32 v57, 0x7f800000, v58
	s_delay_alu instid0(VALU_DEP_1) | instskip(SKIP_2) | instid1(SALU_CYCLE_1)
	v_cmp_ne_u32_e32 vcc_lo, 0x7f800000, v57
                                        ; implicit-def: $vgpr57
	s_wait_xcnt 0x0
	s_and_saveexec_b32 s61, vcc_lo
	s_xor_b32 s61, exec_lo, s61
; %bb.770:                              ;   in Loop: Header=BB6_757 Depth=4
	v_bfe_u32 v57, v58, 16, 1
	s_delay_alu instid0(VALU_DEP_1)
	v_add3_u32 v57, v58, v57, 0x7fff
                                        ; implicit-def: $vgpr58
; %bb.771:                              ;   in Loop: Header=BB6_757 Depth=4
	s_and_not1_saveexec_b32 s61, s61
; %bb.772:                              ;   in Loop: Header=BB6_757 Depth=4
	v_and_b32_e32 v57, 0xffff, v58
	v_or_b32_e32 v59, 0x10000, v58
	s_delay_alu instid0(VALU_DEP_2) | instskip(NEXT) | instid1(VALU_DEP_2)
	v_cmp_eq_u32_e32 vcc_lo, 0, v57
	v_cndmask_b32_e32 v57, v59, v58, vcc_lo
; %bb.773:                              ;   in Loop: Header=BB6_757 Depth=4
	s_or_b32 exec_lo, exec_lo, s61
	flat_load_u16 v58, v[8:9] offset:256 th:TH_LOAD_NT
	s_wait_loadcnt_dscnt 0x0
	v_lshlrev_b32_e32 v58, 16, v58
	s_delay_alu instid0(VALU_DEP_1) | instskip(NEXT) | instid1(VALU_DEP_1)
	v_mul_f32_e32 v59, v44, v58
	v_and_b32_e32 v58, 0x7f800000, v59
	s_delay_alu instid0(VALU_DEP_1) | instskip(SKIP_2) | instid1(SALU_CYCLE_1)
	v_cmp_ne_u32_e32 vcc_lo, 0x7f800000, v58
                                        ; implicit-def: $vgpr58
	s_wait_xcnt 0x0
	s_and_saveexec_b32 s61, vcc_lo
	s_xor_b32 s61, exec_lo, s61
; %bb.774:                              ;   in Loop: Header=BB6_757 Depth=4
	v_bfe_u32 v58, v59, 16, 1
	s_delay_alu instid0(VALU_DEP_1)
	v_add3_u32 v58, v59, v58, 0x7fff
                                        ; implicit-def: $vgpr59
; %bb.775:                              ;   in Loop: Header=BB6_757 Depth=4
	s_and_not1_saveexec_b32 s61, s61
; %bb.776:                              ;   in Loop: Header=BB6_757 Depth=4
	v_and_b32_e32 v58, 0xffff, v59
	v_or_b32_e32 v74, 0x10000, v59
	s_delay_alu instid0(VALU_DEP_2) | instskip(NEXT) | instid1(VALU_DEP_2)
	v_cmp_eq_u32_e32 vcc_lo, 0, v58
	v_cndmask_b32_e32 v58, v74, v59, vcc_lo
; %bb.777:                              ;   in Loop: Header=BB6_757 Depth=4
	s_or_b32 exec_lo, exec_lo, s61
	flat_load_u16 v59, v[8:9] offset:320 th:TH_LOAD_NT
	s_wait_loadcnt_dscnt 0x0
	v_lshlrev_b32_e32 v59, 16, v59
	s_delay_alu instid0(VALU_DEP_1) | instskip(NEXT) | instid1(VALU_DEP_1)
	v_mul_f32_e32 v74, v44, v59
	v_and_b32_e32 v59, 0x7f800000, v74
	s_delay_alu instid0(VALU_DEP_1) | instskip(SKIP_2) | instid1(SALU_CYCLE_1)
	v_cmp_ne_u32_e32 vcc_lo, 0x7f800000, v59
                                        ; implicit-def: $vgpr59
	s_wait_xcnt 0x0
	s_and_saveexec_b32 s61, vcc_lo
	s_xor_b32 s61, exec_lo, s61
; %bb.778:                              ;   in Loop: Header=BB6_757 Depth=4
	v_bfe_u32 v59, v74, 16, 1
	s_delay_alu instid0(VALU_DEP_1)
	v_add3_u32 v59, v74, v59, 0x7fff
                                        ; implicit-def: $vgpr74
; %bb.779:                              ;   in Loop: Header=BB6_757 Depth=4
	s_and_not1_saveexec_b32 s61, s61
; %bb.780:                              ;   in Loop: Header=BB6_757 Depth=4
	v_and_b32_e32 v59, 0xffff, v74
	v_or_b32_e32 v75, 0x10000, v74
	s_delay_alu instid0(VALU_DEP_2) | instskip(NEXT) | instid1(VALU_DEP_2)
	v_cmp_eq_u32_e32 vcc_lo, 0, v59
	v_cndmask_b32_e32 v59, v75, v74, vcc_lo
; %bb.781:                              ;   in Loop: Header=BB6_757 Depth=4
	s_or_b32 exec_lo, exec_lo, s61
	flat_load_u16 v74, v[8:9] offset:384 th:TH_LOAD_NT
	s_wait_loadcnt_dscnt 0x0
	v_lshlrev_b32_e32 v74, 16, v74
	s_delay_alu instid0(VALU_DEP_1) | instskip(NEXT) | instid1(VALU_DEP_1)
	v_mul_f32_e32 v75, v44, v74
	v_and_b32_e32 v74, 0x7f800000, v75
	s_delay_alu instid0(VALU_DEP_1) | instskip(SKIP_2) | instid1(SALU_CYCLE_1)
	v_cmp_ne_u32_e32 vcc_lo, 0x7f800000, v74
                                        ; implicit-def: $vgpr74
	s_wait_xcnt 0x0
	s_and_saveexec_b32 s61, vcc_lo
	s_xor_b32 s61, exec_lo, s61
; %bb.782:                              ;   in Loop: Header=BB6_757 Depth=4
	v_bfe_u32 v74, v75, 16, 1
	s_delay_alu instid0(VALU_DEP_1)
	v_add3_u32 v74, v75, v74, 0x7fff
                                        ; implicit-def: $vgpr75
; %bb.783:                              ;   in Loop: Header=BB6_757 Depth=4
	s_and_not1_saveexec_b32 s61, s61
; %bb.784:                              ;   in Loop: Header=BB6_757 Depth=4
	v_and_b32_e32 v74, 0xffff, v75
	v_or_b32_e32 v76, 0x10000, v75
	s_delay_alu instid0(VALU_DEP_2) | instskip(NEXT) | instid1(VALU_DEP_2)
	v_cmp_eq_u32_e32 vcc_lo, 0, v74
	v_cndmask_b32_e32 v74, v76, v75, vcc_lo
; %bb.785:                              ;   in Loop: Header=BB6_757 Depth=4
	s_or_b32 exec_lo, exec_lo, s61
	flat_load_u16 v75, v[8:9] offset:448 th:TH_LOAD_NT
	s_wait_loadcnt_dscnt 0x0
	v_lshlrev_b32_e32 v75, 16, v75
	s_delay_alu instid0(VALU_DEP_1) | instskip(NEXT) | instid1(VALU_DEP_1)
	v_mul_f32_e32 v76, v44, v75
	v_and_b32_e32 v75, 0x7f800000, v76
	s_delay_alu instid0(VALU_DEP_1) | instskip(SKIP_2) | instid1(SALU_CYCLE_1)
	v_cmp_ne_u32_e32 vcc_lo, 0x7f800000, v75
                                        ; implicit-def: $vgpr75
	s_wait_xcnt 0x0
	s_and_saveexec_b32 s61, vcc_lo
	s_xor_b32 s61, exec_lo, s61
; %bb.786:                              ;   in Loop: Header=BB6_757 Depth=4
	v_bfe_u32 v75, v76, 16, 1
	s_delay_alu instid0(VALU_DEP_1)
	v_add3_u32 v75, v76, v75, 0x7fff
                                        ; implicit-def: $vgpr76
; %bb.787:                              ;   in Loop: Header=BB6_757 Depth=4
	s_and_not1_saveexec_b32 s61, s61
; %bb.788:                              ;   in Loop: Header=BB6_757 Depth=4
	v_and_b32_e32 v75, 0xffff, v76
	v_or_b32_e32 v77, 0x10000, v76
	s_delay_alu instid0(VALU_DEP_2) | instskip(NEXT) | instid1(VALU_DEP_2)
	v_cmp_eq_u32_e32 vcc_lo, 0, v75
	v_cndmask_b32_e32 v75, v77, v76, vcc_lo
; %bb.789:                              ;   in Loop: Header=BB6_757 Depth=4
	s_or_b32 exec_lo, exec_lo, s61
	s_clause 0x7
	flat_load_u16 v89, v[10:11] offset:128 th:TH_LOAD_NT
	flat_load_u16 v88, v[10:11] offset:192 th:TH_LOAD_NT
	;; [unrolled: 1-line block ×6, first 2 shown]
	flat_load_u16 v91, v[10:11] th:TH_LOAD_NT
	flat_load_u16 v90, v[10:11] offset:64 th:TH_LOAD_NT
	v_and_b32_e32 v45, 0xffff0000, v45
	s_wait_loadcnt_dscnt 0x101
	v_lshlrev_b32_e32 v91, 16, v91
	s_delay_alu instid0(VALU_DEP_1) | instskip(NEXT) | instid1(VALU_DEP_1)
	v_add_f32_e32 v91, v45, v91
	v_and_b32_e32 v45, 0x7f800000, v91
	s_delay_alu instid0(VALU_DEP_1) | instskip(SKIP_2) | instid1(SALU_CYCLE_1)
	v_cmp_ne_u32_e32 vcc_lo, 0x7f800000, v45
                                        ; implicit-def: $vgpr45
	s_wait_xcnt 0x0
	s_and_saveexec_b32 s61, vcc_lo
	s_xor_b32 s61, exec_lo, s61
; %bb.790:                              ;   in Loop: Header=BB6_757 Depth=4
	v_bfe_u32 v45, v91, 16, 1
	s_delay_alu instid0(VALU_DEP_1)
	v_add3_u32 v45, v91, v45, 0x7fff
                                        ; implicit-def: $vgpr91
; %bb.791:                              ;   in Loop: Header=BB6_757 Depth=4
	s_and_not1_saveexec_b32 s61, s61
; %bb.792:                              ;   in Loop: Header=BB6_757 Depth=4
	v_and_b32_e32 v45, 0xffff, v91
	v_or_b32_e32 v92, 0x10000, v91
	s_delay_alu instid0(VALU_DEP_2) | instskip(NEXT) | instid1(VALU_DEP_2)
	v_cmp_eq_u32_e32 vcc_lo, 0, v45
	v_cndmask_b32_e32 v45, v92, v91, vcc_lo
; %bb.793:                              ;   in Loop: Header=BB6_757 Depth=4
	s_or_b32 exec_lo, exec_lo, s61
	v_and_b32_e32 v46, 0xffff0000, v46
	s_wait_loadcnt_dscnt 0x0
	v_lshlrev_b32_e32 v90, 16, v90
	s_delay_alu instid0(VALU_DEP_1) | instskip(NEXT) | instid1(VALU_DEP_1)
	v_add_f32_e32 v90, v46, v90
	v_and_b32_e32 v46, 0x7f800000, v90
	s_delay_alu instid0(VALU_DEP_1) | instskip(SKIP_1) | instid1(SALU_CYCLE_1)
	v_cmp_ne_u32_e32 vcc_lo, 0x7f800000, v46
                                        ; implicit-def: $vgpr46
	s_and_saveexec_b32 s61, vcc_lo
	s_xor_b32 s61, exec_lo, s61
; %bb.794:                              ;   in Loop: Header=BB6_757 Depth=4
	v_bfe_u32 v46, v90, 16, 1
	s_delay_alu instid0(VALU_DEP_1)
	v_add3_u32 v46, v90, v46, 0x7fff
                                        ; implicit-def: $vgpr90
; %bb.795:                              ;   in Loop: Header=BB6_757 Depth=4
	s_and_not1_saveexec_b32 s61, s61
; %bb.796:                              ;   in Loop: Header=BB6_757 Depth=4
	v_and_b32_e32 v46, 0xffff, v90
	v_or_b32_e32 v91, 0x10000, v90
	s_delay_alu instid0(VALU_DEP_2) | instskip(NEXT) | instid1(VALU_DEP_2)
	v_cmp_eq_u32_e32 vcc_lo, 0, v46
	v_cndmask_b32_e32 v46, v91, v90, vcc_lo
; %bb.797:                              ;   in Loop: Header=BB6_757 Depth=4
	s_or_b32 exec_lo, exec_lo, s61
	v_and_b32_e32 v47, 0xffff0000, v47
	v_lshlrev_b32_e32 v89, 16, v89
	s_delay_alu instid0(VALU_DEP_1) | instskip(NEXT) | instid1(VALU_DEP_1)
	v_add_f32_e32 v89, v47, v89
	v_and_b32_e32 v47, 0x7f800000, v89
	s_delay_alu instid0(VALU_DEP_1) | instskip(SKIP_1) | instid1(SALU_CYCLE_1)
	v_cmp_ne_u32_e32 vcc_lo, 0x7f800000, v47
                                        ; implicit-def: $vgpr47
	s_and_saveexec_b32 s61, vcc_lo
	s_xor_b32 s61, exec_lo, s61
; %bb.798:                              ;   in Loop: Header=BB6_757 Depth=4
	v_bfe_u32 v47, v89, 16, 1
	s_delay_alu instid0(VALU_DEP_1)
	v_add3_u32 v47, v89, v47, 0x7fff
                                        ; implicit-def: $vgpr89
; %bb.799:                              ;   in Loop: Header=BB6_757 Depth=4
	s_and_not1_saveexec_b32 s61, s61
; %bb.800:                              ;   in Loop: Header=BB6_757 Depth=4
	v_and_b32_e32 v47, 0xffff, v89
	v_or_b32_e32 v90, 0x10000, v89
	s_delay_alu instid0(VALU_DEP_2) | instskip(NEXT) | instid1(VALU_DEP_2)
	v_cmp_eq_u32_e32 vcc_lo, 0, v47
	v_cndmask_b32_e32 v47, v90, v89, vcc_lo
; %bb.801:                              ;   in Loop: Header=BB6_757 Depth=4
	s_or_b32 exec_lo, exec_lo, s61
	v_and_b32_e32 v57, 0xffff0000, v57
	v_lshlrev_b32_e32 v88, 16, v88
	s_delay_alu instid0(VALU_DEP_1) | instskip(NEXT) | instid1(VALU_DEP_1)
	v_add_f32_e32 v88, v57, v88
	v_and_b32_e32 v57, 0x7f800000, v88
	s_delay_alu instid0(VALU_DEP_1) | instskip(SKIP_1) | instid1(SALU_CYCLE_1)
	v_cmp_ne_u32_e32 vcc_lo, 0x7f800000, v57
                                        ; implicit-def: $vgpr57
	s_and_saveexec_b32 s61, vcc_lo
	s_xor_b32 s61, exec_lo, s61
; %bb.802:                              ;   in Loop: Header=BB6_757 Depth=4
	v_bfe_u32 v57, v88, 16, 1
	s_delay_alu instid0(VALU_DEP_1)
	v_add3_u32 v57, v88, v57, 0x7fff
                                        ; implicit-def: $vgpr88
; %bb.803:                              ;   in Loop: Header=BB6_757 Depth=4
	s_and_not1_saveexec_b32 s61, s61
; %bb.804:                              ;   in Loop: Header=BB6_757 Depth=4
	v_and_b32_e32 v57, 0xffff, v88
	v_or_b32_e32 v89, 0x10000, v88
	s_delay_alu instid0(VALU_DEP_2) | instskip(NEXT) | instid1(VALU_DEP_2)
	v_cmp_eq_u32_e32 vcc_lo, 0, v57
	v_cndmask_b32_e32 v57, v89, v88, vcc_lo
; %bb.805:                              ;   in Loop: Header=BB6_757 Depth=4
	s_or_b32 exec_lo, exec_lo, s61
	v_and_b32_e32 v58, 0xffff0000, v58
	v_lshlrev_b32_e32 v79, 16, v79
	s_delay_alu instid0(VALU_DEP_1) | instskip(NEXT) | instid1(VALU_DEP_1)
	v_add_f32_e32 v79, v58, v79
	v_and_b32_e32 v58, 0x7f800000, v79
	s_delay_alu instid0(VALU_DEP_1) | instskip(SKIP_1) | instid1(SALU_CYCLE_1)
	v_cmp_ne_u32_e32 vcc_lo, 0x7f800000, v58
                                        ; implicit-def: $vgpr58
	s_and_saveexec_b32 s61, vcc_lo
	s_xor_b32 s61, exec_lo, s61
; %bb.806:                              ;   in Loop: Header=BB6_757 Depth=4
	v_bfe_u32 v58, v79, 16, 1
	s_delay_alu instid0(VALU_DEP_1)
	v_add3_u32 v58, v79, v58, 0x7fff
                                        ; implicit-def: $vgpr79
; %bb.807:                              ;   in Loop: Header=BB6_757 Depth=4
	s_and_not1_saveexec_b32 s61, s61
; %bb.808:                              ;   in Loop: Header=BB6_757 Depth=4
	v_and_b32_e32 v58, 0xffff, v79
	v_or_b32_e32 v88, 0x10000, v79
	s_delay_alu instid0(VALU_DEP_2) | instskip(NEXT) | instid1(VALU_DEP_2)
	v_cmp_eq_u32_e32 vcc_lo, 0, v58
	v_cndmask_b32_e32 v58, v88, v79, vcc_lo
; %bb.809:                              ;   in Loop: Header=BB6_757 Depth=4
	s_or_b32 exec_lo, exec_lo, s61
	v_and_b32_e32 v59, 0xffff0000, v59
	v_lshlrev_b32_e32 v78, 16, v78
	s_delay_alu instid0(VALU_DEP_1) | instskip(NEXT) | instid1(VALU_DEP_1)
	v_add_f32_e32 v78, v59, v78
	v_and_b32_e32 v59, 0x7f800000, v78
	s_delay_alu instid0(VALU_DEP_1) | instskip(SKIP_1) | instid1(SALU_CYCLE_1)
	v_cmp_ne_u32_e32 vcc_lo, 0x7f800000, v59
                                        ; implicit-def: $vgpr59
	s_and_saveexec_b32 s61, vcc_lo
	s_xor_b32 s61, exec_lo, s61
; %bb.810:                              ;   in Loop: Header=BB6_757 Depth=4
	v_bfe_u32 v59, v78, 16, 1
	s_delay_alu instid0(VALU_DEP_1)
	v_add3_u32 v59, v78, v59, 0x7fff
                                        ; implicit-def: $vgpr78
; %bb.811:                              ;   in Loop: Header=BB6_757 Depth=4
	s_and_not1_saveexec_b32 s61, s61
; %bb.812:                              ;   in Loop: Header=BB6_757 Depth=4
	v_and_b32_e32 v59, 0xffff, v78
	v_or_b32_e32 v79, 0x10000, v78
	s_delay_alu instid0(VALU_DEP_2) | instskip(NEXT) | instid1(VALU_DEP_2)
	v_cmp_eq_u32_e32 vcc_lo, 0, v59
	v_cndmask_b32_e32 v59, v79, v78, vcc_lo
; %bb.813:                              ;   in Loop: Header=BB6_757 Depth=4
	s_or_b32 exec_lo, exec_lo, s61
	v_and_b32_e32 v74, 0xffff0000, v74
	v_lshlrev_b32_e32 v77, 16, v77
	s_delay_alu instid0(VALU_DEP_1) | instskip(NEXT) | instid1(VALU_DEP_1)
	v_add_f32_e32 v77, v74, v77
	v_and_b32_e32 v74, 0x7f800000, v77
	s_delay_alu instid0(VALU_DEP_1) | instskip(SKIP_1) | instid1(SALU_CYCLE_1)
	v_cmp_ne_u32_e32 vcc_lo, 0x7f800000, v74
                                        ; implicit-def: $vgpr74
	s_and_saveexec_b32 s61, vcc_lo
	s_xor_b32 s61, exec_lo, s61
; %bb.814:                              ;   in Loop: Header=BB6_757 Depth=4
	v_bfe_u32 v74, v77, 16, 1
	s_delay_alu instid0(VALU_DEP_1)
	v_add3_u32 v74, v77, v74, 0x7fff
                                        ; implicit-def: $vgpr77
; %bb.815:                              ;   in Loop: Header=BB6_757 Depth=4
	s_and_not1_saveexec_b32 s61, s61
; %bb.816:                              ;   in Loop: Header=BB6_757 Depth=4
	v_and_b32_e32 v74, 0xffff, v77
	v_or_b32_e32 v78, 0x10000, v77
	s_delay_alu instid0(VALU_DEP_2) | instskip(NEXT) | instid1(VALU_DEP_2)
	v_cmp_eq_u32_e32 vcc_lo, 0, v74
	v_cndmask_b32_e32 v74, v78, v77, vcc_lo
; %bb.817:                              ;   in Loop: Header=BB6_757 Depth=4
	s_or_b32 exec_lo, exec_lo, s61
	v_and_b32_e32 v75, 0xffff0000, v75
	v_lshlrev_b32_e32 v76, 16, v76
	s_delay_alu instid0(VALU_DEP_1) | instskip(NEXT) | instid1(VALU_DEP_1)
	v_add_f32_e32 v76, v75, v76
	v_and_b32_e32 v75, 0x7f800000, v76
	s_delay_alu instid0(VALU_DEP_1) | instskip(SKIP_1) | instid1(SALU_CYCLE_1)
	v_cmp_ne_u32_e32 vcc_lo, 0x7f800000, v75
                                        ; implicit-def: $vgpr75
	s_and_saveexec_b32 s61, vcc_lo
	s_xor_b32 s61, exec_lo, s61
; %bb.818:                              ;   in Loop: Header=BB6_757 Depth=4
	v_bfe_u32 v75, v76, 16, 1
	s_delay_alu instid0(VALU_DEP_1)
	v_add3_u32 v75, v76, v75, 0x7fff
                                        ; implicit-def: $vgpr76
; %bb.819:                              ;   in Loop: Header=BB6_757 Depth=4
	s_and_not1_saveexec_b32 s61, s61
	s_cbranch_execz .LBB6_756
; %bb.820:                              ;   in Loop: Header=BB6_757 Depth=4
	v_and_b32_e32 v75, 0xffff, v76
	v_or_b32_e32 v77, 0x10000, v76
	s_delay_alu instid0(VALU_DEP_2) | instskip(NEXT) | instid1(VALU_DEP_2)
	v_cmp_eq_u32_e32 vcc_lo, 0, v75
	v_cndmask_b32_e32 v75, v77, v76, vcc_lo
	s_branch .LBB6_756
.LBB6_821:                              ;   in Loop: Header=BB6_472 Depth=3
	s_or_b32 exec_lo, exec_lo, s60
.LBB6_822:                              ;   in Loop: Header=BB6_472 Depth=3
	s_delay_alu instid0(SALU_CYCLE_1) | instskip(SKIP_1) | instid1(VALU_DEP_1)
	s_or_b32 exec_lo, exec_lo, s41
	v_lshlrev_b32_e32 v8, 9, v43
	v_cmp_ne_u32_e32 vcc_lo, v113, v8
	s_and_b32 exec_lo, exec_lo, vcc_lo
	s_cbranch_execz .LBB6_834
; %bb.823:                              ;   in Loop: Header=BB6_472 Depth=3
	v_dual_lshlrev_b32 v9, 5, v115 :: v_dual_lshlrev_b32 v10, 5, v42
	s_delay_alu instid0(VALU_DEP_1) | instskip(NEXT) | instid1(VALU_DEP_1)
	v_sub_nc_u32_e32 v9, v15, v9
	v_sub_nc_u32_e32 v9, v9, v10
	s_delay_alu instid0(VALU_DEP_1) | instskip(NEXT) | instid1(VALU_DEP_1)
	v_ashrrev_i32_e32 v10, 31, v9
	v_lshrrev_b32_e32 v10, 27, v10
	s_delay_alu instid0(VALU_DEP_1) | instskip(NEXT) | instid1(VALU_DEP_1)
	v_add_nc_u32_e32 v10, v9, v10
	v_and_b32_e32 v11, 0x7fffffe0, v10
	s_delay_alu instid0(VALU_DEP_1) | instskip(NEXT) | instid1(VALU_DEP_1)
	v_dual_lshlrev_b32 v10, 1, v10 :: v_dual_sub_nc_u32 v9, v9, v11
	v_and_b32_e32 v10, 0xffffffc0, v10
	s_delay_alu instid0(VALU_DEP_2) | instskip(NEXT) | instid1(VALU_DEP_1)
	v_lshlrev_b32_e32 v9, 1, v9
	v_add3_u32 v8, v10, v9, v8
	s_delay_alu instid0(VALU_DEP_1) | instskip(NEXT) | instid1(VALU_DEP_1)
	v_sub_nc_u32_e32 v15, v113, v8
	v_cmp_lt_i32_e32 vcc_lo, 1, v15
	s_and_b32 exec_lo, exec_lo, vcc_lo
	s_cbranch_execz .LBB6_834
; %bb.824:                              ;   in Loop: Header=BB6_472 Depth=3
	s_trap 2
	ds_load_b64 v[10:11], v0
	ds_load_b32 v113, v0
	v_add_nc_u32_e32 v12, v8, v14
	s_mov_b32 s41, 0
	s_wait_dscnt 0x0
	s_delay_alu instid0(VALU_DEP_1) | instskip(NEXT) | instid1(VALU_DEP_1)
	v_dual_lshlrev_b32 v14, 16, v113 :: v_dual_ashrrev_i32 v13, 31, v12
	v_add_nc_u64_e32 v[8:9], v[12:13], v[118:119]
	v_add_nc_u64_e32 v[10:11], v[10:11], v[12:13]
	;; [unrolled: 1-line block ×3, first 2 shown]
	s_branch .LBB6_826
.LBB6_825:                              ;   in Loop: Header=BB6_826 Depth=4
	s_or_b32 exec_lo, exec_lo, s60
	v_sub_nc_u32_e32 v15, v15, v64
	flat_store_d16_hi_b16 v[12:13], v113 th:TH_STORE_NT
	v_add_nc_u64_e32 v[8:9], v[8:9], v[64:65]
	v_add_nc_u64_e32 v[10:11], v[10:11], v[64:65]
	s_wait_xcnt 0x0
	v_add_nc_u64_e32 v[12:13], v[12:13], v[64:65]
	v_cmp_gt_i32_e32 vcc_lo, 2, v15
	s_or_b32 s41, vcc_lo, s41
	s_delay_alu instid0(SALU_CYCLE_1)
	s_and_not1_b32 exec_lo, exec_lo, s41
	s_cbranch_execz .LBB6_834
.LBB6_826:                              ;   Parent Loop BB6_47 Depth=1
                                        ;     Parent Loop BB6_469 Depth=2
                                        ;       Parent Loop BB6_472 Depth=3
                                        ; =>      This Inner Loop Header: Depth=4
	flat_load_u16 v113, v[8:9] th:TH_LOAD_NT
	s_wait_loadcnt_dscnt 0x0
	v_lshlrev_b32_e32 v113, 16, v113
	s_delay_alu instid0(VALU_DEP_1) | instskip(NEXT) | instid1(VALU_DEP_1)
	v_mul_f32_e32 v113, v14, v113
	v_and_b32_e32 v115, 0x7f800000, v113
	s_delay_alu instid0(VALU_DEP_1) | instskip(SKIP_2) | instid1(SALU_CYCLE_1)
	v_cmp_ne_u32_e32 vcc_lo, 0x7f800000, v115
                                        ; implicit-def: $vgpr115
	s_wait_xcnt 0x0
	s_and_saveexec_b32 s60, vcc_lo
	s_xor_b32 s60, exec_lo, s60
; %bb.827:                              ;   in Loop: Header=BB6_826 Depth=4
	v_bfe_u32 v115, v113, 16, 1
	s_delay_alu instid0(VALU_DEP_1)
	v_add3_u32 v115, v113, v115, 0x7fff
                                        ; implicit-def: $vgpr113
; %bb.828:                              ;   in Loop: Header=BB6_826 Depth=4
	s_and_not1_saveexec_b32 s60, s60
; %bb.829:                              ;   in Loop: Header=BB6_826 Depth=4
	v_and_b32_e32 v115, 0xffff, v113
	v_or_b32_e32 v118, 0x10000, v113
	s_delay_alu instid0(VALU_DEP_2) | instskip(NEXT) | instid1(VALU_DEP_2)
	v_cmp_eq_u32_e32 vcc_lo, 0, v115
	v_cndmask_b32_e32 v115, v118, v113, vcc_lo
; %bb.830:                              ;   in Loop: Header=BB6_826 Depth=4
	s_or_b32 exec_lo, exec_lo, s60
	flat_load_u16 v113, v[10:11] th:TH_LOAD_NT
	v_and_b32_e32 v115, 0xffff0000, v115
	s_wait_loadcnt_dscnt 0x0
	v_lshlrev_b32_e32 v113, 16, v113
	s_delay_alu instid0(VALU_DEP_1) | instskip(NEXT) | instid1(VALU_DEP_1)
	v_add_f32_e32 v115, v115, v113
	v_and_b32_e32 v113, 0x7f800000, v115
	s_delay_alu instid0(VALU_DEP_1) | instskip(SKIP_2) | instid1(SALU_CYCLE_1)
	v_cmp_ne_u32_e32 vcc_lo, 0x7f800000, v113
                                        ; implicit-def: $vgpr113
	s_wait_xcnt 0x0
	s_and_saveexec_b32 s60, vcc_lo
	s_xor_b32 s60, exec_lo, s60
; %bb.831:                              ;   in Loop: Header=BB6_826 Depth=4
	v_bfe_u32 v113, v115, 16, 1
	s_delay_alu instid0(VALU_DEP_1)
	v_add3_u32 v113, v115, v113, 0x7fff
                                        ; implicit-def: $vgpr115
; %bb.832:                              ;   in Loop: Header=BB6_826 Depth=4
	s_and_not1_saveexec_b32 s60, s60
	s_cbranch_execz .LBB6_825
; %bb.833:                              ;   in Loop: Header=BB6_826 Depth=4
	v_and_b32_e32 v113, 0xffff, v115
	v_or_b32_e32 v118, 0x10000, v115
	s_delay_alu instid0(VALU_DEP_2) | instskip(NEXT) | instid1(VALU_DEP_2)
	v_cmp_eq_u32_e32 vcc_lo, 0, v113
	v_cndmask_b32_e32 v113, v118, v115, vcc_lo
	s_branch .LBB6_825
.LBB6_834:                              ;   in Loop: Header=BB6_472 Depth=3
	s_or_b32 exec_lo, exec_lo, s13
	v_cmp_lt_i32_e64 s13, 0, v2
	s_and_saveexec_b32 s41, s2
	s_cbranch_execz .LBB6_547
.LBB6_835:                              ;   in Loop: Header=BB6_472 Depth=3
	s_and_saveexec_b32 s60, s3
	s_delay_alu instid0(SALU_CYCLE_1)
	s_xor_b32 s60, exec_lo, s60
	s_cbranch_execz .LBB6_850
; %bb.836:                              ;   in Loop: Header=BB6_472 Depth=3
	s_and_saveexec_b32 s61, s6
	s_cbranch_execz .LBB6_849
; %bb.837:                              ;   in Loop: Header=BB6_472 Depth=3
	s_mov_b32 s63, exec_lo
	s_mov_b32 s62, exec_lo
	v_mbcnt_lo_u32_b32 v2, s63, 0
	global_wb scope:SCOPE_DEV
	s_wait_storecnt 0x0
	s_wait_loadcnt_dscnt 0x0
	global_inv scope:SCOPE_DEV
	v_cmpx_eq_u32_e32 0, v2
	s_cbranch_execz .LBB6_839
; %bb.838:                              ;   in Loop: Header=BB6_472 Depth=3
	s_bcnt1_i32_b32 s63, s63
	s_delay_alu instid0(SALU_CYCLE_1)
	v_mov_b32_e32 v2, s63
	s_wait_loadcnt 0x0
	ds_add_u64 v0, v[2:3]
	s_trap 2
.LBB6_839:                              ;   in Loop: Header=BB6_472 Depth=3
	s_or_b32 exec_lo, exec_lo, s62
	s_trap 2
	ds_load_b64 v[8:9], v0
	s_wait_dscnt 0x0
	v_add_nc_u64_e32 v[32:33], v[32:33], v[36:37]
	s_mov_b32 s62, exec_lo
	s_delay_alu instid0(VALU_DEP_1)
	v_cmpx_lt_u64_e64 v[8:9], v[32:33]
	s_cbranch_execz .LBB6_848
; %bb.840:                              ;   in Loop: Header=BB6_472 Depth=3
	s_mov_b32 s63, 0
	s_mov_b32 s74, 0
                                        ; implicit-def: $sgpr72
                                        ; implicit-def: $sgpr73
	s_branch .LBB6_842
.LBB6_841:                              ;   in Loop: Header=BB6_842 Depth=4
	s_or_b32 exec_lo, exec_lo, s76
	s_delay_alu instid0(SALU_CYCLE_1) | instskip(NEXT) | instid1(SALU_CYCLE_1)
	s_and_b32 s75, exec_lo, s77
	s_or_b32 s63, s75, s63
	s_and_not1_b32 s72, s72, exec_lo
	s_and_b32 s75, s73, exec_lo
	s_delay_alu instid0(SALU_CYCLE_1)
	s_or_b32 s72, s72, s75
	s_and_not1_b32 exec_lo, exec_lo, s63
	s_cbranch_execz .LBB6_846
.LBB6_842:                              ;   Parent Loop BB6_47 Depth=1
                                        ;     Parent Loop BB6_469 Depth=2
                                        ;       Parent Loop BB6_472 Depth=3
                                        ; =>      This Inner Loop Header: Depth=4
	s_add_co_i32 s74, s74, 1
	s_delay_alu instid0(SALU_CYCLE_1) | instskip(SKIP_1) | instid1(SALU_CYCLE_1)
	s_cmp_lg_u32 s74, 0x2710
	s_cselect_b32 s75, -1, 0
	s_and_b32 vcc_lo, exec_lo, s75
	s_cbranch_vccz .LBB6_844
; %bb.843:                              ;   in Loop: Header=BB6_842 Depth=4
	s_mov_b32 s77, -1
	s_or_b32 s73, s73, exec_lo
	s_and_saveexec_b32 s76, s75
	s_cbranch_execz .LBB6_841
	s_branch .LBB6_845
.LBB6_844:                              ;   in Loop: Header=BB6_842 Depth=4
	s_trap 2
	ds_load_b64 v[8:9], v0
	s_and_not1_b32 s75, s75, exec_lo
	s_mov_b32 s74, 0
	s_wait_loadcnt_dscnt 0x0
	flat_load_b32 v2, v[8:9] scope:SCOPE_SYS
	s_wait_loadcnt_dscnt 0x0
	global_inv scope:SCOPE_SYS
	v_cmp_eq_u32_e32 vcc_lo, 0, v2
	s_and_b32 s76, vcc_lo, exec_lo
	s_delay_alu instid0(SALU_CYCLE_1)
	s_or_b32 s75, s75, s76
	s_mov_b32 s77, -1
	s_or_b32 s73, s73, exec_lo
	s_and_saveexec_b32 s76, s75
	s_cbranch_execz .LBB6_841
.LBB6_845:                              ;   in Loop: Header=BB6_842 Depth=4
	s_sleep 1
	s_trap 2
	ds_load_b64 v[8:9], v0
	s_wait_dscnt 0x0
	s_and_not1_b32 s73, s73, exec_lo
	v_cmp_ge_u64_e32 vcc_lo, v[8:9], v[32:33]
	s_or_not1_b32 s77, vcc_lo, exec_lo
	s_branch .LBB6_841
.LBB6_846:                              ;   in Loop: Header=BB6_472 Depth=3
	s_or_b32 exec_lo, exec_lo, s63
	s_and_saveexec_b32 s63, s72
	s_delay_alu instid0(SALU_CYCLE_1)
	s_xor_b32 s63, exec_lo, s63
	s_cbranch_execz .LBB6_848
; %bb.847:                              ;   in Loop: Header=BB6_472 Depth=3
	ds_store_b32 v0, v63
	s_trap 2
.LBB6_848:                              ;   in Loop: Header=BB6_472 Depth=3
	s_or_b32 exec_lo, exec_lo, s62
	;;#ASMSTART
	s_wakeup
	;;#ASMEND
.LBB6_849:                              ;   in Loop: Header=BB6_472 Depth=3
	s_or_b32 exec_lo, exec_lo, s61
.LBB6_850:                              ;   in Loop: Header=BB6_472 Depth=3
	s_and_not1_saveexec_b32 s60, s60
	s_cbranch_execz .LBB6_852
; %bb.851:                              ;   in Loop: Header=BB6_472 Depth=3
	global_wb scope:SCOPE_DEV
	s_wait_storecnt 0x0
	s_wait_loadcnt_dscnt 0x0
	global_inv scope:SCOPE_DEV
	s_barrier_signal -1
	s_barrier_wait -1
.LBB6_852:                              ;   in Loop: Header=BB6_472 Depth=3
	s_or_b32 exec_lo, exec_lo, s60
	s_delay_alu instid0(SALU_CYCLE_1) | instskip(SKIP_1) | instid1(SALU_CYCLE_1)
	s_or_b32 exec_lo, exec_lo, s41
                                        ; implicit-def: $vgpr2
	s_and_saveexec_b32 s41, s12
	s_xor_b32 s41, exec_lo, s41
	s_cbranch_execnz .LBB6_548
.LBB6_853:                              ;   in Loop: Header=BB6_472 Depth=3
	s_and_not1_saveexec_b32 s13, s41
	s_cbranch_execz .LBB6_872
.LBB6_854:                              ;   in Loop: Header=BB6_472 Depth=3
	s_and_saveexec_b32 s41, s3
	s_delay_alu instid0(SALU_CYCLE_1)
	s_xor_b32 s41, exec_lo, s41
	s_cbranch_execz .LBB6_869
; %bb.855:                              ;   in Loop: Header=BB6_472 Depth=3
	s_and_saveexec_b32 s60, s6
	s_cbranch_execz .LBB6_868
; %bb.856:                              ;   in Loop: Header=BB6_472 Depth=3
	s_mov_b32 s62, exec_lo
	s_mov_b32 s61, exec_lo
	v_mbcnt_lo_u32_b32 v2, s62, 0
	;;#ASMSTART
	s_waitcnt lgkmcnt(0) vmcnt(0)
	;;#ASMEND
	s_delay_alu instid0(VALU_DEP_1)
	v_cmpx_eq_u32_e32 0, v2
	s_cbranch_execz .LBB6_858
; %bb.857:                              ;   in Loop: Header=BB6_472 Depth=3
	s_bcnt1_i32_b32 s62, s62
	s_delay_alu instid0(SALU_CYCLE_1)
	v_mov_b32_e32 v2, s62
	s_wait_storecnt 0x0
	s_wait_loadcnt_dscnt 0x0
	ds_add_u64 v0, v[2:3]
	s_trap 2
.LBB6_858:                              ;   in Loop: Header=BB6_472 Depth=3
	s_or_b32 exec_lo, exec_lo, s61
	s_trap 2
	ds_load_b64 v[8:9], v0
	s_wait_dscnt 0x0
	v_add_nc_u64_e32 v[32:33], v[32:33], v[36:37]
	s_mov_b32 s61, exec_lo
	s_delay_alu instid0(VALU_DEP_1)
	v_cmpx_lt_u64_e64 v[8:9], v[32:33]
	s_cbranch_execz .LBB6_867
; %bb.859:                              ;   in Loop: Header=BB6_472 Depth=3
	s_mov_b32 s62, 0
	s_mov_b32 s73, 0
                                        ; implicit-def: $sgpr63
                                        ; implicit-def: $sgpr72
	s_branch .LBB6_861
.LBB6_860:                              ;   in Loop: Header=BB6_861 Depth=4
	s_or_b32 exec_lo, exec_lo, s75
	s_delay_alu instid0(SALU_CYCLE_1) | instskip(NEXT) | instid1(SALU_CYCLE_1)
	s_and_b32 s74, exec_lo, s76
	s_or_b32 s62, s74, s62
	s_and_not1_b32 s63, s63, exec_lo
	s_and_b32 s74, s72, exec_lo
	s_delay_alu instid0(SALU_CYCLE_1)
	s_or_b32 s63, s63, s74
	s_and_not1_b32 exec_lo, exec_lo, s62
	s_cbranch_execz .LBB6_865
.LBB6_861:                              ;   Parent Loop BB6_47 Depth=1
                                        ;     Parent Loop BB6_469 Depth=2
                                        ;       Parent Loop BB6_472 Depth=3
                                        ; =>      This Inner Loop Header: Depth=4
	s_add_co_i32 s73, s73, 1
	s_delay_alu instid0(SALU_CYCLE_1) | instskip(SKIP_1) | instid1(SALU_CYCLE_1)
	s_cmp_lg_u32 s73, 0x2710
	s_cselect_b32 s74, -1, 0
	s_and_b32 vcc_lo, exec_lo, s74
	s_cbranch_vccz .LBB6_863
; %bb.862:                              ;   in Loop: Header=BB6_861 Depth=4
	s_mov_b32 s76, -1
	s_or_b32 s72, s72, exec_lo
	s_and_saveexec_b32 s75, s74
	s_cbranch_execz .LBB6_860
	s_branch .LBB6_864
.LBB6_863:                              ;   in Loop: Header=BB6_861 Depth=4
	s_trap 2
	ds_load_b64 v[8:9], v0
	s_and_not1_b32 s74, s74, exec_lo
	s_mov_b32 s73, 0
	s_wait_storecnt 0x0
	s_wait_loadcnt_dscnt 0x0
	flat_load_b32 v2, v[8:9] scope:SCOPE_SYS
	s_wait_loadcnt_dscnt 0x0
	global_inv scope:SCOPE_SYS
	v_cmp_eq_u32_e32 vcc_lo, 0, v2
	s_and_b32 s75, vcc_lo, exec_lo
	s_delay_alu instid0(SALU_CYCLE_1)
	s_or_b32 s74, s74, s75
	s_mov_b32 s76, -1
	s_or_b32 s72, s72, exec_lo
	s_and_saveexec_b32 s75, s74
	s_cbranch_execz .LBB6_860
.LBB6_864:                              ;   in Loop: Header=BB6_861 Depth=4
	s_sleep 1
	s_trap 2
	ds_load_b64 v[8:9], v0
	s_wait_dscnt 0x0
	s_and_not1_b32 s72, s72, exec_lo
	v_cmp_ge_u64_e32 vcc_lo, v[8:9], v[32:33]
	s_or_not1_b32 s76, vcc_lo, exec_lo
	s_branch .LBB6_860
.LBB6_865:                              ;   in Loop: Header=BB6_472 Depth=3
	s_or_b32 exec_lo, exec_lo, s62
	s_and_saveexec_b32 s62, s63
	s_delay_alu instid0(SALU_CYCLE_1)
	s_xor_b32 s62, exec_lo, s62
	s_cbranch_execz .LBB6_867
; %bb.866:                              ;   in Loop: Header=BB6_472 Depth=3
	ds_store_b32 v0, v63
	s_trap 2
.LBB6_867:                              ;   in Loop: Header=BB6_472 Depth=3
	s_or_b32 exec_lo, exec_lo, s61
	;;#ASMSTART
	s_wakeup
	;;#ASMEND
.LBB6_868:                              ;   in Loop: Header=BB6_472 Depth=3
	s_or_b32 exec_lo, exec_lo, s60
.LBB6_869:                              ;   in Loop: Header=BB6_472 Depth=3
	s_and_not1_saveexec_b32 s41, s41
	s_cbranch_execz .LBB6_871
; %bb.870:                              ;   in Loop: Header=BB6_472 Depth=3
	;;#ASMSTART
	s_waitcnt lgkmcnt(0) vmcnt(0)
	;;#ASMEND
	s_barrier_signal -1
	s_barrier_wait -1
.LBB6_871:                              ;   in Loop: Header=BB6_472 Depth=3
	s_or_b32 exec_lo, exec_lo, s41
	v_and_b32_e32 v2, 16, v30
.LBB6_872:                              ;   in Loop: Header=BB6_472 Depth=3
	s_or_b32 exec_lo, exec_lo, s13
	s_delay_alu instid0(VALU_DEP_1) | instskip(SKIP_1) | instid1(SALU_CYCLE_1)
	v_cmp_ne_u32_e32 vcc_lo, 0, v2
	s_xor_b32 s13, s4, -1
	s_and_b32 s41, vcc_lo, s13
	s_delay_alu instid0(SALU_CYCLE_1)
	s_and_saveexec_b32 s13, s41
	s_cbranch_execz .LBB6_874
; %bb.873:                              ;   in Loop: Header=BB6_472 Depth=3
	global_wb scope:SCOPE_SYS
	s_wait_storecnt 0x0
	s_wait_loadcnt_dscnt 0x0
	flat_store_b32 v[28:29], v63 scope:SCOPE_SYS
.LBB6_874:                              ;   in Loop: Header=BB6_472 Depth=3
	s_wait_xcnt 0x0
	s_or_b32 exec_lo, exec_lo, s13
	v_and_b32_e32 v2, 48, v30
	s_mov_b32 s13, exec_lo
	s_delay_alu instid0(VALU_DEP_1)
	v_cmpx_ne_u32_e32 0, v2
	s_cbranch_execz .LBB6_471
; %bb.875:                              ;   in Loop: Header=BB6_472 Depth=3
	v_add_nc_u64_e32 v[98:99], 2, v[98:99]
	global_wb scope:SCOPE_SYS
	s_wait_storecnt 0x0
	s_wait_loadcnt_dscnt 0x0
	flat_store_b64 v[22:23], v[98:99] scope:SCOPE_SYS
	s_branch .LBB6_471
.LBB6_876:                              ;   in Loop: Header=BB6_469 Depth=2
	s_or_b32 exec_lo, exec_lo, s18
.LBB6_877:                              ;   in Loop: Header=BB6_469 Depth=2
	s_delay_alu instid0(SALU_CYCLE_1) | instskip(NEXT) | instid1(SALU_CYCLE_1)
	s_or_b32 exec_lo, exec_lo, s15
	s_mov_b32 s15, exec_lo
	v_cmpx_gt_i32_e32 2, v2
	s_cbranch_execz .LBB6_468
; %bb.878:                              ;   in Loop: Header=BB6_469 Depth=2
	v_cmp_eq_u32_e64 s27, 0, v2
	s_mov_b32 s18, 0
	s_branch .LBB6_880
.LBB6_879:                              ;   in Loop: Header=BB6_880 Depth=3
	s_wait_xcnt 0x0
	s_or_b32 exec_lo, exec_lo, s13
	v_add_nc_u32_e32 v114, v112, v114
	s_mov_b32 s27, 0
	s_and_not1_b32 exec_lo, exec_lo, s18
	s_cbranch_execz .LBB6_467
.LBB6_880:                              ;   Parent Loop BB6_47 Depth=1
                                        ;     Parent Loop BB6_469 Depth=2
                                        ; =>    This Loop Header: Depth=3
                                        ;         Child Loop BB6_886 Depth 4
                                        ;         Child Loop BB6_914 Depth 4
	;; [unrolled: 1-line block ×3, first 2 shown]
	s_delay_alu instid0(VALU_DEP_1) | instskip(SKIP_2) | instid1(VALU_DEP_2)
	v_sub_nc_u32_e32 v2, v56, v114
	v_and_b32_e32 v8, 12, v30
	s_mov_b32 s40, exec_lo
	v_min_i32_e32 v112, v112, v2
	s_delay_alu instid0(VALU_DEP_2)
	v_cmpx_ne_u32_e32 0, v8
	s_cbranch_execz .LBB6_906
; %bb.881:                              ;   in Loop: Header=BB6_880 Depth=3
	v_and_b32_e32 v2, 8, v30
	v_add_nc_u64_e32 v[8:9], 2, v[98:99]
	s_mov_b32 s41, exec_lo
	s_wait_loadcnt_dscnt 0x1
	s_delay_alu instid0(VALU_DEP_2) | instskip(NEXT) | instid1(VALU_DEP_1)
	v_add_nc_u64_e32 v[10:11], v[34:35], v[2:3]
	v_cmpx_lt_u64_e64 v[10:11], v[8:9]
	s_cbranch_execz .LBB6_893
; %bb.882:                              ;   in Loop: Header=BB6_880 Depth=3
	v_and_b32_e32 v10, 64, v30
	s_mov_b32 s60, 0
	s_mov_b32 s72, 0
                                        ; implicit-def: $sgpr61
                                        ; implicit-def: $sgpr62
                                        ; implicit-def: $sgpr63
	s_delay_alu instid0(VALU_DEP_1)
	v_cmp_eq_u32_e32 vcc_lo, 0, v10
	s_branch .LBB6_886
.LBB6_883:                              ;   in Loop: Header=BB6_886 Depth=4
	s_wait_loadcnt_dscnt 0x0
	v_add_nc_u64_e32 v[12:13], v[34:35], v[2:3]
	s_or_b32 s75, s75, exec_lo
	s_delay_alu instid0(VALU_DEP_1)
	v_cmp_ge_u64_e64 s13, v[12:13], v[8:9]
	s_or_not1_b32 s74, s13, exec_lo
.LBB6_884:                              ;   in Loop: Header=BB6_886 Depth=4
	s_or_b32 exec_lo, exec_lo, s77
	s_delay_alu instid0(SALU_CYCLE_1)
	s_and_not1_b32 s13, s63, exec_lo
	s_and_b32 s63, s75, exec_lo
	s_and_not1_b32 s62, s62, exec_lo
	s_and_b32 s74, s74, exec_lo
	s_or_b32 s63, s13, s63
	s_or_b32 s62, s62, s74
.LBB6_885:                              ;   in Loop: Header=BB6_886 Depth=4
	s_or_b32 exec_lo, exec_lo, s73
	s_delay_alu instid0(SALU_CYCLE_1) | instskip(NEXT) | instid1(SALU_CYCLE_1)
	s_and_b32 s13, exec_lo, s62
	s_or_b32 s60, s13, s60
	s_and_not1_b32 s13, s61, exec_lo
	s_and_b32 s61, s63, exec_lo
	s_delay_alu instid0(SALU_CYCLE_1)
	s_or_b32 s61, s13, s61
	s_and_not1_b32 exec_lo, exec_lo, s60
	s_cbranch_execz .LBB6_890
.LBB6_886:                              ;   Parent Loop BB6_47 Depth=1
                                        ;     Parent Loop BB6_469 Depth=2
                                        ;       Parent Loop BB6_880 Depth=3
                                        ; =>      This Inner Loop Header: Depth=4
	s_sleep 1
	s_wait_loadcnt_dscnt 0x0
	flat_load_b64 v[34:35], v[22:23] scope:SCOPE_SYS
	s_or_b32 s63, s63, exec_lo
	s_or_b32 s62, s62, exec_lo
                                        ; implicit-def: $vgpr10
	s_wait_xcnt 0x0
	s_and_saveexec_b32 s73, vcc_lo
	s_cbranch_execz .LBB6_885
; %bb.887:                              ;   in Loop: Header=BB6_886 Depth=4
	s_cmp_lt_i32 s72, 0x270f
	s_mov_b32 s74, -1
	s_cselect_b32 s76, -1, 0
	s_cmp_gt_i32 s72, 0x270e
	s_cbranch_scc0 .LBB6_889
; %bb.888:                              ;   in Loop: Header=BB6_886 Depth=4
	s_trap 2
	ds_load_b64 v[10:11], v0
	s_and_not1_b32 s72, s76, exec_lo
	s_mov_b32 s75, 0
	s_wait_storecnt 0x0
	s_wait_loadcnt_dscnt 0x0
	flat_load_b32 v10, v[10:11] scope:SCOPE_SYS
	s_wait_loadcnt_dscnt 0x0
	global_inv scope:SCOPE_SYS
	v_cmp_eq_u32_e64 s13, 0, v10
	s_and_b32 s13, s13, exec_lo
	s_delay_alu instid0(SALU_CYCLE_1)
	s_or_b32 s76, s72, s13
	s_mov_b32 s72, 0
	s_and_saveexec_b32 s77, s76
	s_cbranch_execz .LBB6_884
	s_branch .LBB6_883
.LBB6_889:                              ;   in Loop: Header=BB6_886 Depth=4
	s_add_co_i32 s72, s72, 1
	s_mov_b32 s75, -1
                                        ; implicit-def: $vgpr10
	s_and_saveexec_b32 s77, s76
	s_cbranch_execz .LBB6_884
	s_branch .LBB6_883
.LBB6_890:                              ;   in Loop: Header=BB6_880 Depth=3
	s_or_b32 exec_lo, exec_lo, s60
	s_xor_b32 s13, s61, -1
	s_delay_alu instid0(SALU_CYCLE_1) | instskip(NEXT) | instid1(SALU_CYCLE_1)
	s_and_saveexec_b32 s60, s13
	s_xor_b32 s13, exec_lo, s60
	s_cbranch_execz .LBB6_892
; %bb.891:                              ;   in Loop: Header=BB6_880 Depth=3
	v_or_b32_e32 v30, 64, v30
	s_wait_storecnt 0x0
	s_wait_loadcnt_dscnt 0x0
	ds_store_b32 v0, v10
	s_trap 2
.LBB6_892:                              ;   in Loop: Header=BB6_880 Depth=3
	s_or_b32 exec_lo, exec_lo, s13
.LBB6_893:                              ;   in Loop: Header=BB6_880 Depth=3
	s_delay_alu instid0(SALU_CYCLE_1) | instskip(SKIP_2) | instid1(VALU_DEP_1)
	s_or_b32 exec_lo, exec_lo, s41
	v_and_b32_e32 v10, 0x108, v30
	;;#ASMSTART
	s_wakeup
	;;#ASMEND
	v_cmp_ne_u32_e32 vcc_lo, 0x108, v10
                                        ; implicit-def: $vgpr10_vgpr11
	s_and_saveexec_b32 s13, vcc_lo
	s_delay_alu instid0(SALU_CYCLE_1)
	s_xor_b32 s13, exec_lo, s13
; %bb.894:                              ;   in Loop: Header=BB6_880 Depth=3
	v_dual_mov_b32 v11, v3 :: v_dual_bitop2_b32 v10, 7, v98 bitop3:0x40
                                        ; implicit-def: $vgpr98_vgpr99
; %bb.895:                              ;   in Loop: Header=BB6_880 Depth=3
	s_and_not1_saveexec_b32 s13, s13
	s_cbranch_execz .LBB6_897
; %bb.896:                              ;   in Loop: Header=BB6_880 Depth=3
	v_dual_ashrrev_i32 v113, 31, v112 :: v_dual_bitop2_b32 v10, 7, v98 bitop3:0x40
	v_mov_b32_e32 v11, v3
	s_delay_alu instid0(VALU_DEP_2) | instskip(NEXT) | instid1(VALU_DEP_3)
	v_mad_nc_u64_u32 v[12:13], v10, 24, v[6:7]
	v_lshlrev_b64_e32 v[14:15], 1, v[112:113]
	flat_store_b64 v[12:13], v[14:15] offset:8
.LBB6_897:                              ;   in Loop: Header=BB6_880 Depth=3
	s_wait_xcnt 0x0
	s_or_b32 exec_lo, exec_lo, s13
	v_and_b32_e32 v12, 0x100, v30
	s_mov_b32 s13, -1
	s_delay_alu instid0(VALU_DEP_1)
	v_cmp_ne_u32_e32 vcc_lo, 0, v12
                                        ; implicit-def: $vgpr12_vgpr13
	s_and_saveexec_b32 s41, vcc_lo
	s_cbranch_execz .LBB6_901
; %bb.898:                              ;   in Loop: Header=BB6_880 Depth=3
	v_mad_nc_u64_u32 v[14:15], v10, 24, v[6:7]
	s_delay_alu instid0(VALU_DEP_1)
	v_mad_u32 v15, v11, 24, v15
	flat_load_b32 v12, v[14:15]
	s_wait_loadcnt_dscnt 0x0
	v_cmp_eq_u32_e64 s13, 1, v12
	v_cmp_ne_u32_e32 vcc_lo, 1, v12
                                        ; implicit-def: $vgpr12_vgpr13
	s_wait_xcnt 0x0
	s_and_saveexec_b32 s60, s13
	s_cbranch_execz .LBB6_900
; %bb.899:                              ;   in Loop: Header=BB6_880 Depth=3
	flat_load_b32 v12, v[14:15] offset:4 scope:SCOPE_SYS
	s_wait_loadcnt_dscnt 0x0
	v_ashrrev_i32_e32 v13, 31, v12
	s_delay_alu instid0(VALU_DEP_1)
	v_lshrrev_b64 v[12:13], 1, v[12:13]
.LBB6_900:                              ;   in Loop: Header=BB6_880 Depth=3
	s_wait_xcnt 0x0
	s_or_b32 exec_lo, exec_lo, s60
	s_delay_alu instid0(SALU_CYCLE_1)
	s_or_not1_b32 s13, vcc_lo, exec_lo
.LBB6_901:                              ;   in Loop: Header=BB6_880 Depth=3
	s_or_b32 exec_lo, exec_lo, s41
	s_and_saveexec_b32 s41, s13
; %bb.902:                              ;   in Loop: Header=BB6_880 Depth=3
	v_mul_u64_e32 v[12:13], v[10:11], v[24:25]
; %bb.903:                              ;   in Loop: Header=BB6_880 Depth=3
	s_or_b32 exec_lo, exec_lo, s41
	v_cmp_eq_u32_e32 vcc_lo, 0, v2
	v_and_b32_e32 v14, 0x2000, v30
	s_delay_alu instid0(VALU_DEP_3) | instskip(SKIP_2) | instid1(VALU_DEP_1)
	v_lshl_add_u64 v[10:11], v[12:13], 1, v[26:27]
	s_mov_b32 s13, exec_lo
	v_cndmask_b32_e32 v2, 0xc8, v72, vcc_lo
	v_add_nc_u32_e32 v2, v0, v2
	ds_store_b64 v2, v[10:11] offset:584
	v_cmpx_ne_u32_e32 0, v14
	s_cbranch_execz .LBB6_905
; %bb.904:                              ;   in Loop: Header=BB6_880 Depth=3
	ds_load_b64 v[10:11], v0 offset:872
	s_wait_dscnt 0x0
	v_add_nc_u64_e32 v[10:11], 1, v[10:11]
	ds_store_b64 v0, v[10:11] offset:872
.LBB6_905:                              ;   in Loop: Header=BB6_880 Depth=3
	s_or_b32 exec_lo, exec_lo, s13
	v_mov_b64_e32 v[98:99], v[8:9]
.LBB6_906:                              ;   in Loop: Header=BB6_880 Depth=3
	s_or_b32 exec_lo, exec_lo, s40
	s_xor_b32 s13, s27, -1
	s_delay_alu instid0(SALU_CYCLE_1) | instskip(NEXT) | instid1(SALU_CYCLE_1)
	s_and_b32 s13, exec_lo, s13
	s_or_b32 s18, s13, s18
	s_and_saveexec_b32 s13, s2
	s_cbranch_execz .LBB6_925
; %bb.907:                              ;   in Loop: Header=BB6_880 Depth=3
	s_and_saveexec_b32 s27, s3
	s_delay_alu instid0(SALU_CYCLE_1)
	s_xor_b32 s27, exec_lo, s27
	s_cbranch_execz .LBB6_922
; %bb.908:                              ;   in Loop: Header=BB6_880 Depth=3
	s_and_saveexec_b32 s40, s6
	s_cbranch_execz .LBB6_921
; %bb.909:                              ;   in Loop: Header=BB6_880 Depth=3
	s_mov_b32 s60, exec_lo
	s_mov_b32 s41, exec_lo
	v_mbcnt_lo_u32_b32 v2, s60, 0
	global_wb scope:SCOPE_DEV
	s_wait_storecnt 0x0
	s_wait_loadcnt_dscnt 0x0
	global_inv scope:SCOPE_DEV
	v_cmpx_eq_u32_e32 0, v2
	s_cbranch_execz .LBB6_911
; %bb.910:                              ;   in Loop: Header=BB6_880 Depth=3
	s_bcnt1_i32_b32 s60, s60
	s_delay_alu instid0(SALU_CYCLE_1)
	v_mov_b32_e32 v2, s60
	s_wait_loadcnt 0x0
	ds_add_u64 v0, v[2:3]
	s_trap 2
.LBB6_911:                              ;   in Loop: Header=BB6_880 Depth=3
	s_or_b32 exec_lo, exec_lo, s41
	s_trap 2
	ds_load_b64 v[8:9], v0
	s_wait_dscnt 0x0
	v_add_nc_u64_e32 v[32:33], v[32:33], v[36:37]
	s_mov_b32 s41, exec_lo
	s_delay_alu instid0(VALU_DEP_1)
	v_cmpx_lt_u64_e64 v[8:9], v[32:33]
	s_cbranch_execz .LBB6_920
; %bb.912:                              ;   in Loop: Header=BB6_880 Depth=3
	s_mov_b32 s60, 0
	s_mov_b32 s63, 0
                                        ; implicit-def: $sgpr61
                                        ; implicit-def: $sgpr62
	s_branch .LBB6_914
.LBB6_913:                              ;   in Loop: Header=BB6_914 Depth=4
	s_or_b32 exec_lo, exec_lo, s73
	s_delay_alu instid0(SALU_CYCLE_1) | instskip(NEXT) | instid1(SALU_CYCLE_1)
	s_and_b32 s72, exec_lo, s74
	s_or_b32 s60, s72, s60
	s_and_not1_b32 s61, s61, exec_lo
	s_and_b32 s72, s62, exec_lo
	s_delay_alu instid0(SALU_CYCLE_1)
	s_or_b32 s61, s61, s72
	s_and_not1_b32 exec_lo, exec_lo, s60
	s_cbranch_execz .LBB6_918
.LBB6_914:                              ;   Parent Loop BB6_47 Depth=1
                                        ;     Parent Loop BB6_469 Depth=2
                                        ;       Parent Loop BB6_880 Depth=3
                                        ; =>      This Inner Loop Header: Depth=4
	s_add_co_i32 s63, s63, 1
	s_delay_alu instid0(SALU_CYCLE_1) | instskip(SKIP_1) | instid1(SALU_CYCLE_1)
	s_cmp_lg_u32 s63, 0x2710
	s_cselect_b32 s72, -1, 0
	s_and_b32 vcc_lo, exec_lo, s72
	s_cbranch_vccz .LBB6_916
; %bb.915:                              ;   in Loop: Header=BB6_914 Depth=4
	s_mov_b32 s74, -1
	s_or_b32 s62, s62, exec_lo
	s_and_saveexec_b32 s73, s72
	s_cbranch_execz .LBB6_913
	s_branch .LBB6_917
.LBB6_916:                              ;   in Loop: Header=BB6_914 Depth=4
	s_trap 2
	ds_load_b64 v[8:9], v0
	s_and_not1_b32 s72, s72, exec_lo
	s_mov_b32 s63, 0
	s_wait_loadcnt_dscnt 0x0
	flat_load_b32 v2, v[8:9] scope:SCOPE_SYS
	s_wait_loadcnt_dscnt 0x0
	global_inv scope:SCOPE_SYS
	v_cmp_eq_u32_e32 vcc_lo, 0, v2
	s_and_b32 s73, vcc_lo, exec_lo
	s_delay_alu instid0(SALU_CYCLE_1)
	s_or_b32 s72, s72, s73
	s_mov_b32 s74, -1
	s_or_b32 s62, s62, exec_lo
	s_and_saveexec_b32 s73, s72
	s_cbranch_execz .LBB6_913
.LBB6_917:                              ;   in Loop: Header=BB6_914 Depth=4
	s_sleep 1
	s_trap 2
	ds_load_b64 v[8:9], v0
	s_wait_dscnt 0x0
	s_and_not1_b32 s62, s62, exec_lo
	v_cmp_ge_u64_e32 vcc_lo, v[8:9], v[32:33]
	s_or_not1_b32 s74, vcc_lo, exec_lo
	s_branch .LBB6_913
.LBB6_918:                              ;   in Loop: Header=BB6_880 Depth=3
	s_or_b32 exec_lo, exec_lo, s60
	s_and_saveexec_b32 s60, s61
	s_delay_alu instid0(SALU_CYCLE_1)
	s_xor_b32 s60, exec_lo, s60
	s_cbranch_execz .LBB6_920
; %bb.919:                              ;   in Loop: Header=BB6_880 Depth=3
	ds_store_b32 v0, v63
	s_trap 2
.LBB6_920:                              ;   in Loop: Header=BB6_880 Depth=3
	s_or_b32 exec_lo, exec_lo, s41
	;;#ASMSTART
	s_wakeup
	;;#ASMEND
.LBB6_921:                              ;   in Loop: Header=BB6_880 Depth=3
	s_or_b32 exec_lo, exec_lo, s40
.LBB6_922:                              ;   in Loop: Header=BB6_880 Depth=3
	s_and_not1_saveexec_b32 s27, s27
	s_cbranch_execz .LBB6_924
; %bb.923:                              ;   in Loop: Header=BB6_880 Depth=3
	global_wb scope:SCOPE_DEV
	s_wait_storecnt 0x0
	s_wait_loadcnt_dscnt 0x0
	global_inv scope:SCOPE_DEV
	s_barrier_signal -1
	s_barrier_wait -1
.LBB6_924:                              ;   in Loop: Header=BB6_880 Depth=3
	s_or_b32 exec_lo, exec_lo, s27
.LBB6_925:                              ;   in Loop: Header=BB6_880 Depth=3
	s_delay_alu instid0(SALU_CYCLE_1) | instskip(SKIP_1) | instid1(SALU_CYCLE_1)
	s_or_b32 exec_lo, exec_lo, s13
                                        ; implicit-def: $vgpr2
	s_and_saveexec_b32 s13, s47
	s_xor_b32 s13, exec_lo, s13
	s_cbranch_execz .LBB6_937
; %bb.926:                              ;   in Loop: Header=BB6_880 Depth=3
	s_and_saveexec_b32 s27, s3
	s_delay_alu instid0(SALU_CYCLE_1)
	s_xor_b32 s27, exec_lo, s27
	s_cbranch_execz .LBB6_942
; %bb.927:                              ;   in Loop: Header=BB6_880 Depth=3
	s_and_saveexec_b32 s40, s6
	s_cbranch_execz .LBB6_941
; %bb.928:                              ;   in Loop: Header=BB6_880 Depth=3
	s_mov_b32 s60, exec_lo
	s_mov_b32 s41, exec_lo
	v_mbcnt_lo_u32_b32 v2, s60, 0
	;;#ASMSTART
	s_waitcnt lgkmcnt(0) vmcnt(0)
	;;#ASMEND
	s_delay_alu instid0(VALU_DEP_1)
	v_cmpx_eq_u32_e32 0, v2
	s_cbranch_execz .LBB6_930
; %bb.929:                              ;   in Loop: Header=BB6_880 Depth=3
	s_bcnt1_i32_b32 s60, s60
	s_delay_alu instid0(SALU_CYCLE_1)
	v_mov_b32_e32 v2, s60
	s_wait_storecnt 0x0
	s_wait_loadcnt_dscnt 0x0
	ds_add_u64 v0, v[2:3]
	s_trap 2
.LBB6_930:                              ;   in Loop: Header=BB6_880 Depth=3
	s_or_b32 exec_lo, exec_lo, s41
	s_trap 2
	ds_load_b64 v[8:9], v0
	s_wait_dscnt 0x0
	v_add_nc_u64_e32 v[32:33], v[32:33], v[36:37]
	s_mov_b32 s41, exec_lo
	s_delay_alu instid0(VALU_DEP_1)
	v_cmpx_lt_u64_e64 v[8:9], v[32:33]
	s_cbranch_execz .LBB6_940
; %bb.931:                              ;   in Loop: Header=BB6_880 Depth=3
	s_mov_b32 s60, 0
	s_mov_b32 s63, 0
                                        ; implicit-def: $sgpr61
                                        ; implicit-def: $sgpr62
	s_branch .LBB6_933
.LBB6_932:                              ;   in Loop: Header=BB6_933 Depth=4
	s_or_b32 exec_lo, exec_lo, s73
	s_delay_alu instid0(SALU_CYCLE_1) | instskip(NEXT) | instid1(SALU_CYCLE_1)
	s_and_b32 s72, exec_lo, s74
	s_or_b32 s60, s72, s60
	s_and_not1_b32 s61, s61, exec_lo
	s_and_b32 s72, s62, exec_lo
	s_delay_alu instid0(SALU_CYCLE_1)
	s_or_b32 s61, s61, s72
	s_and_not1_b32 exec_lo, exec_lo, s60
	s_cbranch_execz .LBB6_938
.LBB6_933:                              ;   Parent Loop BB6_47 Depth=1
                                        ;     Parent Loop BB6_469 Depth=2
                                        ;       Parent Loop BB6_880 Depth=3
                                        ; =>      This Inner Loop Header: Depth=4
	s_add_co_i32 s63, s63, 1
	s_delay_alu instid0(SALU_CYCLE_1) | instskip(SKIP_1) | instid1(SALU_CYCLE_1)
	s_cmp_lg_u32 s63, 0x2710
	s_cselect_b32 s72, -1, 0
	s_and_b32 vcc_lo, exec_lo, s72
	s_cbranch_vccz .LBB6_935
; %bb.934:                              ;   in Loop: Header=BB6_933 Depth=4
	s_mov_b32 s74, -1
	s_or_b32 s62, s62, exec_lo
	s_and_saveexec_b32 s73, s72
	s_cbranch_execz .LBB6_932
	s_branch .LBB6_936
.LBB6_935:                              ;   in Loop: Header=BB6_933 Depth=4
	s_trap 2
	ds_load_b64 v[8:9], v0
	s_and_not1_b32 s72, s72, exec_lo
	s_mov_b32 s63, 0
	s_wait_storecnt 0x0
	s_wait_loadcnt_dscnt 0x0
	flat_load_b32 v2, v[8:9] scope:SCOPE_SYS
	s_wait_loadcnt_dscnt 0x0
	global_inv scope:SCOPE_SYS
	v_cmp_eq_u32_e32 vcc_lo, 0, v2
	s_and_b32 s73, vcc_lo, exec_lo
	s_delay_alu instid0(SALU_CYCLE_1)
	s_or_b32 s72, s72, s73
	s_mov_b32 s74, -1
	s_or_b32 s62, s62, exec_lo
	s_and_saveexec_b32 s73, s72
	s_cbranch_execz .LBB6_932
.LBB6_936:                              ;   in Loop: Header=BB6_933 Depth=4
	s_sleep 1
	s_trap 2
	ds_load_b64 v[8:9], v0
	s_wait_dscnt 0x0
	s_and_not1_b32 s62, s62, exec_lo
	v_cmp_ge_u64_e32 vcc_lo, v[8:9], v[32:33]
	s_or_not1_b32 s74, vcc_lo, exec_lo
	s_branch .LBB6_932
.LBB6_937:                              ;   in Loop: Header=BB6_880 Depth=3
	s_and_not1_saveexec_b32 s27, s13
	s_cbranch_execnz .LBB6_945
	s_branch .LBB6_948
.LBB6_938:                              ;   in Loop: Header=BB6_880 Depth=3
	s_or_b32 exec_lo, exec_lo, s60
	s_and_saveexec_b32 s60, s61
	s_delay_alu instid0(SALU_CYCLE_1)
	s_xor_b32 s60, exec_lo, s60
	s_cbranch_execz .LBB6_940
; %bb.939:                              ;   in Loop: Header=BB6_880 Depth=3
	ds_store_b32 v0, v63
	s_trap 2
.LBB6_940:                              ;   in Loop: Header=BB6_880 Depth=3
	s_or_b32 exec_lo, exec_lo, s41
	;;#ASMSTART
	s_wakeup
	;;#ASMEND
.LBB6_941:                              ;   in Loop: Header=BB6_880 Depth=3
	s_or_b32 exec_lo, exec_lo, s40
.LBB6_942:                              ;   in Loop: Header=BB6_880 Depth=3
	s_and_not1_saveexec_b32 s27, s27
	s_cbranch_execz .LBB6_944
; %bb.943:                              ;   in Loop: Header=BB6_880 Depth=3
	;;#ASMSTART
	s_waitcnt lgkmcnt(0) vmcnt(0)
	;;#ASMEND
	s_barrier_signal -1
	s_barrier_wait -1
.LBB6_944:                              ;   in Loop: Header=BB6_880 Depth=3
	s_or_b32 exec_lo, exec_lo, s27
	v_and_b32_e32 v2, 16, v30
	s_and_not1_saveexec_b32 s27, s13
	s_cbranch_execz .LBB6_948
.LBB6_945:                              ;   in Loop: Header=BB6_880 Depth=3
	s_trap 2
	ds_load_b32 v2, v0
	v_cmp_lt_i32_e32 vcc_lo, 0, v112
	s_wait_dscnt 0x0
	v_readfirstlane_b32 s13, v2
	v_and_b32_e32 v2, 16, v30
	s_cmp_eq_u32 s13, 0
	s_delay_alu instid0(VALU_DEP_1) | instskip(SKIP_3) | instid1(SALU_CYCLE_1)
	v_cmp_ne_u32_e64 s13, 0, v2
	s_cselect_b32 s40, -1, 0
	v_and_b32_e32 v2, 16, v30
	s_and_b32 s40, vcc_lo, s40
	s_and_b32 s40, s13, s40
	s_delay_alu instid0(SALU_CYCLE_1)
	s_and_saveexec_b32 s13, s40
	s_cbranch_execz .LBB6_947
; %bb.946:                              ;   in Loop: Header=BB6_880 Depth=3
	v_mov_b32_e32 v2, 1
	global_wb scope:SCOPE_SYS
	s_wait_loadcnt 0x0
	s_wait_storecnt 0x0
	global_inv scope:SCOPE_SYS
.LBB6_947:                              ;   in Loop: Header=BB6_880 Depth=3
	s_or_b32 exec_lo, exec_lo, s13
.LBB6_948:                              ;   in Loop: Header=BB6_880 Depth=3
	s_delay_alu instid0(SALU_CYCLE_1) | instskip(NEXT) | instid1(VALU_DEP_1)
	s_or_b32 exec_lo, exec_lo, s27
	v_cmp_ne_u32_e32 vcc_lo, 0, v2
	s_xor_b32 s13, s4, -1
	s_delay_alu instid0(SALU_CYCLE_1) | instskip(NEXT) | instid1(SALU_CYCLE_1)
	s_and_b32 s27, vcc_lo, s13
	s_and_saveexec_b32 s13, s27
	s_cbranch_execz .LBB6_950
; %bb.949:                              ;   in Loop: Header=BB6_880 Depth=3
	global_wb scope:SCOPE_SYS
	s_wait_storecnt 0x0
	s_wait_loadcnt_dscnt 0x0
	flat_store_b32 v[28:29], v63 scope:SCOPE_SYS
.LBB6_950:                              ;   in Loop: Header=BB6_880 Depth=3
	s_wait_xcnt 0x0
	s_or_b32 exec_lo, exec_lo, s13
	v_and_b32_e32 v2, 48, v30
	s_mov_b32 s13, exec_lo
	s_delay_alu instid0(VALU_DEP_1)
	v_cmpx_ne_u32_e32 0, v2
	s_cbranch_execz .LBB6_879
; %bb.951:                              ;   in Loop: Header=BB6_880 Depth=3
	v_add_nc_u64_e32 v[98:99], 2, v[98:99]
	global_wb scope:SCOPE_SYS
	s_wait_storecnt 0x0
	s_wait_loadcnt_dscnt 0x0
	flat_store_b64 v[22:23], v[98:99] scope:SCOPE_SYS
	s_branch .LBB6_879
.LBB6_952:                              ;   in Loop: Header=BB6_47 Depth=1
	v_mul_u64_e32 v[8:9], s[16:17], v[96:97]
	v_mov_b32_e32 v114, 0
	s_delay_alu instid0(VALU_DEP_2) | instskip(NEXT) | instid1(VALU_DEP_1)
	v_sub_nc_u64_e32 v[10:11], v[100:101], v[8:9]
	v_min_i64 v[10:11], v[96:97], v[10:11]
	s_delay_alu instid0(VALU_DEP_1) | instskip(SKIP_1) | instid1(VALU_DEP_2)
	v_max_i32_e32 v74, 0, v10
	v_cmp_lt_i32_e32 vcc_lo, 0, v10
	v_add_nc_u32_e32 v2, 31, v74
	s_and_b32 s13, s57, vcc_lo
	s_delay_alu instid0(VALU_DEP_1) | instskip(NEXT) | instid1(VALU_DEP_1)
	v_lshrrev_b32_e32 v2, 1, v2
	v_and_b32_e32 v11, 0x3ffffff0, v2
	s_delay_alu instid0(VALU_DEP_1)
	v_dual_mov_b32 v2, 0 :: v_dual_max_i32 v112, s45, v11
	s_and_saveexec_b32 s18, s13
	s_cbranch_execz .LBB6_1657
; %bb.953:                              ;   in Loop: Header=BB6_47 Depth=1
	v_add_nc_u64_e32 v[8:9], v[8:9], v[102:103]
	v_mov_b32_e32 v114, 0
	s_mov_b32 s61, 1
	s_mov_b32 s60, -1
	s_mov_b32 s27, 0
	s_delay_alu instid0(VALU_DEP_2)
	v_lshlrev_b64_e32 v[116:117], 1, v[8:9]
	s_branch .LBB6_955
.LBB6_954:                              ;   in Loop: Header=BB6_955 Depth=2
	s_wait_xcnt 0x0
	s_or_b32 exec_lo, exec_lo, s13
	v_dual_add_nc_u32 v114, v112, v114 :: v_dual_mov_b32 v2, s61
	s_xor_b32 s13, s60, -1
	s_mov_b32 s60, 0
	s_mov_b32 s61, 2
	s_delay_alu instid0(VALU_DEP_1) | instskip(SKIP_1) | instid1(SALU_CYCLE_1)
	v_cmp_ge_i32_e32 vcc_lo, v114, v74
	s_or_b32 s13, s13, vcc_lo
	s_and_b32 s13, exec_lo, s13
	s_delay_alu instid0(SALU_CYCLE_1) | instskip(NEXT) | instid1(SALU_CYCLE_1)
	s_or_b32 s27, s13, s27
	s_and_not1_b32 exec_lo, exec_lo, s27
	s_cbranch_execz .LBB6_1656
.LBB6_955:                              ;   Parent Loop BB6_47 Depth=1
                                        ; =>  This Loop Header: Depth=2
                                        ;       Child Loop BB6_963 Depth 3
                                        ;       Child Loop BB6_991 Depth 3
	;; [unrolled: 1-line block ×5, first 2 shown]
                                        ;         Child Loop BB6_1235 Depth 4
                                        ;       Child Loop BB6_1243 Depth 3
                                        ;       Child Loop BB6_1311 Depth 3
                                        ;         Child Loop BB6_1320 Depth 4
                                        ;       Child Loop BB6_1333 Depth 3
                                        ;       Child Loop BB6_1466 Depth 3
	;; [unrolled: 1-line block ×6, first 2 shown]
	s_and_saveexec_b32 s13, s0
	s_cbranch_execz .LBB6_957
; %bb.956:                              ;   in Loop: Header=BB6_955 Depth=2
	s_trap 2
	ds_load_b64 v[12:13], v0
	ds_load_2addr_b64 v[8:11], v0 offset1:1
	s_wait_dscnt 0x1
	v_cmp_ne_u64_e32 vcc_lo, 0, v[12:13]
	v_ashrrev_i32_e32 v115, 31, v114
	v_add_nc_u64_e32 v[118:119], v[12:13], v[116:117]
	s_wait_dscnt 0x0
	v_add_nc_u64_e32 v[8:9], v[8:9], v[116:117]
	v_add_nc_u64_e32 v[10:11], v[10:11], v[116:117]
	v_lshlrev_b64_e32 v[14:15], 1, v[114:115]
	s_delay_alu instid0(VALU_DEP_1) | instskip(NEXT) | instid1(VALU_DEP_4)
	v_add_nc_u64_e32 v[118:119], v[118:119], v[14:15]
	v_add_nc_u64_e32 v[8:9], v[8:9], v[14:15]
	s_delay_alu instid0(VALU_DEP_4) | instskip(NEXT) | instid1(VALU_DEP_3)
	v_add_nc_u64_e32 v[10:11], v[10:11], v[14:15]
	v_dual_cndmask_b32 v13, 0, v119 :: v_dual_cndmask_b32 v12, 0, v118
	ds_store_b64 v0, v[8:9]
	ds_store_b64 v0, v[10:11]
	;; [unrolled: 1-line block ×3, first 2 shown]
.LBB6_957:                              ;   in Loop: Header=BB6_955 Depth=2
	s_or_b32 exec_lo, exec_lo, s13
	v_sub_nc_u32_e32 v2, v74, v114
	v_and_b32_e32 v8, 12, v30
	s_mov_b32 s14, exec_lo
	s_delay_alu instid0(VALU_DEP_2) | instskip(NEXT) | instid1(VALU_DEP_2)
	v_min_i32_e32 v112, v112, v2
	v_cmpx_ne_u32_e32 0, v8
	s_cbranch_execz .LBB6_983
; %bb.958:                              ;   in Loop: Header=BB6_955 Depth=2
	v_and_b32_e32 v2, 8, v30
	v_add_nc_u64_e32 v[8:9], 2, v[98:99]
	s_mov_b32 s15, exec_lo
	s_wait_loadcnt_dscnt 0x1
	s_delay_alu instid0(VALU_DEP_2) | instskip(NEXT) | instid1(VALU_DEP_1)
	v_add_nc_u64_e32 v[10:11], v[34:35], v[2:3]
	v_cmpx_lt_u64_e64 v[10:11], v[8:9]
	s_cbranch_execz .LBB6_970
; %bb.959:                              ;   in Loop: Header=BB6_955 Depth=2
	v_and_b32_e32 v10, 64, v30
	s_mov_b32 s40, 0
	s_mov_b32 s72, 0
                                        ; implicit-def: $sgpr41
                                        ; implicit-def: $sgpr62
                                        ; implicit-def: $sgpr63
	s_delay_alu instid0(VALU_DEP_1)
	v_cmp_eq_u32_e32 vcc_lo, 0, v10
	s_branch .LBB6_963
.LBB6_960:                              ;   in Loop: Header=BB6_963 Depth=3
	s_wait_loadcnt_dscnt 0x0
	v_add_nc_u64_e32 v[12:13], v[34:35], v[2:3]
	s_or_b32 s75, s75, exec_lo
	s_delay_alu instid0(VALU_DEP_1)
	v_cmp_ge_u64_e64 s13, v[12:13], v[8:9]
	s_or_not1_b32 s74, s13, exec_lo
.LBB6_961:                              ;   in Loop: Header=BB6_963 Depth=3
	s_or_b32 exec_lo, exec_lo, s77
	s_delay_alu instid0(SALU_CYCLE_1)
	s_and_not1_b32 s13, s63, exec_lo
	s_and_b32 s63, s75, exec_lo
	s_and_not1_b32 s62, s62, exec_lo
	s_and_b32 s74, s74, exec_lo
	s_or_b32 s63, s13, s63
	s_or_b32 s62, s62, s74
.LBB6_962:                              ;   in Loop: Header=BB6_963 Depth=3
	s_or_b32 exec_lo, exec_lo, s73
	s_delay_alu instid0(SALU_CYCLE_1) | instskip(NEXT) | instid1(SALU_CYCLE_1)
	s_and_b32 s13, exec_lo, s62
	s_or_b32 s40, s13, s40
	s_and_not1_b32 s13, s41, exec_lo
	s_and_b32 s41, s63, exec_lo
	s_delay_alu instid0(SALU_CYCLE_1)
	s_or_b32 s41, s13, s41
	s_and_not1_b32 exec_lo, exec_lo, s40
	s_cbranch_execz .LBB6_967
.LBB6_963:                              ;   Parent Loop BB6_47 Depth=1
                                        ;     Parent Loop BB6_955 Depth=2
                                        ; =>    This Inner Loop Header: Depth=3
	s_sleep 1
	s_wait_loadcnt_dscnt 0x0
	flat_load_b64 v[34:35], v[22:23] scope:SCOPE_SYS
	s_or_b32 s63, s63, exec_lo
	s_or_b32 s62, s62, exec_lo
                                        ; implicit-def: $vgpr10
	s_wait_xcnt 0x0
	s_and_saveexec_b32 s73, vcc_lo
	s_cbranch_execz .LBB6_962
; %bb.964:                              ;   in Loop: Header=BB6_963 Depth=3
	s_cmp_lt_i32 s72, 0x270f
	s_mov_b32 s74, -1
	s_cselect_b32 s76, -1, 0
	s_cmp_gt_i32 s72, 0x270e
	s_cbranch_scc0 .LBB6_966
; %bb.965:                              ;   in Loop: Header=BB6_963 Depth=3
	s_trap 2
	ds_load_b64 v[10:11], v0
	s_and_not1_b32 s72, s76, exec_lo
	s_mov_b32 s75, 0
	s_wait_storecnt 0x0
	s_wait_loadcnt_dscnt 0x0
	flat_load_b32 v10, v[10:11] scope:SCOPE_SYS
	s_wait_loadcnt_dscnt 0x0
	global_inv scope:SCOPE_SYS
	v_cmp_eq_u32_e64 s13, 0, v10
	s_and_b32 s13, s13, exec_lo
	s_delay_alu instid0(SALU_CYCLE_1)
	s_or_b32 s76, s72, s13
	s_mov_b32 s72, 0
	s_and_saveexec_b32 s77, s76
	s_cbranch_execz .LBB6_961
	s_branch .LBB6_960
.LBB6_966:                              ;   in Loop: Header=BB6_963 Depth=3
	s_add_co_i32 s72, s72, 1
	s_mov_b32 s75, -1
                                        ; implicit-def: $vgpr10
	s_and_saveexec_b32 s77, s76
	s_cbranch_execz .LBB6_961
	s_branch .LBB6_960
.LBB6_967:                              ;   in Loop: Header=BB6_955 Depth=2
	s_or_b32 exec_lo, exec_lo, s40
	s_xor_b32 s13, s41, -1
	s_delay_alu instid0(SALU_CYCLE_1) | instskip(NEXT) | instid1(SALU_CYCLE_1)
	s_and_saveexec_b32 s40, s13
	s_xor_b32 s13, exec_lo, s40
	s_cbranch_execz .LBB6_969
; %bb.968:                              ;   in Loop: Header=BB6_955 Depth=2
	v_or_b32_e32 v30, 64, v30
	s_wait_storecnt 0x0
	s_wait_loadcnt_dscnt 0x0
	ds_store_b32 v0, v10
	s_trap 2
.LBB6_969:                              ;   in Loop: Header=BB6_955 Depth=2
	s_or_b32 exec_lo, exec_lo, s13
.LBB6_970:                              ;   in Loop: Header=BB6_955 Depth=2
	s_delay_alu instid0(SALU_CYCLE_1) | instskip(SKIP_2) | instid1(VALU_DEP_1)
	s_or_b32 exec_lo, exec_lo, s15
	v_and_b32_e32 v10, 0x108, v30
	;;#ASMSTART
	s_wakeup
	;;#ASMEND
	v_cmp_ne_u32_e32 vcc_lo, 0x108, v10
                                        ; implicit-def: $vgpr10_vgpr11
	s_and_saveexec_b32 s13, vcc_lo
	s_delay_alu instid0(SALU_CYCLE_1)
	s_xor_b32 s13, exec_lo, s13
; %bb.971:                              ;   in Loop: Header=BB6_955 Depth=2
	v_dual_mov_b32 v11, v3 :: v_dual_bitop2_b32 v10, 7, v98 bitop3:0x40
                                        ; implicit-def: $vgpr98_vgpr99
; %bb.972:                              ;   in Loop: Header=BB6_955 Depth=2
	s_and_not1_saveexec_b32 s13, s13
	s_cbranch_execz .LBB6_974
; %bb.973:                              ;   in Loop: Header=BB6_955 Depth=2
	v_dual_ashrrev_i32 v113, 31, v112 :: v_dual_bitop2_b32 v10, 7, v98 bitop3:0x40
	v_mov_b32_e32 v11, v3
	s_delay_alu instid0(VALU_DEP_2) | instskip(NEXT) | instid1(VALU_DEP_3)
	v_mad_nc_u64_u32 v[12:13], v10, 24, v[6:7]
	v_lshlrev_b64_e32 v[14:15], 1, v[112:113]
	flat_store_b64 v[12:13], v[14:15] offset:8
.LBB6_974:                              ;   in Loop: Header=BB6_955 Depth=2
	s_wait_xcnt 0x0
	s_or_b32 exec_lo, exec_lo, s13
	v_and_b32_e32 v12, 0x100, v30
	s_mov_b32 s13, -1
	s_delay_alu instid0(VALU_DEP_1)
	v_cmp_ne_u32_e32 vcc_lo, 0, v12
                                        ; implicit-def: $vgpr12_vgpr13
	s_and_saveexec_b32 s15, vcc_lo
	s_cbranch_execz .LBB6_978
; %bb.975:                              ;   in Loop: Header=BB6_955 Depth=2
	v_mad_nc_u64_u32 v[14:15], v10, 24, v[6:7]
	s_delay_alu instid0(VALU_DEP_1)
	v_mad_u32 v15, v11, 24, v15
	flat_load_b32 v12, v[14:15]
	s_wait_loadcnt_dscnt 0x0
	v_cmp_eq_u32_e64 s13, 1, v12
	v_cmp_ne_u32_e32 vcc_lo, 1, v12
                                        ; implicit-def: $vgpr12_vgpr13
	s_wait_xcnt 0x0
	s_and_saveexec_b32 s40, s13
	s_cbranch_execz .LBB6_977
; %bb.976:                              ;   in Loop: Header=BB6_955 Depth=2
	flat_load_b32 v12, v[14:15] offset:4 scope:SCOPE_SYS
	s_wait_loadcnt_dscnt 0x0
	v_ashrrev_i32_e32 v13, 31, v12
	s_delay_alu instid0(VALU_DEP_1)
	v_lshrrev_b64 v[12:13], 1, v[12:13]
.LBB6_977:                              ;   in Loop: Header=BB6_955 Depth=2
	s_wait_xcnt 0x0
	s_or_b32 exec_lo, exec_lo, s40
	s_delay_alu instid0(SALU_CYCLE_1)
	s_or_not1_b32 s13, vcc_lo, exec_lo
.LBB6_978:                              ;   in Loop: Header=BB6_955 Depth=2
	s_or_b32 exec_lo, exec_lo, s15
	s_and_saveexec_b32 s15, s13
; %bb.979:                              ;   in Loop: Header=BB6_955 Depth=2
	v_mul_u64_e32 v[12:13], v[10:11], v[24:25]
; %bb.980:                              ;   in Loop: Header=BB6_955 Depth=2
	s_or_b32 exec_lo, exec_lo, s15
	v_cmp_eq_u32_e32 vcc_lo, 0, v2
	v_and_b32_e32 v14, 0x2000, v30
	s_delay_alu instid0(VALU_DEP_3) | instskip(SKIP_2) | instid1(VALU_DEP_1)
	v_lshl_add_u64 v[10:11], v[12:13], 1, v[26:27]
	s_mov_b32 s13, exec_lo
	v_cndmask_b32_e32 v2, 0xd0, v72, vcc_lo
	v_add_nc_u32_e32 v2, v0, v2
	ds_store_b64 v2, v[10:11] offset:584
	v_cmpx_ne_u32_e32 0, v14
	s_cbranch_execz .LBB6_982
; %bb.981:                              ;   in Loop: Header=BB6_955 Depth=2
	ds_load_b64 v[10:11], v0 offset:872
	s_wait_dscnt 0x0
	v_add_nc_u64_e32 v[10:11], 1, v[10:11]
	ds_store_b64 v0, v[10:11] offset:872
.LBB6_982:                              ;   in Loop: Header=BB6_955 Depth=2
	s_or_b32 exec_lo, exec_lo, s13
	v_mov_b64_e32 v[98:99], v[8:9]
.LBB6_983:                              ;   in Loop: Header=BB6_955 Depth=2
	s_or_b32 exec_lo, exec_lo, s14
	s_and_saveexec_b32 s13, s2
	s_cbranch_execz .LBB6_1002
; %bb.984:                              ;   in Loop: Header=BB6_955 Depth=2
	s_and_saveexec_b32 s14, s3
	s_delay_alu instid0(SALU_CYCLE_1)
	s_xor_b32 s14, exec_lo, s14
	s_cbranch_execz .LBB6_999
; %bb.985:                              ;   in Loop: Header=BB6_955 Depth=2
	s_and_saveexec_b32 s15, s6
	s_cbranch_execz .LBB6_998
; %bb.986:                              ;   in Loop: Header=BB6_955 Depth=2
	s_mov_b32 s41, exec_lo
	s_mov_b32 s40, exec_lo
	v_mbcnt_lo_u32_b32 v2, s41, 0
	global_wb scope:SCOPE_DEV
	s_wait_storecnt 0x0
	s_wait_loadcnt_dscnt 0x0
	global_inv scope:SCOPE_DEV
	v_cmpx_eq_u32_e32 0, v2
	s_cbranch_execz .LBB6_988
; %bb.987:                              ;   in Loop: Header=BB6_955 Depth=2
	s_bcnt1_i32_b32 s41, s41
	s_delay_alu instid0(SALU_CYCLE_1)
	v_mov_b32_e32 v2, s41
	s_wait_loadcnt 0x0
	ds_add_u64 v0, v[2:3]
	s_trap 2
.LBB6_988:                              ;   in Loop: Header=BB6_955 Depth=2
	s_or_b32 exec_lo, exec_lo, s40
	s_trap 2
	ds_load_b64 v[8:9], v0
	s_wait_dscnt 0x0
	v_add_nc_u64_e32 v[32:33], v[32:33], v[36:37]
	s_mov_b32 s40, exec_lo
	s_delay_alu instid0(VALU_DEP_1)
	v_cmpx_lt_u64_e64 v[8:9], v[32:33]
	s_cbranch_execz .LBB6_997
; %bb.989:                              ;   in Loop: Header=BB6_955 Depth=2
	s_mov_b32 s41, 0
	s_mov_b32 s72, 0
                                        ; implicit-def: $sgpr62
                                        ; implicit-def: $sgpr63
	s_branch .LBB6_991
.LBB6_990:                              ;   in Loop: Header=BB6_991 Depth=3
	s_or_b32 exec_lo, exec_lo, s74
	s_delay_alu instid0(SALU_CYCLE_1) | instskip(NEXT) | instid1(SALU_CYCLE_1)
	s_and_b32 s73, exec_lo, s75
	s_or_b32 s41, s73, s41
	s_and_not1_b32 s62, s62, exec_lo
	s_and_b32 s73, s63, exec_lo
	s_delay_alu instid0(SALU_CYCLE_1)
	s_or_b32 s62, s62, s73
	s_and_not1_b32 exec_lo, exec_lo, s41
	s_cbranch_execz .LBB6_995
.LBB6_991:                              ;   Parent Loop BB6_47 Depth=1
                                        ;     Parent Loop BB6_955 Depth=2
                                        ; =>    This Inner Loop Header: Depth=3
	s_add_co_i32 s72, s72, 1
	s_delay_alu instid0(SALU_CYCLE_1) | instskip(SKIP_1) | instid1(SALU_CYCLE_1)
	s_cmp_lg_u32 s72, 0x2710
	s_cselect_b32 s73, -1, 0
	s_and_b32 vcc_lo, exec_lo, s73
	s_cbranch_vccz .LBB6_993
; %bb.992:                              ;   in Loop: Header=BB6_991 Depth=3
	s_mov_b32 s75, -1
	s_or_b32 s63, s63, exec_lo
	s_and_saveexec_b32 s74, s73
	s_cbranch_execz .LBB6_990
	s_branch .LBB6_994
.LBB6_993:                              ;   in Loop: Header=BB6_991 Depth=3
	s_trap 2
	ds_load_b64 v[8:9], v0
	s_and_not1_b32 s73, s73, exec_lo
	s_mov_b32 s72, 0
	s_wait_loadcnt_dscnt 0x0
	flat_load_b32 v2, v[8:9] scope:SCOPE_SYS
	s_wait_loadcnt_dscnt 0x0
	global_inv scope:SCOPE_SYS
	v_cmp_eq_u32_e32 vcc_lo, 0, v2
	s_and_b32 s74, vcc_lo, exec_lo
	s_delay_alu instid0(SALU_CYCLE_1)
	s_or_b32 s73, s73, s74
	s_mov_b32 s75, -1
	s_or_b32 s63, s63, exec_lo
	s_and_saveexec_b32 s74, s73
	s_cbranch_execz .LBB6_990
.LBB6_994:                              ;   in Loop: Header=BB6_991 Depth=3
	s_sleep 1
	s_trap 2
	ds_load_b64 v[8:9], v0
	s_wait_dscnt 0x0
	s_and_not1_b32 s63, s63, exec_lo
	v_cmp_ge_u64_e32 vcc_lo, v[8:9], v[32:33]
	s_or_not1_b32 s75, vcc_lo, exec_lo
	s_branch .LBB6_990
.LBB6_995:                              ;   in Loop: Header=BB6_955 Depth=2
	s_or_b32 exec_lo, exec_lo, s41
	s_and_saveexec_b32 s41, s62
	s_delay_alu instid0(SALU_CYCLE_1)
	s_xor_b32 s41, exec_lo, s41
	s_cbranch_execz .LBB6_997
; %bb.996:                              ;   in Loop: Header=BB6_955 Depth=2
	ds_store_b32 v0, v63
	s_trap 2
.LBB6_997:                              ;   in Loop: Header=BB6_955 Depth=2
	s_or_b32 exec_lo, exec_lo, s40
	;;#ASMSTART
	s_wakeup
	;;#ASMEND
.LBB6_998:                              ;   in Loop: Header=BB6_955 Depth=2
	s_or_b32 exec_lo, exec_lo, s15
.LBB6_999:                              ;   in Loop: Header=BB6_955 Depth=2
	s_and_not1_saveexec_b32 s14, s14
	s_cbranch_execz .LBB6_1001
; %bb.1000:                             ;   in Loop: Header=BB6_955 Depth=2
	global_wb scope:SCOPE_DEV
	s_wait_storecnt 0x0
	s_wait_loadcnt_dscnt 0x0
	global_inv scope:SCOPE_DEV
	s_barrier_signal -1
	s_barrier_wait -1
.LBB6_1001:                             ;   in Loop: Header=BB6_955 Depth=2
	s_or_b32 exec_lo, exec_lo, s14
.LBB6_1002:                             ;   in Loop: Header=BB6_955 Depth=2
	s_delay_alu instid0(SALU_CYCLE_1) | instskip(SKIP_4) | instid1(VALU_DEP_1)
	s_or_b32 exec_lo, exec_lo, s13
	s_trap 2
	ds_load_b32 v8, v0
	v_and_b32_e32 v2, 0x4000, v30
	s_xor_b32 s13, s1, -1
	v_cmp_ne_u32_e32 vcc_lo, 0, v2
	s_and_b32 s14, s13, vcc_lo
	s_delay_alu instid0(SALU_CYCLE_1)
	s_and_saveexec_b32 s13, s14
	s_cbranch_execz .LBB6_1021
; %bb.1003:                             ;   in Loop: Header=BB6_955 Depth=2
	s_and_saveexec_b32 s14, s3
	s_delay_alu instid0(SALU_CYCLE_1)
	s_xor_b32 s14, exec_lo, s14
	s_cbranch_execz .LBB6_1018
; %bb.1004:                             ;   in Loop: Header=BB6_955 Depth=2
	s_and_saveexec_b32 s15, s6
	s_cbranch_execz .LBB6_1017
; %bb.1005:                             ;   in Loop: Header=BB6_955 Depth=2
	s_mov_b32 s41, exec_lo
	s_mov_b32 s40, exec_lo
	v_mbcnt_lo_u32_b32 v2, s41, 0
	global_wb scope:SCOPE_DEV
	s_wait_storecnt 0x0
	s_wait_loadcnt_dscnt 0x0
	global_inv scope:SCOPE_DEV
	v_cmpx_eq_u32_e32 0, v2
	s_cbranch_execz .LBB6_1007
; %bb.1006:                             ;   in Loop: Header=BB6_955 Depth=2
	s_bcnt1_i32_b32 s41, s41
	s_delay_alu instid0(SALU_CYCLE_1)
	v_mov_b32_e32 v2, s41
	s_wait_loadcnt 0x0
	ds_add_u64 v0, v[2:3]
	s_trap 2
.LBB6_1007:                             ;   in Loop: Header=BB6_955 Depth=2
	s_or_b32 exec_lo, exec_lo, s40
	s_trap 2
	ds_load_b64 v[10:11], v0
	s_wait_dscnt 0x0
	v_add_nc_u64_e32 v[32:33], v[32:33], v[36:37]
	s_mov_b32 s40, exec_lo
	s_delay_alu instid0(VALU_DEP_1)
	v_cmpx_lt_u64_e64 v[10:11], v[32:33]
	s_cbranch_execz .LBB6_1016
; %bb.1008:                             ;   in Loop: Header=BB6_955 Depth=2
	s_mov_b32 s41, 0
	s_mov_b32 s72, 0
                                        ; implicit-def: $sgpr62
                                        ; implicit-def: $sgpr63
	s_branch .LBB6_1010
.LBB6_1009:                             ;   in Loop: Header=BB6_1010 Depth=3
	s_or_b32 exec_lo, exec_lo, s74
	s_delay_alu instid0(SALU_CYCLE_1) | instskip(NEXT) | instid1(SALU_CYCLE_1)
	s_and_b32 s73, exec_lo, s75
	s_or_b32 s41, s73, s41
	s_and_not1_b32 s62, s62, exec_lo
	s_and_b32 s73, s63, exec_lo
	s_delay_alu instid0(SALU_CYCLE_1)
	s_or_b32 s62, s62, s73
	s_and_not1_b32 exec_lo, exec_lo, s41
	s_cbranch_execz .LBB6_1014
.LBB6_1010:                             ;   Parent Loop BB6_47 Depth=1
                                        ;     Parent Loop BB6_955 Depth=2
                                        ; =>    This Inner Loop Header: Depth=3
	s_add_co_i32 s72, s72, 1
	s_delay_alu instid0(SALU_CYCLE_1) | instskip(SKIP_1) | instid1(SALU_CYCLE_1)
	s_cmp_lg_u32 s72, 0x2710
	s_cselect_b32 s73, -1, 0
	s_and_b32 vcc_lo, exec_lo, s73
	s_cbranch_vccz .LBB6_1012
; %bb.1011:                             ;   in Loop: Header=BB6_1010 Depth=3
	s_mov_b32 s75, -1
	s_or_b32 s63, s63, exec_lo
	s_and_saveexec_b32 s74, s73
	s_cbranch_execz .LBB6_1009
	s_branch .LBB6_1013
.LBB6_1012:                             ;   in Loop: Header=BB6_1010 Depth=3
	s_trap 2
	ds_load_b64 v[10:11], v0
	s_and_not1_b32 s73, s73, exec_lo
	s_mov_b32 s72, 0
	s_wait_loadcnt_dscnt 0x0
	flat_load_b32 v2, v[10:11] scope:SCOPE_SYS
	s_wait_loadcnt_dscnt 0x0
	global_inv scope:SCOPE_SYS
	v_cmp_eq_u32_e32 vcc_lo, 0, v2
	s_and_b32 s74, vcc_lo, exec_lo
	s_delay_alu instid0(SALU_CYCLE_1)
	s_or_b32 s73, s73, s74
	s_mov_b32 s75, -1
	s_or_b32 s63, s63, exec_lo
	s_and_saveexec_b32 s74, s73
	s_cbranch_execz .LBB6_1009
.LBB6_1013:                             ;   in Loop: Header=BB6_1010 Depth=3
	s_sleep 1
	s_trap 2
	ds_load_b64 v[10:11], v0
	s_wait_dscnt 0x0
	s_and_not1_b32 s63, s63, exec_lo
	v_cmp_ge_u64_e32 vcc_lo, v[10:11], v[32:33]
	s_or_not1_b32 s75, vcc_lo, exec_lo
	s_branch .LBB6_1009
.LBB6_1014:                             ;   in Loop: Header=BB6_955 Depth=2
	s_or_b32 exec_lo, exec_lo, s41
	s_and_saveexec_b32 s41, s62
	s_delay_alu instid0(SALU_CYCLE_1)
	s_xor_b32 s41, exec_lo, s41
	s_cbranch_execz .LBB6_1016
; %bb.1015:                             ;   in Loop: Header=BB6_955 Depth=2
	ds_store_b32 v0, v63
	s_trap 2
.LBB6_1016:                             ;   in Loop: Header=BB6_955 Depth=2
	s_or_b32 exec_lo, exec_lo, s40
	;;#ASMSTART
	s_wakeup
	;;#ASMEND
.LBB6_1017:                             ;   in Loop: Header=BB6_955 Depth=2
	s_or_b32 exec_lo, exec_lo, s15
.LBB6_1018:                             ;   in Loop: Header=BB6_955 Depth=2
	s_and_not1_saveexec_b32 s14, s14
	s_cbranch_execz .LBB6_1020
; %bb.1019:                             ;   in Loop: Header=BB6_955 Depth=2
	global_wb scope:SCOPE_DEV
	s_wait_storecnt 0x0
	s_wait_loadcnt_dscnt 0x0
	global_inv scope:SCOPE_DEV
	s_barrier_signal -1
	s_barrier_wait -1
.LBB6_1020:                             ;   in Loop: Header=BB6_955 Depth=2
	s_or_b32 exec_lo, exec_lo, s14
.LBB6_1021:                             ;   in Loop: Header=BB6_955 Depth=2
	s_delay_alu instid0(SALU_CYCLE_1)
	s_or_b32 exec_lo, exec_lo, s13
	s_trap 2
	ds_load_b64 v[118:119], v0
	s_wait_dscnt 0x0
	v_cmp_eq_u64_e32 vcc_lo, 0, v[118:119]
	s_cbranch_vccnz .LBB6_1030
; %bb.1022:                             ;   in Loop: Header=BB6_955 Depth=2
	s_trap 2
	ds_load_b64 v[40:41], v0
	s_wait_dscnt 0x0
	v_cmp_eq_u64_e32 vcc_lo, 0, v[40:41]
	s_cbranch_vccnz .LBB6_1030
; %bb.1023:                             ;   in Loop: Header=BB6_955 Depth=2
	s_trap 2
	ds_load_b64 v[42:43], v0
	v_cmp_eq_u32_e32 vcc_lo, 0, v8
	s_mov_b32 s13, -1
	v_cndmask_b32_e32 v2, 0, v112, vcc_lo
	s_delay_alu instid0(VALU_DEP_1)
	v_lshlrev_b32_e32 v113, 1, v2
	s_wait_dscnt 0x0
	v_cmp_ne_u64_e32 vcc_lo, 0, v[42:43]
	s_cbranch_vccz .LBB6_1323
; %bb.1024:                             ;   in Loop: Header=BB6_955 Depth=2
	s_and_saveexec_b32 s14, s11
	s_cbranch_execz .LBB6_1026
; %bb.1025:                             ;   in Loop: Header=BB6_955 Depth=2
	ds_load_b32 v8, v0 offset:720
	s_wait_dscnt 0x0
	v_and_b32_e32 v8, 15, v8
	s_delay_alu instid0(VALU_DEP_1)
	v_cmp_eq_u32_e32 vcc_lo, 0, v8
	s_or_not1_b32 s13, vcc_lo, exec_lo
.LBB6_1026:                             ;   in Loop: Header=BB6_955 Depth=2
	s_or_b32 exec_lo, exec_lo, s14
	s_and_saveexec_b32 s14, s11
	s_cbranch_execz .LBB6_1028
; %bb.1027:                             ;   in Loop: Header=BB6_955 Depth=2
	ds_load_b32 v8, v0 offset:784
	s_wait_dscnt 0x0
	v_and_b32_e32 v8, 15, v8
	s_delay_alu instid0(VALU_DEP_1) | instskip(SKIP_3) | instid1(SALU_CYCLE_1)
	v_cmp_eq_u32_e32 vcc_lo, 0, v8
	s_and_b32 s15, s13, vcc_lo
	s_and_not1_b32 s13, s13, exec_lo
	s_and_b32 s15, s15, exec_lo
	s_or_b32 s13, s13, s15
.LBB6_1028:                             ;   in Loop: Header=BB6_955 Depth=2
	s_or_b32 exec_lo, exec_lo, s14
	s_xor_b32 s13, s13, -1
	v_dual_mov_b32 v44, 0 :: v_dual_mov_b32 v45, v113
	v_cndmask_b32_e64 v8, 0, 1, s13
	v_mov_b32_e32 v46, v0
	s_mov_b32 s13, -1
	s_delay_alu instid0(VALU_DEP_2)
	v_cmp_ne_u32_e32 vcc_lo, 0, v8
	s_cbranch_vccz .LBB6_1035
; %bb.1029:                             ;   in Loop: Header=BB6_955 Depth=2
	s_and_saveexec_b32 s15, s13
	s_cbranch_execnz .LBB6_1240
	s_branch .LBB6_1322
.LBB6_1030:                             ;   in Loop: Header=BB6_955 Depth=2
	s_mov_b32 s13, 0
	s_and_saveexec_b32 s14, s2
	s_cbranch_execnz .LBB6_1615
.LBB6_1031:                             ;   in Loop: Header=BB6_955 Depth=2
	s_or_b32 exec_lo, exec_lo, s14
                                        ; implicit-def: $vgpr2
	s_and_saveexec_b32 s14, s12
	s_delay_alu instid0(SALU_CYCLE_1)
	s_xor_b32 s14, exec_lo, s14
	s_cbranch_execz .LBB6_1633
.LBB6_1032:                             ;   in Loop: Header=BB6_955 Depth=2
	v_and_b32_e32 v2, 16, v30
	s_delay_alu instid0(VALU_DEP_1) | instskip(SKIP_2) | instid1(SALU_CYCLE_1)
	v_cmp_ne_u32_e32 vcc_lo, 0, v2
	v_and_b32_e32 v2, 16, v30
	s_and_b32 s15, vcc_lo, s13
	s_and_saveexec_b32 s13, s15
	s_cbranch_execz .LBB6_1034
; %bb.1033:                             ;   in Loop: Header=BB6_955 Depth=2
	v_mov_b32_e32 v2, 1
	global_wb scope:SCOPE_SYS
	s_wait_storecnt 0x0
	s_wait_loadcnt_dscnt 0x0
	global_inv scope:SCOPE_SYS
.LBB6_1034:                             ;   in Loop: Header=BB6_955 Depth=2
	s_or_b32 exec_lo, exec_lo, s13
	s_and_not1_saveexec_b32 s13, s14
	s_cbranch_execz .LBB6_1652
	s_branch .LBB6_1634
.LBB6_1035:                             ;   in Loop: Header=BB6_955 Depth=2
	v_ashrrev_i32_e32 v8, 31, v113
	s_mov_b32 s13, exec_lo
	s_delay_alu instid0(VALU_DEP_1) | instskip(NEXT) | instid1(VALU_DEP_1)
	v_lshrrev_b32_e32 v8, 22, v8
	v_add_nc_u32_e32 v8, v113, v8
	s_delay_alu instid0(VALU_DEP_1) | instskip(NEXT) | instid1(VALU_DEP_1)
	v_ashrrev_i32_e32 v75, 10, v8
	v_sub_nc_u32_e32 v115, v75, v62
	s_delay_alu instid0(VALU_DEP_1)
	v_cmpx_lt_i32_e32 0, v115
	s_cbranch_execz .LBB6_1167
; %bb.1036:                             ;   in Loop: Header=BB6_955 Depth=2
	s_trap 2
	ds_load_b64 v[8:9], v0
	ds_load_b32 v10, v0
	v_add_nc_u64_e32 v[44:45], v[40:41], v[66:67]
	v_add_nc_u64_e32 v[46:47], v[42:43], v[66:67]
	;; [unrolled: 1-line block ×3, first 2 shown]
	s_mov_b32 s14, 0
	s_wait_dscnt 0x1
	v_add_nc_u64_e32 v[58:59], v[8:9], v[66:67]
	s_wait_dscnt 0x0
	v_lshlrev_b32_e32 v76, 16, v10
	s_branch .LBB6_1038
.LBB6_1037:                             ;   in Loop: Header=BB6_1038 Depth=3
	s_or_b32 exec_lo, exec_lo, s15
	v_dual_lshrrev_b32 v77, 16, v107 :: v_dual_lshrrev_b32 v79, 16, v88
	v_lshrrev_b32_e32 v88, 16, v105
	v_dual_lshrrev_b32 v89, 16, v89 :: v_dual_lshrrev_b32 v78, 16, v78
	s_delay_alu instid0(VALU_DEP_3) | instskip(SKIP_4) | instid1(VALU_DEP_4)
	v_and_or_b32 v13, 0xffff0000, v13, v77
	v_lshrrev_b32_e32 v77, 16, v95
	v_and_or_b32 v12, 0xffff0000, v12, v79
	v_and_or_b32 v14, 0xffff0000, v14, v88
	v_dual_lshrrev_b32 v79, 16, v91 :: v_dual_lshrrev_b32 v88, 16, v93
	v_and_or_b32 v15, 0xffff0000, v15, v77
	v_sub_nc_u32_e32 v115, v115, v36
	v_and_or_b32 v10, 0xffff0000, v10, v89
	s_delay_alu instid0(VALU_DEP_4)
	v_and_or_b32 v9, 0xffff0000, v9, v79
	v_and_or_b32 v8, 0xffff0000, v8, v88
	;; [unrolled: 1-line block ×3, first 2 shown]
	s_clause 0x1
	global_store_b128 v[44:45], v[12:15], off th:TH_STORE_NT
	global_store_b128 v[44:45], v[8:11], off offset:512 th:TH_STORE_NT
	s_clause 0x1
	global_store_b128 v[46:47], v[12:15], off th:TH_STORE_NT
	global_store_b128 v[46:47], v[8:11], off offset:512 th:TH_STORE_NT
	v_add_nc_u64_e32 v[56:57], v[56:57], v[68:69]
	v_add_nc_u64_e32 v[58:59], v[58:59], v[68:69]
	s_wait_xcnt 0x2
	v_add_nc_u64_e32 v[44:45], v[44:45], v[68:69]
	v_cmp_gt_i32_e32 vcc_lo, 1, v115
	s_wait_xcnt 0x0
	v_add_nc_u64_e32 v[46:47], v[46:47], v[68:69]
	s_or_b32 s14, vcc_lo, s14
	s_delay_alu instid0(SALU_CYCLE_1)
	s_and_not1_b32 exec_lo, exec_lo, s14
	s_cbranch_execz .LBB6_1166
.LBB6_1038:                             ;   Parent Loop BB6_47 Depth=1
                                        ;     Parent Loop BB6_955 Depth=2
                                        ; =>    This Inner Loop Header: Depth=3
	global_load_b128 v[8:11], v[56:57], off th:TH_LOAD_NT
	s_mov_b32 s15, exec_lo
                                        ; implicit-def: $vgpr88
	s_wait_loadcnt 0x0
	v_lshlrev_b32_e32 v12, 16, v8
	s_delay_alu instid0(VALU_DEP_1) | instskip(NEXT) | instid1(VALU_DEP_1)
	v_mul_f32_e32 v12, v76, v12
	v_and_b32_e32 v13, 0x7f800000, v12
	s_wait_xcnt 0x0
	s_delay_alu instid0(VALU_DEP_1)
	v_cmpx_ne_u32_e32 0x7f800000, v13
	s_xor_b32 s15, exec_lo, s15
; %bb.1039:                             ;   in Loop: Header=BB6_1038 Depth=3
	v_bfe_u32 v13, v12, 16, 1
	s_delay_alu instid0(VALU_DEP_1)
	v_add3_u32 v88, v12, v13, 0x7fff
                                        ; implicit-def: $vgpr12
; %bb.1040:                             ;   in Loop: Header=BB6_1038 Depth=3
	s_and_not1_saveexec_b32 s15, s15
; %bb.1041:                             ;   in Loop: Header=BB6_1038 Depth=3
	v_and_b32_e32 v13, 0xffff, v12
	v_or_b32_e32 v14, 0x10000, v12
	s_delay_alu instid0(VALU_DEP_2) | instskip(NEXT) | instid1(VALU_DEP_2)
	v_cmp_eq_u32_e32 vcc_lo, 0, v13
	v_cndmask_b32_e32 v88, v14, v12, vcc_lo
; %bb.1042:                             ;   in Loop: Header=BB6_1038 Depth=3
	s_or_b32 exec_lo, exec_lo, s15
	v_and_b32_e32 v8, 0xffff0000, v8
	s_mov_b32 s15, exec_lo
                                        ; implicit-def: $vgpr107
	s_delay_alu instid0(VALU_DEP_1) | instskip(NEXT) | instid1(VALU_DEP_1)
	v_mul_f32_e32 v8, v76, v8
	v_and_b32_e32 v12, 0x7f800000, v8
	s_delay_alu instid0(VALU_DEP_1)
	v_cmpx_ne_u32_e32 0x7f800000, v12
	s_xor_b32 s15, exec_lo, s15
; %bb.1043:                             ;   in Loop: Header=BB6_1038 Depth=3
	v_bfe_u32 v12, v8, 16, 1
	s_delay_alu instid0(VALU_DEP_1)
	v_add3_u32 v107, v8, v12, 0x7fff
                                        ; implicit-def: $vgpr8
; %bb.1044:                             ;   in Loop: Header=BB6_1038 Depth=3
	s_and_not1_saveexec_b32 s15, s15
; %bb.1045:                             ;   in Loop: Header=BB6_1038 Depth=3
	v_and_b32_e32 v12, 0xffff, v8
	v_or_b32_e32 v13, 0x10000, v8
	s_delay_alu instid0(VALU_DEP_2) | instskip(NEXT) | instid1(VALU_DEP_2)
	v_cmp_eq_u32_e32 vcc_lo, 0, v12
	v_cndmask_b32_e32 v107, v13, v8, vcc_lo
; %bb.1046:                             ;   in Loop: Header=BB6_1038 Depth=3
	s_or_b32 exec_lo, exec_lo, s15
	v_lshlrev_b32_e32 v8, 16, v9
	s_mov_b32 s15, exec_lo
                                        ; implicit-def: $vgpr108
	s_delay_alu instid0(VALU_DEP_1) | instskip(NEXT) | instid1(VALU_DEP_1)
	v_mul_f32_e32 v8, v76, v8
	v_and_b32_e32 v12, 0x7f800000, v8
	s_delay_alu instid0(VALU_DEP_1)
	v_cmpx_ne_u32_e32 0x7f800000, v12
	s_xor_b32 s15, exec_lo, s15
; %bb.1047:                             ;   in Loop: Header=BB6_1038 Depth=3
	v_bfe_u32 v12, v8, 16, 1
	s_delay_alu instid0(VALU_DEP_1)
	v_add3_u32 v108, v8, v12, 0x7fff
                                        ; implicit-def: $vgpr8
; %bb.1048:                             ;   in Loop: Header=BB6_1038 Depth=3
	s_and_not1_saveexec_b32 s15, s15
; %bb.1049:                             ;   in Loop: Header=BB6_1038 Depth=3
	v_and_b32_e32 v12, 0xffff, v8
	v_or_b32_e32 v13, 0x10000, v8
	s_delay_alu instid0(VALU_DEP_2) | instskip(NEXT) | instid1(VALU_DEP_2)
	v_cmp_eq_u32_e32 vcc_lo, 0, v12
	v_cndmask_b32_e32 v108, v13, v8, vcc_lo
; %bb.1050:                             ;   in Loop: Header=BB6_1038 Depth=3
	s_or_b32 exec_lo, exec_lo, s15
	v_and_b32_e32 v8, 0xffff0000, v9
	s_mov_b32 s15, exec_lo
                                        ; implicit-def: $vgpr105
	s_delay_alu instid0(VALU_DEP_1) | instskip(NEXT) | instid1(VALU_DEP_1)
	v_mul_f32_e32 v8, v76, v8
	v_and_b32_e32 v9, 0x7f800000, v8
	s_delay_alu instid0(VALU_DEP_1)
	v_cmpx_ne_u32_e32 0x7f800000, v9
	s_xor_b32 s15, exec_lo, s15
; %bb.1051:                             ;   in Loop: Header=BB6_1038 Depth=3
	v_bfe_u32 v9, v8, 16, 1
	s_delay_alu instid0(VALU_DEP_1)
	v_add3_u32 v105, v8, v9, 0x7fff
                                        ; implicit-def: $vgpr8
; %bb.1052:                             ;   in Loop: Header=BB6_1038 Depth=3
	s_and_not1_saveexec_b32 s15, s15
; %bb.1053:                             ;   in Loop: Header=BB6_1038 Depth=3
	v_and_b32_e32 v9, 0xffff, v8
	v_or_b32_e32 v12, 0x10000, v8
	s_delay_alu instid0(VALU_DEP_2) | instskip(NEXT) | instid1(VALU_DEP_2)
	v_cmp_eq_u32_e32 vcc_lo, 0, v9
	v_cndmask_b32_e32 v105, v12, v8, vcc_lo
; %bb.1054:                             ;   in Loop: Header=BB6_1038 Depth=3
	s_or_b32 exec_lo, exec_lo, s15
	v_lshlrev_b32_e32 v8, 16, v10
	s_mov_b32 s15, exec_lo
                                        ; implicit-def: $vgpr106
	s_delay_alu instid0(VALU_DEP_1) | instskip(NEXT) | instid1(VALU_DEP_1)
	v_mul_f32_e32 v8, v76, v8
	v_and_b32_e32 v9, 0x7f800000, v8
	s_delay_alu instid0(VALU_DEP_1)
	v_cmpx_ne_u32_e32 0x7f800000, v9
	s_xor_b32 s15, exec_lo, s15
; %bb.1055:                             ;   in Loop: Header=BB6_1038 Depth=3
	v_bfe_u32 v9, v8, 16, 1
	s_delay_alu instid0(VALU_DEP_1)
	v_add3_u32 v106, v8, v9, 0x7fff
                                        ; implicit-def: $vgpr8
; %bb.1056:                             ;   in Loop: Header=BB6_1038 Depth=3
	s_and_not1_saveexec_b32 s15, s15
; %bb.1057:                             ;   in Loop: Header=BB6_1038 Depth=3
	v_and_b32_e32 v9, 0xffff, v8
	v_or_b32_e32 v12, 0x10000, v8
	s_delay_alu instid0(VALU_DEP_2) | instskip(NEXT) | instid1(VALU_DEP_2)
	v_cmp_eq_u32_e32 vcc_lo, 0, v9
	v_cndmask_b32_e32 v106, v12, v8, vcc_lo
; %bb.1058:                             ;   in Loop: Header=BB6_1038 Depth=3
	s_or_b32 exec_lo, exec_lo, s15
	v_and_b32_e32 v8, 0xffff0000, v10
	s_mov_b32 s15, exec_lo
                                        ; implicit-def: $vgpr95
	s_delay_alu instid0(VALU_DEP_1) | instskip(NEXT) | instid1(VALU_DEP_1)
	v_mul_f32_e32 v8, v76, v8
	v_and_b32_e32 v9, 0x7f800000, v8
	s_delay_alu instid0(VALU_DEP_1)
	v_cmpx_ne_u32_e32 0x7f800000, v9
	s_xor_b32 s15, exec_lo, s15
; %bb.1059:                             ;   in Loop: Header=BB6_1038 Depth=3
	v_bfe_u32 v9, v8, 16, 1
	s_delay_alu instid0(VALU_DEP_1)
	v_add3_u32 v95, v8, v9, 0x7fff
                                        ; implicit-def: $vgpr8
; %bb.1060:                             ;   in Loop: Header=BB6_1038 Depth=3
	s_and_not1_saveexec_b32 s15, s15
; %bb.1061:                             ;   in Loop: Header=BB6_1038 Depth=3
	v_and_b32_e32 v9, 0xffff, v8
	v_or_b32_e32 v10, 0x10000, v8
	s_delay_alu instid0(VALU_DEP_2) | instskip(NEXT) | instid1(VALU_DEP_2)
	v_cmp_eq_u32_e32 vcc_lo, 0, v9
	v_cndmask_b32_e32 v95, v10, v8, vcc_lo
; %bb.1062:                             ;   in Loop: Header=BB6_1038 Depth=3
	s_or_b32 exec_lo, exec_lo, s15
	v_lshlrev_b32_e32 v8, 16, v11
	s_mov_b32 s15, exec_lo
                                        ; implicit-def: $vgpr104
	s_delay_alu instid0(VALU_DEP_1) | instskip(NEXT) | instid1(VALU_DEP_1)
	v_mul_f32_e32 v8, v76, v8
	v_and_b32_e32 v9, 0x7f800000, v8
	s_delay_alu instid0(VALU_DEP_1)
	v_cmpx_ne_u32_e32 0x7f800000, v9
	s_xor_b32 s15, exec_lo, s15
; %bb.1063:                             ;   in Loop: Header=BB6_1038 Depth=3
	v_bfe_u32 v9, v8, 16, 1
	s_delay_alu instid0(VALU_DEP_1)
	v_add3_u32 v104, v8, v9, 0x7fff
                                        ; implicit-def: $vgpr8
; %bb.1064:                             ;   in Loop: Header=BB6_1038 Depth=3
	s_and_not1_saveexec_b32 s15, s15
; %bb.1065:                             ;   in Loop: Header=BB6_1038 Depth=3
	v_and_b32_e32 v9, 0xffff, v8
	v_or_b32_e32 v10, 0x10000, v8
	s_delay_alu instid0(VALU_DEP_2) | instskip(NEXT) | instid1(VALU_DEP_2)
	v_cmp_eq_u32_e32 vcc_lo, 0, v9
	v_cndmask_b32_e32 v104, v10, v8, vcc_lo
; %bb.1066:                             ;   in Loop: Header=BB6_1038 Depth=3
	s_or_b32 exec_lo, exec_lo, s15
	v_and_b32_e32 v8, 0xffff0000, v11
	s_mov_b32 s15, exec_lo
                                        ; implicit-def: $vgpr93
	s_delay_alu instid0(VALU_DEP_1) | instskip(NEXT) | instid1(VALU_DEP_1)
	v_mul_f32_e32 v8, v76, v8
	v_and_b32_e32 v9, 0x7f800000, v8
	s_delay_alu instid0(VALU_DEP_1)
	v_cmpx_ne_u32_e32 0x7f800000, v9
	s_xor_b32 s15, exec_lo, s15
; %bb.1067:                             ;   in Loop: Header=BB6_1038 Depth=3
	v_bfe_u32 v9, v8, 16, 1
	s_delay_alu instid0(VALU_DEP_1)
	v_add3_u32 v93, v8, v9, 0x7fff
                                        ; implicit-def: $vgpr8
; %bb.1068:                             ;   in Loop: Header=BB6_1038 Depth=3
	s_and_not1_saveexec_b32 s15, s15
; %bb.1069:                             ;   in Loop: Header=BB6_1038 Depth=3
	v_and_b32_e32 v9, 0xffff, v8
	v_or_b32_e32 v10, 0x10000, v8
	s_delay_alu instid0(VALU_DEP_2) | instskip(NEXT) | instid1(VALU_DEP_2)
	v_cmp_eq_u32_e32 vcc_lo, 0, v9
	v_cndmask_b32_e32 v93, v10, v8, vcc_lo
; %bb.1070:                             ;   in Loop: Header=BB6_1038 Depth=3
	s_or_b32 exec_lo, exec_lo, s15
	global_load_b128 v[8:11], v[56:57], off offset:512 th:TH_LOAD_NT
	s_mov_b32 s15, exec_lo
                                        ; implicit-def: $vgpr94
	s_wait_loadcnt 0x0
	v_lshlrev_b32_e32 v12, 16, v8
	s_delay_alu instid0(VALU_DEP_1) | instskip(NEXT) | instid1(VALU_DEP_1)
	v_mul_f32_e32 v12, v76, v12
	v_and_b32_e32 v13, 0x7f800000, v12
	s_wait_xcnt 0x0
	s_delay_alu instid0(VALU_DEP_1)
	v_cmpx_ne_u32_e32 0x7f800000, v13
	s_xor_b32 s15, exec_lo, s15
; %bb.1071:                             ;   in Loop: Header=BB6_1038 Depth=3
	v_bfe_u32 v13, v12, 16, 1
	s_delay_alu instid0(VALU_DEP_1)
	v_add3_u32 v94, v12, v13, 0x7fff
                                        ; implicit-def: $vgpr12
; %bb.1072:                             ;   in Loop: Header=BB6_1038 Depth=3
	s_and_not1_saveexec_b32 s15, s15
; %bb.1073:                             ;   in Loop: Header=BB6_1038 Depth=3
	v_and_b32_e32 v13, 0xffff, v12
	v_or_b32_e32 v14, 0x10000, v12
	s_delay_alu instid0(VALU_DEP_2) | instskip(NEXT) | instid1(VALU_DEP_2)
	v_cmp_eq_u32_e32 vcc_lo, 0, v13
	v_cndmask_b32_e32 v94, v14, v12, vcc_lo
; %bb.1074:                             ;   in Loop: Header=BB6_1038 Depth=3
	s_or_b32 exec_lo, exec_lo, s15
	v_and_b32_e32 v8, 0xffff0000, v8
	s_mov_b32 s15, exec_lo
                                        ; implicit-def: $vgpr91
	s_delay_alu instid0(VALU_DEP_1) | instskip(NEXT) | instid1(VALU_DEP_1)
	v_mul_f32_e32 v8, v76, v8
	v_and_b32_e32 v12, 0x7f800000, v8
	s_delay_alu instid0(VALU_DEP_1)
	v_cmpx_ne_u32_e32 0x7f800000, v12
	s_xor_b32 s15, exec_lo, s15
; %bb.1075:                             ;   in Loop: Header=BB6_1038 Depth=3
	v_bfe_u32 v12, v8, 16, 1
	s_delay_alu instid0(VALU_DEP_1)
	v_add3_u32 v91, v8, v12, 0x7fff
                                        ; implicit-def: $vgpr8
; %bb.1076:                             ;   in Loop: Header=BB6_1038 Depth=3
	s_and_not1_saveexec_b32 s15, s15
; %bb.1077:                             ;   in Loop: Header=BB6_1038 Depth=3
	v_and_b32_e32 v12, 0xffff, v8
	v_or_b32_e32 v13, 0x10000, v8
	s_delay_alu instid0(VALU_DEP_2) | instskip(NEXT) | instid1(VALU_DEP_2)
	v_cmp_eq_u32_e32 vcc_lo, 0, v12
	v_cndmask_b32_e32 v91, v13, v8, vcc_lo
; %bb.1078:                             ;   in Loop: Header=BB6_1038 Depth=3
	s_or_b32 exec_lo, exec_lo, s15
	v_lshlrev_b32_e32 v8, 16, v9
	s_mov_b32 s15, exec_lo
                                        ; implicit-def: $vgpr92
	s_delay_alu instid0(VALU_DEP_1) | instskip(NEXT) | instid1(VALU_DEP_1)
	v_mul_f32_e32 v8, v76, v8
	v_and_b32_e32 v12, 0x7f800000, v8
	s_delay_alu instid0(VALU_DEP_1)
	v_cmpx_ne_u32_e32 0x7f800000, v12
	s_xor_b32 s15, exec_lo, s15
; %bb.1079:                             ;   in Loop: Header=BB6_1038 Depth=3
	v_bfe_u32 v12, v8, 16, 1
	s_delay_alu instid0(VALU_DEP_1)
	v_add3_u32 v92, v8, v12, 0x7fff
                                        ; implicit-def: $vgpr8
; %bb.1080:                             ;   in Loop: Header=BB6_1038 Depth=3
	s_and_not1_saveexec_b32 s15, s15
; %bb.1081:                             ;   in Loop: Header=BB6_1038 Depth=3
	v_and_b32_e32 v12, 0xffff, v8
	v_or_b32_e32 v13, 0x10000, v8
	s_delay_alu instid0(VALU_DEP_2) | instskip(NEXT) | instid1(VALU_DEP_2)
	v_cmp_eq_u32_e32 vcc_lo, 0, v12
	v_cndmask_b32_e32 v92, v13, v8, vcc_lo
; %bb.1082:                             ;   in Loop: Header=BB6_1038 Depth=3
	s_or_b32 exec_lo, exec_lo, s15
	v_and_b32_e32 v8, 0xffff0000, v9
	s_mov_b32 s15, exec_lo
                                        ; implicit-def: $vgpr89
	s_delay_alu instid0(VALU_DEP_1) | instskip(NEXT) | instid1(VALU_DEP_1)
	v_mul_f32_e32 v8, v76, v8
	v_and_b32_e32 v9, 0x7f800000, v8
	s_delay_alu instid0(VALU_DEP_1)
	v_cmpx_ne_u32_e32 0x7f800000, v9
	s_xor_b32 s15, exec_lo, s15
; %bb.1083:                             ;   in Loop: Header=BB6_1038 Depth=3
	v_bfe_u32 v9, v8, 16, 1
	s_delay_alu instid0(VALU_DEP_1)
	v_add3_u32 v89, v8, v9, 0x7fff
                                        ; implicit-def: $vgpr8
; %bb.1084:                             ;   in Loop: Header=BB6_1038 Depth=3
	s_and_not1_saveexec_b32 s15, s15
; %bb.1085:                             ;   in Loop: Header=BB6_1038 Depth=3
	v_and_b32_e32 v9, 0xffff, v8
	v_or_b32_e32 v12, 0x10000, v8
	s_delay_alu instid0(VALU_DEP_2) | instskip(NEXT) | instid1(VALU_DEP_2)
	v_cmp_eq_u32_e32 vcc_lo, 0, v9
	v_cndmask_b32_e32 v89, v12, v8, vcc_lo
; %bb.1086:                             ;   in Loop: Header=BB6_1038 Depth=3
	s_or_b32 exec_lo, exec_lo, s15
	v_lshlrev_b32_e32 v8, 16, v10
	s_mov_b32 s15, exec_lo
                                        ; implicit-def: $vgpr90
	s_delay_alu instid0(VALU_DEP_1) | instskip(NEXT) | instid1(VALU_DEP_1)
	v_mul_f32_e32 v8, v76, v8
	v_and_b32_e32 v9, 0x7f800000, v8
	s_delay_alu instid0(VALU_DEP_1)
	v_cmpx_ne_u32_e32 0x7f800000, v9
	s_xor_b32 s15, exec_lo, s15
; %bb.1087:                             ;   in Loop: Header=BB6_1038 Depth=3
	v_bfe_u32 v9, v8, 16, 1
	s_delay_alu instid0(VALU_DEP_1)
	v_add3_u32 v90, v8, v9, 0x7fff
                                        ; implicit-def: $vgpr8
; %bb.1088:                             ;   in Loop: Header=BB6_1038 Depth=3
	s_and_not1_saveexec_b32 s15, s15
; %bb.1089:                             ;   in Loop: Header=BB6_1038 Depth=3
	v_and_b32_e32 v9, 0xffff, v8
	v_or_b32_e32 v12, 0x10000, v8
	s_delay_alu instid0(VALU_DEP_2) | instskip(NEXT) | instid1(VALU_DEP_2)
	v_cmp_eq_u32_e32 vcc_lo, 0, v9
	v_cndmask_b32_e32 v90, v12, v8, vcc_lo
; %bb.1090:                             ;   in Loop: Header=BB6_1038 Depth=3
	s_or_b32 exec_lo, exec_lo, s15
	v_and_b32_e32 v8, 0xffff0000, v10
	s_mov_b32 s15, exec_lo
                                        ; implicit-def: $vgpr78
	s_delay_alu instid0(VALU_DEP_1) | instskip(NEXT) | instid1(VALU_DEP_1)
	v_mul_f32_e32 v8, v76, v8
	v_and_b32_e32 v9, 0x7f800000, v8
	s_delay_alu instid0(VALU_DEP_1)
	v_cmpx_ne_u32_e32 0x7f800000, v9
	s_xor_b32 s15, exec_lo, s15
; %bb.1091:                             ;   in Loop: Header=BB6_1038 Depth=3
	v_bfe_u32 v9, v8, 16, 1
	s_delay_alu instid0(VALU_DEP_1)
	v_add3_u32 v78, v8, v9, 0x7fff
                                        ; implicit-def: $vgpr8
; %bb.1092:                             ;   in Loop: Header=BB6_1038 Depth=3
	s_and_not1_saveexec_b32 s15, s15
; %bb.1093:                             ;   in Loop: Header=BB6_1038 Depth=3
	v_and_b32_e32 v9, 0xffff, v8
	v_or_b32_e32 v10, 0x10000, v8
	s_delay_alu instid0(VALU_DEP_2) | instskip(NEXT) | instid1(VALU_DEP_2)
	v_cmp_eq_u32_e32 vcc_lo, 0, v9
	v_cndmask_b32_e32 v78, v10, v8, vcc_lo
; %bb.1094:                             ;   in Loop: Header=BB6_1038 Depth=3
	s_or_b32 exec_lo, exec_lo, s15
	v_lshlrev_b32_e32 v8, 16, v11
	s_mov_b32 s15, exec_lo
                                        ; implicit-def: $vgpr79
	s_delay_alu instid0(VALU_DEP_1) | instskip(NEXT) | instid1(VALU_DEP_1)
	v_mul_f32_e32 v8, v76, v8
	v_and_b32_e32 v9, 0x7f800000, v8
	s_delay_alu instid0(VALU_DEP_1)
	v_cmpx_ne_u32_e32 0x7f800000, v9
	s_xor_b32 s15, exec_lo, s15
; %bb.1095:                             ;   in Loop: Header=BB6_1038 Depth=3
	v_bfe_u32 v9, v8, 16, 1
	s_delay_alu instid0(VALU_DEP_1)
	v_add3_u32 v79, v8, v9, 0x7fff
                                        ; implicit-def: $vgpr8
; %bb.1096:                             ;   in Loop: Header=BB6_1038 Depth=3
	s_and_not1_saveexec_b32 s15, s15
; %bb.1097:                             ;   in Loop: Header=BB6_1038 Depth=3
	v_and_b32_e32 v9, 0xffff, v8
	v_or_b32_e32 v10, 0x10000, v8
	s_delay_alu instid0(VALU_DEP_2) | instskip(NEXT) | instid1(VALU_DEP_2)
	v_cmp_eq_u32_e32 vcc_lo, 0, v9
	v_cndmask_b32_e32 v79, v10, v8, vcc_lo
; %bb.1098:                             ;   in Loop: Header=BB6_1038 Depth=3
	s_or_b32 exec_lo, exec_lo, s15
	v_and_b32_e32 v8, 0xffff0000, v11
	s_mov_b32 s15, exec_lo
                                        ; implicit-def: $vgpr77
	s_delay_alu instid0(VALU_DEP_1) | instskip(NEXT) | instid1(VALU_DEP_1)
	v_mul_f32_e32 v8, v76, v8
	v_and_b32_e32 v9, 0x7f800000, v8
	s_delay_alu instid0(VALU_DEP_1)
	v_cmpx_ne_u32_e32 0x7f800000, v9
	s_xor_b32 s15, exec_lo, s15
; %bb.1099:                             ;   in Loop: Header=BB6_1038 Depth=3
	v_bfe_u32 v9, v8, 16, 1
	s_delay_alu instid0(VALU_DEP_1)
	v_add3_u32 v77, v8, v9, 0x7fff
                                        ; implicit-def: $vgpr8
; %bb.1100:                             ;   in Loop: Header=BB6_1038 Depth=3
	s_and_not1_saveexec_b32 s15, s15
; %bb.1101:                             ;   in Loop: Header=BB6_1038 Depth=3
	v_and_b32_e32 v9, 0xffff, v8
	v_or_b32_e32 v10, 0x10000, v8
	s_delay_alu instid0(VALU_DEP_2) | instskip(NEXT) | instid1(VALU_DEP_2)
	v_cmp_eq_u32_e32 vcc_lo, 0, v9
	v_cndmask_b32_e32 v77, v10, v8, vcc_lo
; %bb.1102:                             ;   in Loop: Header=BB6_1038 Depth=3
	s_or_b32 exec_lo, exec_lo, s15
	s_clause 0x1
	global_load_b128 v[12:15], v[58:59], off th:TH_LOAD_NT
	global_load_b128 v[8:11], v[58:59], off offset:512 th:TH_LOAD_NT
	v_and_b32_e32 v88, 0xffff0000, v88
	s_wait_loadcnt 0x1
	v_lshlrev_b32_e32 v109, 16, v12
	s_delay_alu instid0(VALU_DEP_1) | instskip(NEXT) | instid1(VALU_DEP_1)
	v_add_f32_e32 v109, v88, v109
	v_and_b32_e32 v88, 0x7f800000, v109
	s_delay_alu instid0(VALU_DEP_1) | instskip(SKIP_2) | instid1(SALU_CYCLE_1)
	v_cmp_ne_u32_e32 vcc_lo, 0x7f800000, v88
                                        ; implicit-def: $vgpr88
	s_wait_xcnt 0x0
	s_and_saveexec_b32 s15, vcc_lo
	s_xor_b32 s15, exec_lo, s15
; %bb.1103:                             ;   in Loop: Header=BB6_1038 Depth=3
	v_bfe_u32 v88, v109, 16, 1
	s_delay_alu instid0(VALU_DEP_1)
	v_add3_u32 v88, v109, v88, 0x7fff
                                        ; implicit-def: $vgpr109
; %bb.1104:                             ;   in Loop: Header=BB6_1038 Depth=3
	s_and_not1_saveexec_b32 s15, s15
; %bb.1105:                             ;   in Loop: Header=BB6_1038 Depth=3
	v_and_b32_e32 v88, 0xffff, v109
	v_or_b32_e32 v110, 0x10000, v109
	s_delay_alu instid0(VALU_DEP_2) | instskip(NEXT) | instid1(VALU_DEP_2)
	v_cmp_eq_u32_e32 vcc_lo, 0, v88
	v_cndmask_b32_e32 v88, v110, v109, vcc_lo
; %bb.1106:                             ;   in Loop: Header=BB6_1038 Depth=3
	s_or_b32 exec_lo, exec_lo, s15
	v_and_b32_e32 v12, 0xffff0000, v12
	v_and_b32_e32 v107, 0xffff0000, v107
	s_delay_alu instid0(VALU_DEP_1) | instskip(NEXT) | instid1(VALU_DEP_1)
	v_add_f32_e32 v107, v107, v12
	v_and_b32_e32 v12, 0x7f800000, v107
	s_delay_alu instid0(VALU_DEP_1) | instskip(SKIP_1) | instid1(SALU_CYCLE_1)
	v_cmp_ne_u32_e32 vcc_lo, 0x7f800000, v12
                                        ; implicit-def: $vgpr12
	s_and_saveexec_b32 s15, vcc_lo
	s_xor_b32 s15, exec_lo, s15
; %bb.1107:                             ;   in Loop: Header=BB6_1038 Depth=3
	v_bfe_u32 v12, v107, 16, 1
	s_delay_alu instid0(VALU_DEP_1)
	v_add3_u32 v12, v107, v12, 0x7fff
                                        ; implicit-def: $vgpr107
; %bb.1108:                             ;   in Loop: Header=BB6_1038 Depth=3
	s_and_not1_saveexec_b32 s15, s15
; %bb.1109:                             ;   in Loop: Header=BB6_1038 Depth=3
	v_and_b32_e32 v12, 0xffff, v107
	v_or_b32_e32 v109, 0x10000, v107
	s_delay_alu instid0(VALU_DEP_2) | instskip(NEXT) | instid1(VALU_DEP_2)
	v_cmp_eq_u32_e32 vcc_lo, 0, v12
	v_cndmask_b32_e32 v12, v109, v107, vcc_lo
; %bb.1110:                             ;   in Loop: Header=BB6_1038 Depth=3
	s_or_b32 exec_lo, exec_lo, s15
	v_and_b32_e32 v107, 0xffff0000, v108
	v_lshlrev_b32_e32 v108, 16, v13
	s_delay_alu instid0(VALU_DEP_1) | instskip(NEXT) | instid1(VALU_DEP_1)
	v_add_f32_e32 v108, v107, v108
	v_and_b32_e32 v107, 0x7f800000, v108
	s_delay_alu instid0(VALU_DEP_1) | instskip(SKIP_1) | instid1(SALU_CYCLE_1)
	v_cmp_ne_u32_e32 vcc_lo, 0x7f800000, v107
                                        ; implicit-def: $vgpr107
	s_and_saveexec_b32 s15, vcc_lo
	s_xor_b32 s15, exec_lo, s15
; %bb.1111:                             ;   in Loop: Header=BB6_1038 Depth=3
	v_bfe_u32 v107, v108, 16, 1
	s_delay_alu instid0(VALU_DEP_1)
	v_add3_u32 v107, v108, v107, 0x7fff
                                        ; implicit-def: $vgpr108
; %bb.1112:                             ;   in Loop: Header=BB6_1038 Depth=3
	s_and_not1_saveexec_b32 s15, s15
; %bb.1113:                             ;   in Loop: Header=BB6_1038 Depth=3
	v_and_b32_e32 v107, 0xffff, v108
	v_or_b32_e32 v109, 0x10000, v108
	s_delay_alu instid0(VALU_DEP_2) | instskip(NEXT) | instid1(VALU_DEP_2)
	v_cmp_eq_u32_e32 vcc_lo, 0, v107
	v_cndmask_b32_e32 v107, v109, v108, vcc_lo
; %bb.1114:                             ;   in Loop: Header=BB6_1038 Depth=3
	s_or_b32 exec_lo, exec_lo, s15
	v_and_b32_e32 v13, 0xffff0000, v13
	v_and_b32_e32 v105, 0xffff0000, v105
	s_delay_alu instid0(VALU_DEP_1) | instskip(NEXT) | instid1(VALU_DEP_1)
	v_add_f32_e32 v105, v105, v13
	v_and_b32_e32 v13, 0x7f800000, v105
	s_delay_alu instid0(VALU_DEP_1) | instskip(SKIP_1) | instid1(SALU_CYCLE_1)
	v_cmp_ne_u32_e32 vcc_lo, 0x7f800000, v13
                                        ; implicit-def: $vgpr13
	s_and_saveexec_b32 s15, vcc_lo
	s_xor_b32 s15, exec_lo, s15
; %bb.1115:                             ;   in Loop: Header=BB6_1038 Depth=3
	v_bfe_u32 v13, v105, 16, 1
	s_delay_alu instid0(VALU_DEP_1)
	v_add3_u32 v13, v105, v13, 0x7fff
                                        ; implicit-def: $vgpr105
; %bb.1116:                             ;   in Loop: Header=BB6_1038 Depth=3
	s_and_not1_saveexec_b32 s15, s15
; %bb.1117:                             ;   in Loop: Header=BB6_1038 Depth=3
	v_and_b32_e32 v13, 0xffff, v105
	v_or_b32_e32 v108, 0x10000, v105
	s_delay_alu instid0(VALU_DEP_2) | instskip(NEXT) | instid1(VALU_DEP_2)
	v_cmp_eq_u32_e32 vcc_lo, 0, v13
	v_cndmask_b32_e32 v13, v108, v105, vcc_lo
; %bb.1118:                             ;   in Loop: Header=BB6_1038 Depth=3
	s_or_b32 exec_lo, exec_lo, s15
	v_and_b32_e32 v105, 0xffff0000, v106
	v_lshlrev_b32_e32 v106, 16, v14
	s_delay_alu instid0(VALU_DEP_1) | instskip(NEXT) | instid1(VALU_DEP_1)
	v_add_f32_e32 v106, v105, v106
	v_and_b32_e32 v105, 0x7f800000, v106
	s_delay_alu instid0(VALU_DEP_1) | instskip(SKIP_1) | instid1(SALU_CYCLE_1)
	v_cmp_ne_u32_e32 vcc_lo, 0x7f800000, v105
                                        ; implicit-def: $vgpr105
	s_and_saveexec_b32 s15, vcc_lo
	s_xor_b32 s15, exec_lo, s15
; %bb.1119:                             ;   in Loop: Header=BB6_1038 Depth=3
	v_bfe_u32 v105, v106, 16, 1
	s_delay_alu instid0(VALU_DEP_1)
	v_add3_u32 v105, v106, v105, 0x7fff
                                        ; implicit-def: $vgpr106
; %bb.1120:                             ;   in Loop: Header=BB6_1038 Depth=3
	s_and_not1_saveexec_b32 s15, s15
; %bb.1121:                             ;   in Loop: Header=BB6_1038 Depth=3
	v_and_b32_e32 v105, 0xffff, v106
	v_or_b32_e32 v108, 0x10000, v106
	s_delay_alu instid0(VALU_DEP_2) | instskip(NEXT) | instid1(VALU_DEP_2)
	v_cmp_eq_u32_e32 vcc_lo, 0, v105
	v_cndmask_b32_e32 v105, v108, v106, vcc_lo
; %bb.1122:                             ;   in Loop: Header=BB6_1038 Depth=3
	s_or_b32 exec_lo, exec_lo, s15
	v_and_b32_e32 v14, 0xffff0000, v14
	v_and_b32_e32 v95, 0xffff0000, v95
	s_delay_alu instid0(VALU_DEP_1) | instskip(NEXT) | instid1(VALU_DEP_1)
	v_add_f32_e32 v95, v95, v14
	v_and_b32_e32 v14, 0x7f800000, v95
	s_delay_alu instid0(VALU_DEP_1) | instskip(SKIP_1) | instid1(SALU_CYCLE_1)
	v_cmp_ne_u32_e32 vcc_lo, 0x7f800000, v14
                                        ; implicit-def: $vgpr14
	s_and_saveexec_b32 s15, vcc_lo
	s_xor_b32 s15, exec_lo, s15
; %bb.1123:                             ;   in Loop: Header=BB6_1038 Depth=3
	v_bfe_u32 v14, v95, 16, 1
	s_delay_alu instid0(VALU_DEP_1)
	v_add3_u32 v14, v95, v14, 0x7fff
                                        ; implicit-def: $vgpr95
; %bb.1124:                             ;   in Loop: Header=BB6_1038 Depth=3
	s_and_not1_saveexec_b32 s15, s15
; %bb.1125:                             ;   in Loop: Header=BB6_1038 Depth=3
	v_and_b32_e32 v14, 0xffff, v95
	v_or_b32_e32 v106, 0x10000, v95
	s_delay_alu instid0(VALU_DEP_2) | instskip(NEXT) | instid1(VALU_DEP_2)
	v_cmp_eq_u32_e32 vcc_lo, 0, v14
	v_cndmask_b32_e32 v14, v106, v95, vcc_lo
; %bb.1126:                             ;   in Loop: Header=BB6_1038 Depth=3
	s_or_b32 exec_lo, exec_lo, s15
	v_and_b32_e32 v95, 0xffff0000, v104
	v_lshlrev_b32_e32 v104, 16, v15
	s_delay_alu instid0(VALU_DEP_1) | instskip(NEXT) | instid1(VALU_DEP_1)
	v_add_f32_e32 v104, v95, v104
	v_and_b32_e32 v95, 0x7f800000, v104
	s_delay_alu instid0(VALU_DEP_1) | instskip(SKIP_1) | instid1(SALU_CYCLE_1)
	v_cmp_ne_u32_e32 vcc_lo, 0x7f800000, v95
                                        ; implicit-def: $vgpr95
	s_and_saveexec_b32 s15, vcc_lo
	s_xor_b32 s15, exec_lo, s15
; %bb.1127:                             ;   in Loop: Header=BB6_1038 Depth=3
	v_bfe_u32 v95, v104, 16, 1
	s_delay_alu instid0(VALU_DEP_1)
	v_add3_u32 v95, v104, v95, 0x7fff
                                        ; implicit-def: $vgpr104
; %bb.1128:                             ;   in Loop: Header=BB6_1038 Depth=3
	s_and_not1_saveexec_b32 s15, s15
; %bb.1129:                             ;   in Loop: Header=BB6_1038 Depth=3
	v_and_b32_e32 v95, 0xffff, v104
	v_or_b32_e32 v106, 0x10000, v104
	s_delay_alu instid0(VALU_DEP_2) | instskip(NEXT) | instid1(VALU_DEP_2)
	v_cmp_eq_u32_e32 vcc_lo, 0, v95
	v_cndmask_b32_e32 v95, v106, v104, vcc_lo
; %bb.1130:                             ;   in Loop: Header=BB6_1038 Depth=3
	s_or_b32 exec_lo, exec_lo, s15
	v_and_b32_e32 v15, 0xffff0000, v15
	v_and_b32_e32 v93, 0xffff0000, v93
	s_delay_alu instid0(VALU_DEP_1) | instskip(NEXT) | instid1(VALU_DEP_1)
	v_add_f32_e32 v93, v93, v15
	v_and_b32_e32 v15, 0x7f800000, v93
	s_delay_alu instid0(VALU_DEP_1) | instskip(SKIP_1) | instid1(SALU_CYCLE_1)
	v_cmp_ne_u32_e32 vcc_lo, 0x7f800000, v15
                                        ; implicit-def: $vgpr15
	s_and_saveexec_b32 s15, vcc_lo
	s_xor_b32 s15, exec_lo, s15
; %bb.1131:                             ;   in Loop: Header=BB6_1038 Depth=3
	v_bfe_u32 v15, v93, 16, 1
	s_delay_alu instid0(VALU_DEP_1)
	v_add3_u32 v15, v93, v15, 0x7fff
                                        ; implicit-def: $vgpr93
; %bb.1132:                             ;   in Loop: Header=BB6_1038 Depth=3
	s_and_not1_saveexec_b32 s15, s15
; %bb.1133:                             ;   in Loop: Header=BB6_1038 Depth=3
	v_and_b32_e32 v15, 0xffff, v93
	v_or_b32_e32 v104, 0x10000, v93
	s_delay_alu instid0(VALU_DEP_2) | instskip(NEXT) | instid1(VALU_DEP_2)
	v_cmp_eq_u32_e32 vcc_lo, 0, v15
	v_cndmask_b32_e32 v15, v104, v93, vcc_lo
; %bb.1134:                             ;   in Loop: Header=BB6_1038 Depth=3
	s_or_b32 exec_lo, exec_lo, s15
	v_and_b32_e32 v93, 0xffff0000, v94
	s_wait_loadcnt 0x0
	v_lshlrev_b32_e32 v94, 16, v8
	s_delay_alu instid0(VALU_DEP_1) | instskip(NEXT) | instid1(VALU_DEP_1)
	v_add_f32_e32 v94, v93, v94
	v_and_b32_e32 v93, 0x7f800000, v94
	s_delay_alu instid0(VALU_DEP_1) | instskip(SKIP_1) | instid1(SALU_CYCLE_1)
	v_cmp_ne_u32_e32 vcc_lo, 0x7f800000, v93
                                        ; implicit-def: $vgpr93
	s_and_saveexec_b32 s15, vcc_lo
	s_xor_b32 s15, exec_lo, s15
; %bb.1135:                             ;   in Loop: Header=BB6_1038 Depth=3
	v_bfe_u32 v93, v94, 16, 1
	s_delay_alu instid0(VALU_DEP_1)
	v_add3_u32 v93, v94, v93, 0x7fff
                                        ; implicit-def: $vgpr94
; %bb.1136:                             ;   in Loop: Header=BB6_1038 Depth=3
	s_and_not1_saveexec_b32 s15, s15
; %bb.1137:                             ;   in Loop: Header=BB6_1038 Depth=3
	v_and_b32_e32 v93, 0xffff, v94
	v_or_b32_e32 v104, 0x10000, v94
	s_delay_alu instid0(VALU_DEP_2) | instskip(NEXT) | instid1(VALU_DEP_2)
	v_cmp_eq_u32_e32 vcc_lo, 0, v93
	v_cndmask_b32_e32 v93, v104, v94, vcc_lo
; %bb.1138:                             ;   in Loop: Header=BB6_1038 Depth=3
	s_or_b32 exec_lo, exec_lo, s15
	v_and_b32_e32 v8, 0xffff0000, v8
	v_and_b32_e32 v91, 0xffff0000, v91
	s_delay_alu instid0(VALU_DEP_1) | instskip(NEXT) | instid1(VALU_DEP_1)
	v_add_f32_e32 v91, v91, v8
	v_and_b32_e32 v8, 0x7f800000, v91
	s_delay_alu instid0(VALU_DEP_1) | instskip(SKIP_1) | instid1(SALU_CYCLE_1)
	v_cmp_ne_u32_e32 vcc_lo, 0x7f800000, v8
                                        ; implicit-def: $vgpr8
	s_and_saveexec_b32 s15, vcc_lo
	s_xor_b32 s15, exec_lo, s15
; %bb.1139:                             ;   in Loop: Header=BB6_1038 Depth=3
	v_bfe_u32 v8, v91, 16, 1
	s_delay_alu instid0(VALU_DEP_1)
	v_add3_u32 v8, v91, v8, 0x7fff
                                        ; implicit-def: $vgpr91
; %bb.1140:                             ;   in Loop: Header=BB6_1038 Depth=3
	s_and_not1_saveexec_b32 s15, s15
; %bb.1141:                             ;   in Loop: Header=BB6_1038 Depth=3
	v_and_b32_e32 v8, 0xffff, v91
	v_or_b32_e32 v94, 0x10000, v91
	s_delay_alu instid0(VALU_DEP_2) | instskip(NEXT) | instid1(VALU_DEP_2)
	v_cmp_eq_u32_e32 vcc_lo, 0, v8
	v_cndmask_b32_e32 v8, v94, v91, vcc_lo
; %bb.1142:                             ;   in Loop: Header=BB6_1038 Depth=3
	s_or_b32 exec_lo, exec_lo, s15
	v_and_b32_e32 v91, 0xffff0000, v92
	v_lshlrev_b32_e32 v92, 16, v9
	s_delay_alu instid0(VALU_DEP_1) | instskip(NEXT) | instid1(VALU_DEP_1)
	v_add_f32_e32 v92, v91, v92
	v_and_b32_e32 v91, 0x7f800000, v92
	s_delay_alu instid0(VALU_DEP_1) | instskip(SKIP_1) | instid1(SALU_CYCLE_1)
	v_cmp_ne_u32_e32 vcc_lo, 0x7f800000, v91
                                        ; implicit-def: $vgpr91
	s_and_saveexec_b32 s15, vcc_lo
	s_xor_b32 s15, exec_lo, s15
; %bb.1143:                             ;   in Loop: Header=BB6_1038 Depth=3
	v_bfe_u32 v91, v92, 16, 1
	s_delay_alu instid0(VALU_DEP_1)
	v_add3_u32 v91, v92, v91, 0x7fff
                                        ; implicit-def: $vgpr92
; %bb.1144:                             ;   in Loop: Header=BB6_1038 Depth=3
	s_and_not1_saveexec_b32 s15, s15
; %bb.1145:                             ;   in Loop: Header=BB6_1038 Depth=3
	v_and_b32_e32 v91, 0xffff, v92
	v_or_b32_e32 v94, 0x10000, v92
	s_delay_alu instid0(VALU_DEP_2) | instskip(NEXT) | instid1(VALU_DEP_2)
	v_cmp_eq_u32_e32 vcc_lo, 0, v91
	v_cndmask_b32_e32 v91, v94, v92, vcc_lo
; %bb.1146:                             ;   in Loop: Header=BB6_1038 Depth=3
	s_or_b32 exec_lo, exec_lo, s15
	v_and_b32_e32 v9, 0xffff0000, v9
	v_and_b32_e32 v89, 0xffff0000, v89
	s_delay_alu instid0(VALU_DEP_1) | instskip(NEXT) | instid1(VALU_DEP_1)
	v_add_f32_e32 v89, v89, v9
	v_and_b32_e32 v9, 0x7f800000, v89
	s_delay_alu instid0(VALU_DEP_1) | instskip(SKIP_1) | instid1(SALU_CYCLE_1)
	v_cmp_ne_u32_e32 vcc_lo, 0x7f800000, v9
                                        ; implicit-def: $vgpr9
	s_and_saveexec_b32 s15, vcc_lo
	s_xor_b32 s15, exec_lo, s15
; %bb.1147:                             ;   in Loop: Header=BB6_1038 Depth=3
	v_bfe_u32 v9, v89, 16, 1
	s_delay_alu instid0(VALU_DEP_1)
	v_add3_u32 v9, v89, v9, 0x7fff
                                        ; implicit-def: $vgpr89
; %bb.1148:                             ;   in Loop: Header=BB6_1038 Depth=3
	s_and_not1_saveexec_b32 s15, s15
; %bb.1149:                             ;   in Loop: Header=BB6_1038 Depth=3
	v_and_b32_e32 v9, 0xffff, v89
	v_or_b32_e32 v92, 0x10000, v89
	s_delay_alu instid0(VALU_DEP_2) | instskip(NEXT) | instid1(VALU_DEP_2)
	v_cmp_eq_u32_e32 vcc_lo, 0, v9
	v_cndmask_b32_e32 v9, v92, v89, vcc_lo
; %bb.1150:                             ;   in Loop: Header=BB6_1038 Depth=3
	s_or_b32 exec_lo, exec_lo, s15
	v_and_b32_e32 v89, 0xffff0000, v90
	v_lshlrev_b32_e32 v90, 16, v10
	s_delay_alu instid0(VALU_DEP_1) | instskip(NEXT) | instid1(VALU_DEP_1)
	v_add_f32_e32 v90, v89, v90
	v_and_b32_e32 v89, 0x7f800000, v90
	s_delay_alu instid0(VALU_DEP_1) | instskip(SKIP_1) | instid1(SALU_CYCLE_1)
	v_cmp_ne_u32_e32 vcc_lo, 0x7f800000, v89
                                        ; implicit-def: $vgpr89
	s_and_saveexec_b32 s15, vcc_lo
	s_xor_b32 s15, exec_lo, s15
; %bb.1151:                             ;   in Loop: Header=BB6_1038 Depth=3
	v_bfe_u32 v89, v90, 16, 1
	s_delay_alu instid0(VALU_DEP_1)
	v_add3_u32 v89, v90, v89, 0x7fff
                                        ; implicit-def: $vgpr90
; %bb.1152:                             ;   in Loop: Header=BB6_1038 Depth=3
	s_and_not1_saveexec_b32 s15, s15
; %bb.1153:                             ;   in Loop: Header=BB6_1038 Depth=3
	v_and_b32_e32 v89, 0xffff, v90
	v_or_b32_e32 v92, 0x10000, v90
	s_delay_alu instid0(VALU_DEP_2) | instskip(NEXT) | instid1(VALU_DEP_2)
	v_cmp_eq_u32_e32 vcc_lo, 0, v89
	v_cndmask_b32_e32 v89, v92, v90, vcc_lo
; %bb.1154:                             ;   in Loop: Header=BB6_1038 Depth=3
	s_or_b32 exec_lo, exec_lo, s15
	v_and_b32_e32 v10, 0xffff0000, v10
	v_and_b32_e32 v78, 0xffff0000, v78
	s_delay_alu instid0(VALU_DEP_1) | instskip(NEXT) | instid1(VALU_DEP_1)
	v_add_f32_e32 v78, v78, v10
	v_and_b32_e32 v10, 0x7f800000, v78
	s_delay_alu instid0(VALU_DEP_1) | instskip(SKIP_1) | instid1(SALU_CYCLE_1)
	v_cmp_ne_u32_e32 vcc_lo, 0x7f800000, v10
                                        ; implicit-def: $vgpr10
	s_and_saveexec_b32 s15, vcc_lo
	s_xor_b32 s15, exec_lo, s15
; %bb.1155:                             ;   in Loop: Header=BB6_1038 Depth=3
	v_bfe_u32 v10, v78, 16, 1
	s_delay_alu instid0(VALU_DEP_1)
	v_add3_u32 v10, v78, v10, 0x7fff
                                        ; implicit-def: $vgpr78
; %bb.1156:                             ;   in Loop: Header=BB6_1038 Depth=3
	s_and_not1_saveexec_b32 s15, s15
; %bb.1157:                             ;   in Loop: Header=BB6_1038 Depth=3
	v_and_b32_e32 v10, 0xffff, v78
	v_or_b32_e32 v90, 0x10000, v78
	s_delay_alu instid0(VALU_DEP_2) | instskip(NEXT) | instid1(VALU_DEP_2)
	v_cmp_eq_u32_e32 vcc_lo, 0, v10
	v_cndmask_b32_e32 v10, v90, v78, vcc_lo
; %bb.1158:                             ;   in Loop: Header=BB6_1038 Depth=3
	s_or_b32 exec_lo, exec_lo, s15
	v_and_b32_e32 v78, 0xffff0000, v79
	v_lshlrev_b32_e32 v79, 16, v11
	s_delay_alu instid0(VALU_DEP_1) | instskip(NEXT) | instid1(VALU_DEP_1)
	v_add_f32_e32 v79, v78, v79
	v_and_b32_e32 v78, 0x7f800000, v79
	s_delay_alu instid0(VALU_DEP_1) | instskip(SKIP_1) | instid1(SALU_CYCLE_1)
	v_cmp_ne_u32_e32 vcc_lo, 0x7f800000, v78
                                        ; implicit-def: $vgpr78
	s_and_saveexec_b32 s15, vcc_lo
	s_xor_b32 s15, exec_lo, s15
; %bb.1159:                             ;   in Loop: Header=BB6_1038 Depth=3
	v_bfe_u32 v78, v79, 16, 1
	s_delay_alu instid0(VALU_DEP_1)
	v_add3_u32 v78, v79, v78, 0x7fff
                                        ; implicit-def: $vgpr79
; %bb.1160:                             ;   in Loop: Header=BB6_1038 Depth=3
	s_and_not1_saveexec_b32 s15, s15
; %bb.1161:                             ;   in Loop: Header=BB6_1038 Depth=3
	v_and_b32_e32 v78, 0xffff, v79
	v_or_b32_e32 v90, 0x10000, v79
	s_delay_alu instid0(VALU_DEP_2) | instskip(NEXT) | instid1(VALU_DEP_2)
	v_cmp_eq_u32_e32 vcc_lo, 0, v78
	v_cndmask_b32_e32 v78, v90, v79, vcc_lo
; %bb.1162:                             ;   in Loop: Header=BB6_1038 Depth=3
	s_or_b32 exec_lo, exec_lo, s15
	v_and_b32_e32 v11, 0xffff0000, v11
	v_and_b32_e32 v77, 0xffff0000, v77
	s_delay_alu instid0(VALU_DEP_1) | instskip(NEXT) | instid1(VALU_DEP_1)
	v_add_f32_e32 v77, v77, v11
	v_and_b32_e32 v11, 0x7f800000, v77
	s_delay_alu instid0(VALU_DEP_1) | instskip(SKIP_1) | instid1(SALU_CYCLE_1)
	v_cmp_ne_u32_e32 vcc_lo, 0x7f800000, v11
                                        ; implicit-def: $vgpr11
	s_and_saveexec_b32 s15, vcc_lo
	s_xor_b32 s15, exec_lo, s15
; %bb.1163:                             ;   in Loop: Header=BB6_1038 Depth=3
	v_bfe_u32 v11, v77, 16, 1
	s_delay_alu instid0(VALU_DEP_1)
	v_add3_u32 v11, v77, v11, 0x7fff
                                        ; implicit-def: $vgpr77
; %bb.1164:                             ;   in Loop: Header=BB6_1038 Depth=3
	s_and_not1_saveexec_b32 s15, s15
	s_cbranch_execz .LBB6_1037
; %bb.1165:                             ;   in Loop: Header=BB6_1038 Depth=3
	v_and_b32_e32 v11, 0xffff, v77
	v_or_b32_e32 v79, 0x10000, v77
	s_delay_alu instid0(VALU_DEP_2) | instskip(NEXT) | instid1(VALU_DEP_2)
	v_cmp_eq_u32_e32 vcc_lo, 0, v11
	v_cndmask_b32_e32 v11, v79, v77, vcc_lo
	s_branch .LBB6_1037
.LBB6_1166:                             ;   in Loop: Header=BB6_955 Depth=2
	s_or_b32 exec_lo, exec_lo, s14
.LBB6_1167:                             ;   in Loop: Header=BB6_955 Depth=2
	s_delay_alu instid0(SALU_CYCLE_1) | instskip(SKIP_3) | instid1(VALU_DEP_1)
	s_or_b32 exec_lo, exec_lo, s13
	v_dual_lshlrev_b32 v56, 10, v75 :: v_dual_mov_b32 v44, 0
	s_mov_b32 s13, 0
	s_mov_b32 s62, exec_lo
                                        ; implicit-def: $vgpr45
                                        ; implicit-def: $vgpr46
	v_cmpx_ne_u32_e64 v113, v56
	s_cbranch_execz .LBB6_1239
; %bb.1168:                             ;   in Loop: Header=BB6_955 Depth=2
	v_dual_lshlrev_b32 v8, 5, v115 :: v_dual_sub_nc_u32 v10, v113, v56
	s_mov_b32 s63, exec_lo
	s_delay_alu instid0(VALU_DEP_1) | instskip(NEXT) | instid1(VALU_DEP_1)
	v_dual_sub_nc_u32 v8, v61, v8 :: v_dual_ashrrev_i32 v11, 31, v10
	v_dual_ashrrev_i32 v9, 31, v8 :: v_dual_lshrrev_b32 v11, 23, v11
	s_delay_alu instid0(VALU_DEP_1) | instskip(NEXT) | instid1(VALU_DEP_1)
	v_lshrrev_b32_e32 v9, 27, v9
	v_add_nc_u32_e32 v9, v8, v9
	s_delay_alu instid0(VALU_DEP_1) | instskip(NEXT) | instid1(VALU_DEP_1)
	v_and_b32_e32 v12, 0xffffffe0, v9
	v_dual_add_nc_u32 v11, v10, v11 :: v_dual_sub_nc_u32 v115, v8, v12
	s_delay_alu instid0(VALU_DEP_1) | instskip(SKIP_1) | instid1(VALU_DEP_2)
	v_and_b32_e32 v57, 0xfffffe00, v11
	v_dual_ashrrev_i32 v9, 5, v9 :: v_dual_ashrrev_i32 v11, 9, v11
	v_dual_lshlrev_b32 v8, 4, v115 :: v_dual_sub_nc_u32 v58, v10, v57
	s_delay_alu instid0(VALU_DEP_1) | instskip(NEXT) | instid1(VALU_DEP_2)
	v_lshl_add_u32 v8, v9, 9, v8
	v_cmp_lt_i32_e64 s13, 15, v58
	s_delay_alu instid0(VALU_DEP_1) | instskip(NEXT) | instid1(VALU_DEP_1)
	v_add_co_ci_u32_e64 v11, null, 0, v11, s13
	v_dual_sub_nc_u32 v75, v10, v8 :: v_dual_sub_nc_u32 v59, v11, v9
	s_delay_alu instid0(VALU_DEP_1)
	v_cmpx_lt_i32_e32 15, v75
	s_cbranch_execz .LBB6_1238
; %bb.1169:                             ;   in Loop: Header=BB6_955 Depth=2
	s_trap 2
	ds_load_b64 v[10:11], v0
	ds_load_b32 v76, v0
	v_add_nc_u32_e32 v8, v8, v56
	s_mov_b32 s72, 0
	s_delay_alu instid0(VALU_DEP_1) | instskip(NEXT) | instid1(VALU_DEP_1)
	v_ashrrev_i32_e32 v9, 31, v8
	v_add_nc_u64_e32 v[12:13], v[8:9], v[40:41]
	v_add_nc_u64_e32 v[14:15], v[8:9], v[42:43]
	;; [unrolled: 1-line block ×3, first 2 shown]
	s_wait_dscnt 0x1
	v_add_nc_u64_e32 v[46:47], v[10:11], v[8:9]
	s_wait_dscnt 0x0
	v_lshlrev_b32_e32 v76, 16, v76
.LBB6_1170:                             ;   Parent Loop BB6_47 Depth=1
                                        ;     Parent Loop BB6_955 Depth=2
                                        ; =>    This Loop Header: Depth=3
                                        ;         Child Loop BB6_1235 Depth 4
	global_load_b128 v[8:11], v[44:45], off th:TH_LOAD_NT
	s_wait_loadcnt 0x0
	v_lshlrev_b32_e32 v77, 16, v8
	s_delay_alu instid0(VALU_DEP_1) | instskip(NEXT) | instid1(VALU_DEP_1)
	v_mul_f32_e32 v77, v76, v77
	v_and_b32_e32 v78, 0x7f800000, v77
	s_delay_alu instid0(VALU_DEP_1) | instskip(SKIP_2) | instid1(SALU_CYCLE_1)
	v_cmp_ne_u32_e32 vcc_lo, 0x7f800000, v78
                                        ; implicit-def: $vgpr78
	s_wait_xcnt 0x0
	s_and_saveexec_b32 s14, vcc_lo
	s_xor_b32 s14, exec_lo, s14
; %bb.1171:                             ;   in Loop: Header=BB6_1170 Depth=3
	v_bfe_u32 v78, v77, 16, 1
	s_delay_alu instid0(VALU_DEP_1)
	v_add3_u32 v78, v77, v78, 0x7fff
                                        ; implicit-def: $vgpr77
; %bb.1172:                             ;   in Loop: Header=BB6_1170 Depth=3
	s_and_not1_saveexec_b32 s14, s14
; %bb.1173:                             ;   in Loop: Header=BB6_1170 Depth=3
	v_and_b32_e32 v78, 0xffff, v77
	v_or_b32_e32 v79, 0x10000, v77
	s_delay_alu instid0(VALU_DEP_2) | instskip(NEXT) | instid1(VALU_DEP_2)
	v_cmp_eq_u32_e32 vcc_lo, 0, v78
	v_cndmask_b32_e32 v78, v79, v77, vcc_lo
; %bb.1174:                             ;   in Loop: Header=BB6_1170 Depth=3
	s_or_b32 exec_lo, exec_lo, s14
	v_and_b32_e32 v8, 0xffff0000, v8
	s_mov_b32 s14, exec_lo
                                        ; implicit-def: $vgpr92
	s_delay_alu instid0(VALU_DEP_1) | instskip(NEXT) | instid1(VALU_DEP_1)
	v_mul_f32_e32 v8, v76, v8
	v_and_b32_e32 v77, 0x7f800000, v8
	s_delay_alu instid0(VALU_DEP_1)
	v_cmpx_ne_u32_e32 0x7f800000, v77
	s_xor_b32 s14, exec_lo, s14
; %bb.1175:                             ;   in Loop: Header=BB6_1170 Depth=3
	v_bfe_u32 v77, v8, 16, 1
	s_delay_alu instid0(VALU_DEP_1)
	v_add3_u32 v92, v8, v77, 0x7fff
                                        ; implicit-def: $vgpr8
; %bb.1176:                             ;   in Loop: Header=BB6_1170 Depth=3
	s_and_not1_saveexec_b32 s14, s14
; %bb.1177:                             ;   in Loop: Header=BB6_1170 Depth=3
	v_and_b32_e32 v77, 0xffff, v8
	v_or_b32_e32 v79, 0x10000, v8
	s_delay_alu instid0(VALU_DEP_2) | instskip(NEXT) | instid1(VALU_DEP_2)
	v_cmp_eq_u32_e32 vcc_lo, 0, v77
	v_cndmask_b32_e32 v92, v79, v8, vcc_lo
; %bb.1178:                             ;   in Loop: Header=BB6_1170 Depth=3
	s_or_b32 exec_lo, exec_lo, s14
	v_lshlrev_b32_e32 v8, 16, v9
	s_mov_b32 s14, exec_lo
                                        ; implicit-def: $vgpr91
	s_delay_alu instid0(VALU_DEP_1) | instskip(NEXT) | instid1(VALU_DEP_1)
	v_mul_f32_e32 v8, v76, v8
	v_and_b32_e32 v77, 0x7f800000, v8
	s_delay_alu instid0(VALU_DEP_1)
	v_cmpx_ne_u32_e32 0x7f800000, v77
	s_xor_b32 s14, exec_lo, s14
; %bb.1179:                             ;   in Loop: Header=BB6_1170 Depth=3
	v_bfe_u32 v77, v8, 16, 1
	s_delay_alu instid0(VALU_DEP_1)
	v_add3_u32 v91, v8, v77, 0x7fff
                                        ; implicit-def: $vgpr8
; %bb.1180:                             ;   in Loop: Header=BB6_1170 Depth=3
	s_and_not1_saveexec_b32 s14, s14
; %bb.1181:                             ;   in Loop: Header=BB6_1170 Depth=3
	v_and_b32_e32 v77, 0xffff, v8
	v_or_b32_e32 v79, 0x10000, v8
	s_delay_alu instid0(VALU_DEP_2) | instskip(NEXT) | instid1(VALU_DEP_2)
	v_cmp_eq_u32_e32 vcc_lo, 0, v77
	v_cndmask_b32_e32 v91, v79, v8, vcc_lo
; %bb.1182:                             ;   in Loop: Header=BB6_1170 Depth=3
	s_or_b32 exec_lo, exec_lo, s14
	v_and_b32_e32 v8, 0xffff0000, v9
	s_mov_b32 s14, exec_lo
                                        ; implicit-def: $vgpr90
	s_delay_alu instid0(VALU_DEP_1) | instskip(NEXT) | instid1(VALU_DEP_1)
	v_mul_f32_e32 v8, v76, v8
	v_and_b32_e32 v9, 0x7f800000, v8
	s_delay_alu instid0(VALU_DEP_1)
	v_cmpx_ne_u32_e32 0x7f800000, v9
	s_xor_b32 s14, exec_lo, s14
; %bb.1183:                             ;   in Loop: Header=BB6_1170 Depth=3
	v_bfe_u32 v9, v8, 16, 1
	s_delay_alu instid0(VALU_DEP_1)
	v_add3_u32 v90, v8, v9, 0x7fff
                                        ; implicit-def: $vgpr8
; %bb.1184:                             ;   in Loop: Header=BB6_1170 Depth=3
	s_and_not1_saveexec_b32 s14, s14
; %bb.1185:                             ;   in Loop: Header=BB6_1170 Depth=3
	v_and_b32_e32 v9, 0xffff, v8
	v_or_b32_e32 v77, 0x10000, v8
	s_delay_alu instid0(VALU_DEP_2) | instskip(NEXT) | instid1(VALU_DEP_2)
	v_cmp_eq_u32_e32 vcc_lo, 0, v9
	v_cndmask_b32_e32 v90, v77, v8, vcc_lo
; %bb.1186:                             ;   in Loop: Header=BB6_1170 Depth=3
	s_or_b32 exec_lo, exec_lo, s14
	v_lshlrev_b32_e32 v8, 16, v10
	s_mov_b32 s14, exec_lo
                                        ; implicit-def: $vgpr89
	s_delay_alu instid0(VALU_DEP_1) | instskip(NEXT) | instid1(VALU_DEP_1)
	v_mul_f32_e32 v8, v76, v8
	v_and_b32_e32 v9, 0x7f800000, v8
	s_delay_alu instid0(VALU_DEP_1)
	v_cmpx_ne_u32_e32 0x7f800000, v9
	s_xor_b32 s14, exec_lo, s14
; %bb.1187:                             ;   in Loop: Header=BB6_1170 Depth=3
	v_bfe_u32 v9, v8, 16, 1
	s_delay_alu instid0(VALU_DEP_1)
	v_add3_u32 v89, v8, v9, 0x7fff
                                        ; implicit-def: $vgpr8
; %bb.1188:                             ;   in Loop: Header=BB6_1170 Depth=3
	s_and_not1_saveexec_b32 s14, s14
; %bb.1189:                             ;   in Loop: Header=BB6_1170 Depth=3
	v_and_b32_e32 v9, 0xffff, v8
	v_or_b32_e32 v77, 0x10000, v8
	s_delay_alu instid0(VALU_DEP_2) | instskip(NEXT) | instid1(VALU_DEP_2)
	v_cmp_eq_u32_e32 vcc_lo, 0, v9
	v_cndmask_b32_e32 v89, v77, v8, vcc_lo
; %bb.1190:                             ;   in Loop: Header=BB6_1170 Depth=3
	s_or_b32 exec_lo, exec_lo, s14
	v_and_b32_e32 v8, 0xffff0000, v10
	s_mov_b32 s14, exec_lo
                                        ; implicit-def: $vgpr88
	s_delay_alu instid0(VALU_DEP_1) | instskip(NEXT) | instid1(VALU_DEP_1)
	v_mul_f32_e32 v8, v76, v8
	v_and_b32_e32 v9, 0x7f800000, v8
	s_delay_alu instid0(VALU_DEP_1)
	v_cmpx_ne_u32_e32 0x7f800000, v9
	s_xor_b32 s14, exec_lo, s14
; %bb.1191:                             ;   in Loop: Header=BB6_1170 Depth=3
	v_bfe_u32 v9, v8, 16, 1
	s_delay_alu instid0(VALU_DEP_1)
	v_add3_u32 v88, v8, v9, 0x7fff
                                        ; implicit-def: $vgpr8
; %bb.1192:                             ;   in Loop: Header=BB6_1170 Depth=3
	s_and_not1_saveexec_b32 s14, s14
; %bb.1193:                             ;   in Loop: Header=BB6_1170 Depth=3
	v_and_b32_e32 v9, 0xffff, v8
	v_or_b32_e32 v10, 0x10000, v8
	s_delay_alu instid0(VALU_DEP_2) | instskip(NEXT) | instid1(VALU_DEP_2)
	v_cmp_eq_u32_e32 vcc_lo, 0, v9
	v_cndmask_b32_e32 v88, v10, v8, vcc_lo
; %bb.1194:                             ;   in Loop: Header=BB6_1170 Depth=3
	s_or_b32 exec_lo, exec_lo, s14
	v_lshlrev_b32_e32 v8, 16, v11
	s_mov_b32 s14, exec_lo
                                        ; implicit-def: $vgpr79
	s_delay_alu instid0(VALU_DEP_1) | instskip(NEXT) | instid1(VALU_DEP_1)
	v_mul_f32_e32 v8, v76, v8
	v_and_b32_e32 v9, 0x7f800000, v8
	s_delay_alu instid0(VALU_DEP_1)
	v_cmpx_ne_u32_e32 0x7f800000, v9
	s_xor_b32 s14, exec_lo, s14
; %bb.1195:                             ;   in Loop: Header=BB6_1170 Depth=3
	v_bfe_u32 v9, v8, 16, 1
	s_delay_alu instid0(VALU_DEP_1)
	v_add3_u32 v79, v8, v9, 0x7fff
                                        ; implicit-def: $vgpr8
; %bb.1196:                             ;   in Loop: Header=BB6_1170 Depth=3
	s_and_not1_saveexec_b32 s14, s14
; %bb.1197:                             ;   in Loop: Header=BB6_1170 Depth=3
	v_and_b32_e32 v9, 0xffff, v8
	v_or_b32_e32 v10, 0x10000, v8
	s_delay_alu instid0(VALU_DEP_2) | instskip(NEXT) | instid1(VALU_DEP_2)
	v_cmp_eq_u32_e32 vcc_lo, 0, v9
	v_cndmask_b32_e32 v79, v10, v8, vcc_lo
; %bb.1198:                             ;   in Loop: Header=BB6_1170 Depth=3
	s_or_b32 exec_lo, exec_lo, s14
	v_and_b32_e32 v8, 0xffff0000, v11
	s_mov_b32 s14, exec_lo
                                        ; implicit-def: $vgpr77
	s_delay_alu instid0(VALU_DEP_1) | instskip(NEXT) | instid1(VALU_DEP_1)
	v_mul_f32_e32 v8, v76, v8
	v_and_b32_e32 v9, 0x7f800000, v8
	s_delay_alu instid0(VALU_DEP_1)
	v_cmpx_ne_u32_e32 0x7f800000, v9
	s_xor_b32 s14, exec_lo, s14
; %bb.1199:                             ;   in Loop: Header=BB6_1170 Depth=3
	v_bfe_u32 v9, v8, 16, 1
	s_delay_alu instid0(VALU_DEP_1)
	v_add3_u32 v77, v8, v9, 0x7fff
                                        ; implicit-def: $vgpr8
; %bb.1200:                             ;   in Loop: Header=BB6_1170 Depth=3
	s_and_not1_saveexec_b32 s14, s14
; %bb.1201:                             ;   in Loop: Header=BB6_1170 Depth=3
	v_and_b32_e32 v9, 0xffff, v8
	v_or_b32_e32 v10, 0x10000, v8
	s_delay_alu instid0(VALU_DEP_2) | instskip(NEXT) | instid1(VALU_DEP_2)
	v_cmp_eq_u32_e32 vcc_lo, 0, v9
	v_cndmask_b32_e32 v77, v10, v8, vcc_lo
; %bb.1202:                             ;   in Loop: Header=BB6_1170 Depth=3
	s_or_b32 exec_lo, exec_lo, s14
	global_load_b128 v[8:11], v[46:47], off th:TH_LOAD_NT
	v_and_b32_e32 v78, 0xffff0000, v78
	s_wait_loadcnt 0x0
	v_lshlrev_b32_e32 v93, 16, v8
	s_delay_alu instid0(VALU_DEP_1) | instskip(NEXT) | instid1(VALU_DEP_1)
	v_add_f32_e32 v93, v78, v93
	v_and_b32_e32 v78, 0x7f800000, v93
	s_delay_alu instid0(VALU_DEP_1) | instskip(SKIP_2) | instid1(SALU_CYCLE_1)
	v_cmp_ne_u32_e32 vcc_lo, 0x7f800000, v78
                                        ; implicit-def: $vgpr78
	s_wait_xcnt 0x0
	s_and_saveexec_b32 s14, vcc_lo
	s_xor_b32 s14, exec_lo, s14
; %bb.1203:                             ;   in Loop: Header=BB6_1170 Depth=3
	v_bfe_u32 v78, v93, 16, 1
	s_delay_alu instid0(VALU_DEP_1)
	v_add3_u32 v78, v93, v78, 0x7fff
                                        ; implicit-def: $vgpr93
; %bb.1204:                             ;   in Loop: Header=BB6_1170 Depth=3
	s_and_not1_saveexec_b32 s14, s14
; %bb.1205:                             ;   in Loop: Header=BB6_1170 Depth=3
	v_and_b32_e32 v78, 0xffff, v93
	v_or_b32_e32 v94, 0x10000, v93
	s_delay_alu instid0(VALU_DEP_2) | instskip(NEXT) | instid1(VALU_DEP_2)
	v_cmp_eq_u32_e32 vcc_lo, 0, v78
	v_cndmask_b32_e32 v78, v94, v93, vcc_lo
; %bb.1206:                             ;   in Loop: Header=BB6_1170 Depth=3
	s_or_b32 exec_lo, exec_lo, s14
	v_and_b32_e32 v92, 0xffff0000, v92
	v_and_b32_e32 v8, 0xffff0000, v8
	s_delay_alu instid0(VALU_DEP_1) | instskip(NEXT) | instid1(VALU_DEP_1)
	v_add_f32_e32 v92, v92, v8
	v_and_b32_e32 v8, 0x7f800000, v92
	s_delay_alu instid0(VALU_DEP_1) | instskip(SKIP_1) | instid1(SALU_CYCLE_1)
	v_cmp_ne_u32_e32 vcc_lo, 0x7f800000, v8
                                        ; implicit-def: $vgpr8
	s_and_saveexec_b32 s14, vcc_lo
	s_xor_b32 s14, exec_lo, s14
; %bb.1207:                             ;   in Loop: Header=BB6_1170 Depth=3
	v_bfe_u32 v8, v92, 16, 1
	s_delay_alu instid0(VALU_DEP_1)
	v_add3_u32 v8, v92, v8, 0x7fff
                                        ; implicit-def: $vgpr92
; %bb.1208:                             ;   in Loop: Header=BB6_1170 Depth=3
	s_and_not1_saveexec_b32 s14, s14
; %bb.1209:                             ;   in Loop: Header=BB6_1170 Depth=3
	v_and_b32_e32 v8, 0xffff, v92
	v_or_b32_e32 v93, 0x10000, v92
	s_delay_alu instid0(VALU_DEP_2) | instskip(NEXT) | instid1(VALU_DEP_2)
	v_cmp_eq_u32_e32 vcc_lo, 0, v8
	v_cndmask_b32_e32 v8, v93, v92, vcc_lo
; %bb.1210:                             ;   in Loop: Header=BB6_1170 Depth=3
	s_or_b32 exec_lo, exec_lo, s14
	v_and_b32_e32 v91, 0xffff0000, v91
	v_lshlrev_b32_e32 v92, 16, v9
	s_delay_alu instid0(VALU_DEP_1) | instskip(NEXT) | instid1(VALU_DEP_1)
	v_add_f32_e32 v92, v91, v92
	v_and_b32_e32 v91, 0x7f800000, v92
	s_delay_alu instid0(VALU_DEP_1) | instskip(SKIP_1) | instid1(SALU_CYCLE_1)
	v_cmp_ne_u32_e32 vcc_lo, 0x7f800000, v91
                                        ; implicit-def: $vgpr91
	s_and_saveexec_b32 s14, vcc_lo
	s_xor_b32 s14, exec_lo, s14
; %bb.1211:                             ;   in Loop: Header=BB6_1170 Depth=3
	v_bfe_u32 v91, v92, 16, 1
	s_delay_alu instid0(VALU_DEP_1)
	v_add3_u32 v91, v92, v91, 0x7fff
                                        ; implicit-def: $vgpr92
; %bb.1212:                             ;   in Loop: Header=BB6_1170 Depth=3
	s_and_not1_saveexec_b32 s14, s14
; %bb.1213:                             ;   in Loop: Header=BB6_1170 Depth=3
	v_and_b32_e32 v91, 0xffff, v92
	v_or_b32_e32 v93, 0x10000, v92
	s_delay_alu instid0(VALU_DEP_2) | instskip(NEXT) | instid1(VALU_DEP_2)
	v_cmp_eq_u32_e32 vcc_lo, 0, v91
	v_cndmask_b32_e32 v91, v93, v92, vcc_lo
; %bb.1214:                             ;   in Loop: Header=BB6_1170 Depth=3
	s_or_b32 exec_lo, exec_lo, s14
	v_and_b32_e32 v90, 0xffff0000, v90
	v_and_b32_e32 v9, 0xffff0000, v9
	s_delay_alu instid0(VALU_DEP_1) | instskip(NEXT) | instid1(VALU_DEP_1)
	v_add_f32_e32 v90, v90, v9
	v_and_b32_e32 v9, 0x7f800000, v90
	s_delay_alu instid0(VALU_DEP_1) | instskip(SKIP_1) | instid1(SALU_CYCLE_1)
	v_cmp_ne_u32_e32 vcc_lo, 0x7f800000, v9
                                        ; implicit-def: $vgpr9
	s_and_saveexec_b32 s14, vcc_lo
	s_xor_b32 s14, exec_lo, s14
; %bb.1215:                             ;   in Loop: Header=BB6_1170 Depth=3
	v_bfe_u32 v9, v90, 16, 1
	s_delay_alu instid0(VALU_DEP_1)
	v_add3_u32 v9, v90, v9, 0x7fff
                                        ; implicit-def: $vgpr90
; %bb.1216:                             ;   in Loop: Header=BB6_1170 Depth=3
	s_and_not1_saveexec_b32 s14, s14
; %bb.1217:                             ;   in Loop: Header=BB6_1170 Depth=3
	v_and_b32_e32 v9, 0xffff, v90
	v_or_b32_e32 v92, 0x10000, v90
	s_delay_alu instid0(VALU_DEP_2) | instskip(NEXT) | instid1(VALU_DEP_2)
	v_cmp_eq_u32_e32 vcc_lo, 0, v9
	v_cndmask_b32_e32 v9, v92, v90, vcc_lo
; %bb.1218:                             ;   in Loop: Header=BB6_1170 Depth=3
	s_or_b32 exec_lo, exec_lo, s14
	v_and_b32_e32 v89, 0xffff0000, v89
	v_lshlrev_b32_e32 v90, 16, v10
	s_delay_alu instid0(VALU_DEP_1) | instskip(NEXT) | instid1(VALU_DEP_1)
	v_add_f32_e32 v90, v89, v90
	v_and_b32_e32 v89, 0x7f800000, v90
	s_delay_alu instid0(VALU_DEP_1) | instskip(SKIP_1) | instid1(SALU_CYCLE_1)
	v_cmp_ne_u32_e32 vcc_lo, 0x7f800000, v89
                                        ; implicit-def: $vgpr89
	s_and_saveexec_b32 s14, vcc_lo
	s_xor_b32 s14, exec_lo, s14
; %bb.1219:                             ;   in Loop: Header=BB6_1170 Depth=3
	v_bfe_u32 v89, v90, 16, 1
	s_delay_alu instid0(VALU_DEP_1)
	v_add3_u32 v89, v90, v89, 0x7fff
                                        ; implicit-def: $vgpr90
; %bb.1220:                             ;   in Loop: Header=BB6_1170 Depth=3
	s_and_not1_saveexec_b32 s14, s14
; %bb.1221:                             ;   in Loop: Header=BB6_1170 Depth=3
	v_and_b32_e32 v89, 0xffff, v90
	v_or_b32_e32 v92, 0x10000, v90
	s_delay_alu instid0(VALU_DEP_2) | instskip(NEXT) | instid1(VALU_DEP_2)
	v_cmp_eq_u32_e32 vcc_lo, 0, v89
	v_cndmask_b32_e32 v89, v92, v90, vcc_lo
; %bb.1222:                             ;   in Loop: Header=BB6_1170 Depth=3
	s_or_b32 exec_lo, exec_lo, s14
	v_and_b32_e32 v88, 0xffff0000, v88
	v_and_b32_e32 v10, 0xffff0000, v10
	s_delay_alu instid0(VALU_DEP_1) | instskip(NEXT) | instid1(VALU_DEP_1)
	v_add_f32_e32 v88, v88, v10
	v_and_b32_e32 v10, 0x7f800000, v88
	s_delay_alu instid0(VALU_DEP_1) | instskip(SKIP_1) | instid1(SALU_CYCLE_1)
	v_cmp_ne_u32_e32 vcc_lo, 0x7f800000, v10
                                        ; implicit-def: $vgpr10
	s_and_saveexec_b32 s14, vcc_lo
	s_xor_b32 s14, exec_lo, s14
; %bb.1223:                             ;   in Loop: Header=BB6_1170 Depth=3
	v_bfe_u32 v10, v88, 16, 1
	s_delay_alu instid0(VALU_DEP_1)
	v_add3_u32 v10, v88, v10, 0x7fff
                                        ; implicit-def: $vgpr88
; %bb.1224:                             ;   in Loop: Header=BB6_1170 Depth=3
	s_and_not1_saveexec_b32 s14, s14
; %bb.1225:                             ;   in Loop: Header=BB6_1170 Depth=3
	v_and_b32_e32 v10, 0xffff, v88
	v_or_b32_e32 v90, 0x10000, v88
	s_delay_alu instid0(VALU_DEP_2) | instskip(NEXT) | instid1(VALU_DEP_2)
	v_cmp_eq_u32_e32 vcc_lo, 0, v10
	v_cndmask_b32_e32 v10, v90, v88, vcc_lo
; %bb.1226:                             ;   in Loop: Header=BB6_1170 Depth=3
	s_or_b32 exec_lo, exec_lo, s14
	v_and_b32_e32 v79, 0xffff0000, v79
	v_lshlrev_b32_e32 v88, 16, v11
	s_delay_alu instid0(VALU_DEP_1) | instskip(NEXT) | instid1(VALU_DEP_1)
	v_add_f32_e32 v88, v79, v88
	v_and_b32_e32 v79, 0x7f800000, v88
	s_delay_alu instid0(VALU_DEP_1) | instskip(SKIP_1) | instid1(SALU_CYCLE_1)
	v_cmp_ne_u32_e32 vcc_lo, 0x7f800000, v79
                                        ; implicit-def: $vgpr79
	s_and_saveexec_b32 s14, vcc_lo
	s_xor_b32 s14, exec_lo, s14
; %bb.1227:                             ;   in Loop: Header=BB6_1170 Depth=3
	v_bfe_u32 v79, v88, 16, 1
	s_delay_alu instid0(VALU_DEP_1)
	v_add3_u32 v79, v88, v79, 0x7fff
                                        ; implicit-def: $vgpr88
; %bb.1228:                             ;   in Loop: Header=BB6_1170 Depth=3
	s_and_not1_saveexec_b32 s14, s14
; %bb.1229:                             ;   in Loop: Header=BB6_1170 Depth=3
	v_and_b32_e32 v79, 0xffff, v88
	v_or_b32_e32 v90, 0x10000, v88
	s_delay_alu instid0(VALU_DEP_2) | instskip(NEXT) | instid1(VALU_DEP_2)
	v_cmp_eq_u32_e32 vcc_lo, 0, v79
	v_cndmask_b32_e32 v79, v90, v88, vcc_lo
; %bb.1230:                             ;   in Loop: Header=BB6_1170 Depth=3
	s_or_b32 exec_lo, exec_lo, s14
	v_and_b32_e32 v77, 0xffff0000, v77
	v_and_b32_e32 v11, 0xffff0000, v11
	s_delay_alu instid0(VALU_DEP_1) | instskip(NEXT) | instid1(VALU_DEP_1)
	v_add_f32_e32 v77, v77, v11
	v_and_b32_e32 v11, 0x7f800000, v77
	s_delay_alu instid0(VALU_DEP_1) | instskip(SKIP_1) | instid1(SALU_CYCLE_1)
	v_cmp_ne_u32_e32 vcc_lo, 0x7f800000, v11
                                        ; implicit-def: $vgpr11
	s_and_saveexec_b32 s14, vcc_lo
	s_xor_b32 s14, exec_lo, s14
; %bb.1231:                             ;   in Loop: Header=BB6_1170 Depth=3
	v_bfe_u32 v11, v77, 16, 1
	s_delay_alu instid0(VALU_DEP_1)
	v_add3_u32 v11, v77, v11, 0x7fff
                                        ; implicit-def: $vgpr77
; %bb.1232:                             ;   in Loop: Header=BB6_1170 Depth=3
	s_and_not1_saveexec_b32 s14, s14
; %bb.1233:                             ;   in Loop: Header=BB6_1170 Depth=3
	v_and_b32_e32 v11, 0xffff, v77
	v_or_b32_e32 v88, 0x10000, v77
	s_delay_alu instid0(VALU_DEP_2) | instskip(NEXT) | instid1(VALU_DEP_2)
	v_cmp_eq_u32_e32 vcc_lo, 0, v11
	v_cndmask_b32_e32 v11, v88, v77, vcc_lo
; %bb.1234:                             ;   in Loop: Header=BB6_1170 Depth=3
	s_or_b32 exec_lo, exec_lo, s14
	v_dual_lshrrev_b32 v77, 16, v91 :: v_dual_lshrrev_b32 v78, 16, v78
	v_dual_lshrrev_b32 v88, 16, v89 :: v_dual_lshrrev_b32 v79, 16, v79
	s_mov_b64 s[40:41], 0
	s_delay_alu instid0(VALU_DEP_2) | instskip(NEXT) | instid1(VALU_DEP_3)
	v_and_or_b32 v9, 0xffff0000, v9, v77
	v_and_or_b32 v8, 0xffff0000, v8, v78
	s_delay_alu instid0(VALU_DEP_3)
	v_and_or_b32 v10, 0xffff0000, v10, v88
	v_and_or_b32 v11, 0xffff0000, v11, v79
	s_mov_b32 s73, -1
.LBB6_1235:                             ;   Parent Loop BB6_47 Depth=1
                                        ;     Parent Loop BB6_955 Depth=2
                                        ;       Parent Loop BB6_1170 Depth=3
                                        ; =>      This Inner Loop Header: Depth=4
	s_cmp_eq_u32 s40, 1
	s_cselect_b32 vcc_lo, -1, 0
	s_cmp_eq_u32 s40, 0
	s_wait_xcnt 0x0
	v_dual_cndmask_b32 v79, v13, v15 :: v_dual_cndmask_b32 v78, v12, v14
	s_cselect_b32 s14, -1, 0
	s_and_b32 s15, exec_lo, s73
	s_mov_b64 s[40:41], 1
	s_mov_b32 s73, 0
	v_add_nc_u64_e32 v[88:89], 0x200, v[78:79]
	global_store_b128 v[78:79], v[8:11], off th:TH_STORE_NT
	v_dual_cndmask_b32 v15, v15, v89 :: v_dual_cndmask_b32 v14, v14, v88
	v_dual_cndmask_b32 v13, v13, v89, s14 :: v_dual_cndmask_b32 v12, v12, v88, s14
	s_mov_b32 vcc_lo, s15
	s_cbranch_vccnz .LBB6_1235
; %bb.1236:                             ;   in Loop: Header=BB6_1170 Depth=3
	v_sub_nc_u32_e32 v75, v75, v54
	v_add_nc_u64_e32 v[44:45], v[44:45], v[84:85]
	v_add_nc_u64_e32 v[46:47], v[46:47], v[84:85]
	;; [unrolled: 1-line block ×4, first 2 shown]
	v_cmp_gt_i32_e32 vcc_lo, 16, v75
	v_sub_nc_u32_e32 v59, v59, v36
	s_or_b32 s72, vcc_lo, s72
	s_wait_xcnt 0x0
	s_and_not1_b32 exec_lo, exec_lo, s72
	s_cbranch_execnz .LBB6_1170
; %bb.1237:                             ;   in Loop: Header=BB6_955 Depth=2
	s_or_b32 exec_lo, exec_lo, s72
.LBB6_1238:                             ;   in Loop: Header=BB6_955 Depth=2
	s_delay_alu instid0(SALU_CYCLE_1) | instskip(NEXT) | instid1(VALU_DEP_2)
	s_or_b32 exec_lo, exec_lo, s63
	v_cmp_lt_i32_e32 vcc_lo, 0, v59
	v_dual_cndmask_b32 v10, 0, v36, vcc_lo :: v_dual_bitop2_b32 v8, 14, v113 bitop3:0x40
	s_delay_alu instid0(VALU_DEP_1) | instskip(NEXT) | instid1(VALU_DEP_1)
	v_dual_sub_nc_u32 v9, v58, v8 :: v_dual_cndmask_b32 v45, v58, v8, s13
	v_dual_cndmask_b32 v8, 0, v9, s13 :: v_dual_sub_nc_u32 v9, v10, v59
	s_delay_alu instid0(VALU_DEP_2) | instskip(NEXT) | instid1(VALU_DEP_2)
	v_cmp_ne_u32_e32 vcc_lo, 0, v45
	v_add3_u32 v44, v57, v56, v8
	s_delay_alu instid0(VALU_DEP_3)
	v_lshl_add_u32 v46, v9, 5, v115
	s_and_b32 s13, vcc_lo, exec_lo
.LBB6_1239:                             ;   in Loop: Header=BB6_955 Depth=2
	s_or_b32 exec_lo, exec_lo, s62
	s_and_saveexec_b32 s15, s13
	s_cbranch_execz .LBB6_1322
.LBB6_1240:                             ;   in Loop: Header=BB6_955 Depth=2
	v_dual_ashrrev_i32 v8, 31, v46 :: v_dual_ashrrev_i32 v9, 31, v45
	s_mov_b32 s13, exec_lo
	s_delay_alu instid0(VALU_DEP_1) | instskip(NEXT) | instid1(VALU_DEP_1)
	v_dual_lshrrev_b32 v8, 27, v8 :: v_dual_lshrrev_b32 v9, 23, v9
	v_dual_add_nc_u32 v8, v46, v8 :: v_dual_add_nc_u32 v9, v45, v9
	s_delay_alu instid0(VALU_DEP_1) | instskip(NEXT) | instid1(VALU_DEP_1)
	v_dual_ashrrev_i32 v115, 5, v8 :: v_dual_ashrrev_i32 v56, 9, v9
	v_sub_nc_u32_e32 v47, v56, v115
	s_delay_alu instid0(VALU_DEP_1)
	v_cmpx_lt_i32_e32 0, v47
	s_cbranch_execz .LBB6_1308
; %bb.1241:                             ;   in Loop: Header=BB6_955 Depth=2
	v_and_b32_e32 v8, 0x7fffffe0, v8
	s_trap 2
	ds_load_b64 v[14:15], v0
	ds_load_b32 v57, v0
	s_mov_b32 s14, 0
	v_dual_lshlrev_b32 v9, 9, v115 :: v_dual_sub_nc_u32 v8, v46, v8
	s_delay_alu instid0(VALU_DEP_1) | instskip(NEXT) | instid1(VALU_DEP_1)
	v_lshlrev_b32_e32 v8, 1, v8
	v_add3_u32 v58, v8, v44, v9
	s_wait_dscnt 0x0
	s_delay_alu instid0(VALU_DEP_1) | instskip(NEXT) | instid1(VALU_DEP_1)
	v_dual_ashrrev_i32 v59, 31, v58 :: v_dual_lshlrev_b32 v57, 16, v57
	v_add_nc_u64_e32 v[8:9], v[58:59], v[40:41]
	v_add_nc_u64_e32 v[10:11], v[58:59], v[42:43]
	;; [unrolled: 1-line block ×4, first 2 shown]
	s_branch .LBB6_1243
.LBB6_1242:                             ;   in Loop: Header=BB6_1243 Depth=3
	s_or_b32 exec_lo, exec_lo, s40
	v_dual_lshrrev_b32 v77, 16, v77 :: v_dual_lshrrev_b32 v58, 16, v58
	v_dual_sub_nc_u32 v47, v47, v36 :: v_dual_lshrrev_b32 v59, 16, v59
	v_dual_lshrrev_b32 v76, 16, v76 :: v_dual_lshrrev_b32 v75, 16, v75
	v_dual_lshrrev_b32 v88, 16, v88 :: v_dual_lshrrev_b32 v79, 16, v79
	v_lshrrev_b32_e32 v78, 16, v78
	s_clause 0x7
	flat_store_b16 v[8:9], v58 th:TH_STORE_NT
	flat_store_b16 v[8:9], v59 offset:64 th:TH_STORE_NT
	flat_store_b16 v[8:9], v75 offset:128 th:TH_STORE_NT
	;; [unrolled: 1-line block ×7, first 2 shown]
	s_clause 0x7
	flat_store_b16 v[10:11], v58 th:TH_STORE_NT
	flat_store_b16 v[10:11], v59 offset:64 th:TH_STORE_NT
	flat_store_b16 v[10:11], v75 offset:128 th:TH_STORE_NT
	;; [unrolled: 1-line block ×7, first 2 shown]
	v_add_nc_u64_e32 v[12:13], v[12:13], v[54:55]
	v_add_nc_u64_e32 v[14:15], v[14:15], v[54:55]
	s_wait_xcnt 0x8
	v_add_nc_u64_e32 v[8:9], v[8:9], v[54:55]
	v_cmp_gt_i32_e32 vcc_lo, 1, v47
	s_wait_xcnt 0x0
	v_add_nc_u64_e32 v[10:11], v[10:11], v[54:55]
	s_or_b32 s14, vcc_lo, s14
	s_delay_alu instid0(SALU_CYCLE_1)
	s_and_not1_b32 exec_lo, exec_lo, s14
	s_cbranch_execz .LBB6_1307
.LBB6_1243:                             ;   Parent Loop BB6_47 Depth=1
                                        ;     Parent Loop BB6_955 Depth=2
                                        ; =>    This Inner Loop Header: Depth=3
	flat_load_u16 v58, v[12:13] th:TH_LOAD_NT
	s_wait_loadcnt_dscnt 0x0
	v_lshlrev_b32_e32 v58, 16, v58
	s_delay_alu instid0(VALU_DEP_1) | instskip(NEXT) | instid1(VALU_DEP_1)
	v_mul_f32_e32 v59, v57, v58
	v_and_b32_e32 v58, 0x7f800000, v59
	s_delay_alu instid0(VALU_DEP_1) | instskip(SKIP_2) | instid1(SALU_CYCLE_1)
	v_cmp_ne_u32_e32 vcc_lo, 0x7f800000, v58
                                        ; implicit-def: $vgpr58
	s_wait_xcnt 0x0
	s_and_saveexec_b32 s40, vcc_lo
	s_xor_b32 s40, exec_lo, s40
; %bb.1244:                             ;   in Loop: Header=BB6_1243 Depth=3
	v_bfe_u32 v58, v59, 16, 1
	s_delay_alu instid0(VALU_DEP_1)
	v_add3_u32 v58, v59, v58, 0x7fff
                                        ; implicit-def: $vgpr59
; %bb.1245:                             ;   in Loop: Header=BB6_1243 Depth=3
	s_and_not1_saveexec_b32 s40, s40
; %bb.1246:                             ;   in Loop: Header=BB6_1243 Depth=3
	v_and_b32_e32 v58, 0xffff, v59
	v_or_b32_e32 v75, 0x10000, v59
	s_delay_alu instid0(VALU_DEP_2) | instskip(NEXT) | instid1(VALU_DEP_2)
	v_cmp_eq_u32_e32 vcc_lo, 0, v58
	v_cndmask_b32_e32 v58, v75, v59, vcc_lo
; %bb.1247:                             ;   in Loop: Header=BB6_1243 Depth=3
	s_or_b32 exec_lo, exec_lo, s40
	flat_load_u16 v59, v[12:13] offset:64 th:TH_LOAD_NT
	s_wait_loadcnt_dscnt 0x0
	v_lshlrev_b32_e32 v59, 16, v59
	s_delay_alu instid0(VALU_DEP_1) | instskip(NEXT) | instid1(VALU_DEP_1)
	v_mul_f32_e32 v75, v57, v59
	v_and_b32_e32 v59, 0x7f800000, v75
	s_delay_alu instid0(VALU_DEP_1) | instskip(SKIP_2) | instid1(SALU_CYCLE_1)
	v_cmp_ne_u32_e32 vcc_lo, 0x7f800000, v59
                                        ; implicit-def: $vgpr59
	s_wait_xcnt 0x0
	s_and_saveexec_b32 s40, vcc_lo
	s_xor_b32 s40, exec_lo, s40
; %bb.1248:                             ;   in Loop: Header=BB6_1243 Depth=3
	v_bfe_u32 v59, v75, 16, 1
	s_delay_alu instid0(VALU_DEP_1)
	v_add3_u32 v59, v75, v59, 0x7fff
                                        ; implicit-def: $vgpr75
; %bb.1249:                             ;   in Loop: Header=BB6_1243 Depth=3
	s_and_not1_saveexec_b32 s40, s40
; %bb.1250:                             ;   in Loop: Header=BB6_1243 Depth=3
	v_and_b32_e32 v59, 0xffff, v75
	v_or_b32_e32 v76, 0x10000, v75
	s_delay_alu instid0(VALU_DEP_2) | instskip(NEXT) | instid1(VALU_DEP_2)
	v_cmp_eq_u32_e32 vcc_lo, 0, v59
	v_cndmask_b32_e32 v59, v76, v75, vcc_lo
; %bb.1251:                             ;   in Loop: Header=BB6_1243 Depth=3
	s_or_b32 exec_lo, exec_lo, s40
	flat_load_u16 v75, v[12:13] offset:128 th:TH_LOAD_NT
	s_wait_loadcnt_dscnt 0x0
	v_lshlrev_b32_e32 v75, 16, v75
	s_delay_alu instid0(VALU_DEP_1) | instskip(NEXT) | instid1(VALU_DEP_1)
	v_mul_f32_e32 v76, v57, v75
	v_and_b32_e32 v75, 0x7f800000, v76
	s_delay_alu instid0(VALU_DEP_1) | instskip(SKIP_2) | instid1(SALU_CYCLE_1)
	v_cmp_ne_u32_e32 vcc_lo, 0x7f800000, v75
                                        ; implicit-def: $vgpr75
	s_wait_xcnt 0x0
	s_and_saveexec_b32 s40, vcc_lo
	s_xor_b32 s40, exec_lo, s40
; %bb.1252:                             ;   in Loop: Header=BB6_1243 Depth=3
	v_bfe_u32 v75, v76, 16, 1
	s_delay_alu instid0(VALU_DEP_1)
	v_add3_u32 v75, v76, v75, 0x7fff
                                        ; implicit-def: $vgpr76
; %bb.1253:                             ;   in Loop: Header=BB6_1243 Depth=3
	s_and_not1_saveexec_b32 s40, s40
; %bb.1254:                             ;   in Loop: Header=BB6_1243 Depth=3
	v_and_b32_e32 v75, 0xffff, v76
	v_or_b32_e32 v77, 0x10000, v76
	s_delay_alu instid0(VALU_DEP_2) | instskip(NEXT) | instid1(VALU_DEP_2)
	v_cmp_eq_u32_e32 vcc_lo, 0, v75
	v_cndmask_b32_e32 v75, v77, v76, vcc_lo
; %bb.1255:                             ;   in Loop: Header=BB6_1243 Depth=3
	s_or_b32 exec_lo, exec_lo, s40
	flat_load_u16 v76, v[12:13] offset:192 th:TH_LOAD_NT
	s_wait_loadcnt_dscnt 0x0
	v_lshlrev_b32_e32 v76, 16, v76
	s_delay_alu instid0(VALU_DEP_1) | instskip(NEXT) | instid1(VALU_DEP_1)
	v_mul_f32_e32 v77, v57, v76
	v_and_b32_e32 v76, 0x7f800000, v77
	s_delay_alu instid0(VALU_DEP_1) | instskip(SKIP_2) | instid1(SALU_CYCLE_1)
	v_cmp_ne_u32_e32 vcc_lo, 0x7f800000, v76
                                        ; implicit-def: $vgpr76
	s_wait_xcnt 0x0
	s_and_saveexec_b32 s40, vcc_lo
	s_xor_b32 s40, exec_lo, s40
; %bb.1256:                             ;   in Loop: Header=BB6_1243 Depth=3
	v_bfe_u32 v76, v77, 16, 1
	s_delay_alu instid0(VALU_DEP_1)
	v_add3_u32 v76, v77, v76, 0x7fff
                                        ; implicit-def: $vgpr77
; %bb.1257:                             ;   in Loop: Header=BB6_1243 Depth=3
	s_and_not1_saveexec_b32 s40, s40
; %bb.1258:                             ;   in Loop: Header=BB6_1243 Depth=3
	v_and_b32_e32 v76, 0xffff, v77
	v_or_b32_e32 v78, 0x10000, v77
	s_delay_alu instid0(VALU_DEP_2) | instskip(NEXT) | instid1(VALU_DEP_2)
	v_cmp_eq_u32_e32 vcc_lo, 0, v76
	v_cndmask_b32_e32 v76, v78, v77, vcc_lo
; %bb.1259:                             ;   in Loop: Header=BB6_1243 Depth=3
	s_or_b32 exec_lo, exec_lo, s40
	flat_load_u16 v77, v[12:13] offset:256 th:TH_LOAD_NT
	s_wait_loadcnt_dscnt 0x0
	v_lshlrev_b32_e32 v77, 16, v77
	s_delay_alu instid0(VALU_DEP_1) | instskip(NEXT) | instid1(VALU_DEP_1)
	v_mul_f32_e32 v78, v57, v77
	v_and_b32_e32 v77, 0x7f800000, v78
	s_delay_alu instid0(VALU_DEP_1) | instskip(SKIP_2) | instid1(SALU_CYCLE_1)
	v_cmp_ne_u32_e32 vcc_lo, 0x7f800000, v77
                                        ; implicit-def: $vgpr77
	s_wait_xcnt 0x0
	s_and_saveexec_b32 s40, vcc_lo
	s_xor_b32 s40, exec_lo, s40
; %bb.1260:                             ;   in Loop: Header=BB6_1243 Depth=3
	v_bfe_u32 v77, v78, 16, 1
	s_delay_alu instid0(VALU_DEP_1)
	v_add3_u32 v77, v78, v77, 0x7fff
                                        ; implicit-def: $vgpr78
; %bb.1261:                             ;   in Loop: Header=BB6_1243 Depth=3
	s_and_not1_saveexec_b32 s40, s40
; %bb.1262:                             ;   in Loop: Header=BB6_1243 Depth=3
	v_and_b32_e32 v77, 0xffff, v78
	v_or_b32_e32 v79, 0x10000, v78
	s_delay_alu instid0(VALU_DEP_2) | instskip(NEXT) | instid1(VALU_DEP_2)
	v_cmp_eq_u32_e32 vcc_lo, 0, v77
	v_cndmask_b32_e32 v77, v79, v78, vcc_lo
; %bb.1263:                             ;   in Loop: Header=BB6_1243 Depth=3
	s_or_b32 exec_lo, exec_lo, s40
	flat_load_u16 v78, v[12:13] offset:320 th:TH_LOAD_NT
	s_wait_loadcnt_dscnt 0x0
	v_lshlrev_b32_e32 v78, 16, v78
	s_delay_alu instid0(VALU_DEP_1) | instskip(NEXT) | instid1(VALU_DEP_1)
	v_mul_f32_e32 v79, v57, v78
	v_and_b32_e32 v78, 0x7f800000, v79
	s_delay_alu instid0(VALU_DEP_1) | instskip(SKIP_2) | instid1(SALU_CYCLE_1)
	v_cmp_ne_u32_e32 vcc_lo, 0x7f800000, v78
                                        ; implicit-def: $vgpr78
	s_wait_xcnt 0x0
	s_and_saveexec_b32 s40, vcc_lo
	s_xor_b32 s40, exec_lo, s40
; %bb.1264:                             ;   in Loop: Header=BB6_1243 Depth=3
	v_bfe_u32 v78, v79, 16, 1
	s_delay_alu instid0(VALU_DEP_1)
	v_add3_u32 v78, v79, v78, 0x7fff
                                        ; implicit-def: $vgpr79
; %bb.1265:                             ;   in Loop: Header=BB6_1243 Depth=3
	s_and_not1_saveexec_b32 s40, s40
; %bb.1266:                             ;   in Loop: Header=BB6_1243 Depth=3
	v_and_b32_e32 v78, 0xffff, v79
	v_or_b32_e32 v88, 0x10000, v79
	s_delay_alu instid0(VALU_DEP_2) | instskip(NEXT) | instid1(VALU_DEP_2)
	v_cmp_eq_u32_e32 vcc_lo, 0, v78
	v_cndmask_b32_e32 v78, v88, v79, vcc_lo
; %bb.1267:                             ;   in Loop: Header=BB6_1243 Depth=3
	s_or_b32 exec_lo, exec_lo, s40
	flat_load_u16 v79, v[12:13] offset:384 th:TH_LOAD_NT
	s_wait_loadcnt_dscnt 0x0
	v_lshlrev_b32_e32 v79, 16, v79
	s_delay_alu instid0(VALU_DEP_1) | instskip(NEXT) | instid1(VALU_DEP_1)
	v_mul_f32_e32 v88, v57, v79
	v_and_b32_e32 v79, 0x7f800000, v88
	s_delay_alu instid0(VALU_DEP_1) | instskip(SKIP_2) | instid1(SALU_CYCLE_1)
	v_cmp_ne_u32_e32 vcc_lo, 0x7f800000, v79
                                        ; implicit-def: $vgpr79
	s_wait_xcnt 0x0
	s_and_saveexec_b32 s40, vcc_lo
	s_xor_b32 s40, exec_lo, s40
; %bb.1268:                             ;   in Loop: Header=BB6_1243 Depth=3
	v_bfe_u32 v79, v88, 16, 1
	s_delay_alu instid0(VALU_DEP_1)
	v_add3_u32 v79, v88, v79, 0x7fff
                                        ; implicit-def: $vgpr88
; %bb.1269:                             ;   in Loop: Header=BB6_1243 Depth=3
	s_and_not1_saveexec_b32 s40, s40
; %bb.1270:                             ;   in Loop: Header=BB6_1243 Depth=3
	v_and_b32_e32 v79, 0xffff, v88
	v_or_b32_e32 v89, 0x10000, v88
	s_delay_alu instid0(VALU_DEP_2) | instskip(NEXT) | instid1(VALU_DEP_2)
	v_cmp_eq_u32_e32 vcc_lo, 0, v79
	v_cndmask_b32_e32 v79, v89, v88, vcc_lo
; %bb.1271:                             ;   in Loop: Header=BB6_1243 Depth=3
	s_or_b32 exec_lo, exec_lo, s40
	flat_load_u16 v88, v[12:13] offset:448 th:TH_LOAD_NT
	s_wait_loadcnt_dscnt 0x0
	v_lshlrev_b32_e32 v88, 16, v88
	s_delay_alu instid0(VALU_DEP_1) | instskip(NEXT) | instid1(VALU_DEP_1)
	v_mul_f32_e32 v89, v57, v88
	v_and_b32_e32 v88, 0x7f800000, v89
	s_delay_alu instid0(VALU_DEP_1) | instskip(SKIP_2) | instid1(SALU_CYCLE_1)
	v_cmp_ne_u32_e32 vcc_lo, 0x7f800000, v88
                                        ; implicit-def: $vgpr88
	s_wait_xcnt 0x0
	s_and_saveexec_b32 s40, vcc_lo
	s_xor_b32 s40, exec_lo, s40
; %bb.1272:                             ;   in Loop: Header=BB6_1243 Depth=3
	v_bfe_u32 v88, v89, 16, 1
	s_delay_alu instid0(VALU_DEP_1)
	v_add3_u32 v88, v89, v88, 0x7fff
                                        ; implicit-def: $vgpr89
; %bb.1273:                             ;   in Loop: Header=BB6_1243 Depth=3
	s_and_not1_saveexec_b32 s40, s40
; %bb.1274:                             ;   in Loop: Header=BB6_1243 Depth=3
	v_and_b32_e32 v88, 0xffff, v89
	v_or_b32_e32 v90, 0x10000, v89
	s_delay_alu instid0(VALU_DEP_2) | instskip(NEXT) | instid1(VALU_DEP_2)
	v_cmp_eq_u32_e32 vcc_lo, 0, v88
	v_cndmask_b32_e32 v88, v90, v89, vcc_lo
; %bb.1275:                             ;   in Loop: Header=BB6_1243 Depth=3
	s_or_b32 exec_lo, exec_lo, s40
	s_clause 0x7
	flat_load_u16 v94, v[14:15] offset:128 th:TH_LOAD_NT
	flat_load_u16 v93, v[14:15] offset:192 th:TH_LOAD_NT
	;; [unrolled: 1-line block ×6, first 2 shown]
	flat_load_u16 v104, v[14:15] th:TH_LOAD_NT
	flat_load_u16 v95, v[14:15] offset:64 th:TH_LOAD_NT
	v_and_b32_e32 v58, 0xffff0000, v58
	s_wait_loadcnt_dscnt 0x101
	v_lshlrev_b32_e32 v104, 16, v104
	s_delay_alu instid0(VALU_DEP_1) | instskip(NEXT) | instid1(VALU_DEP_1)
	v_add_f32_e32 v104, v58, v104
	v_and_b32_e32 v58, 0x7f800000, v104
	s_delay_alu instid0(VALU_DEP_1) | instskip(SKIP_2) | instid1(SALU_CYCLE_1)
	v_cmp_ne_u32_e32 vcc_lo, 0x7f800000, v58
                                        ; implicit-def: $vgpr58
	s_wait_xcnt 0x0
	s_and_saveexec_b32 s40, vcc_lo
	s_xor_b32 s40, exec_lo, s40
; %bb.1276:                             ;   in Loop: Header=BB6_1243 Depth=3
	v_bfe_u32 v58, v104, 16, 1
	s_delay_alu instid0(VALU_DEP_1)
	v_add3_u32 v58, v104, v58, 0x7fff
                                        ; implicit-def: $vgpr104
; %bb.1277:                             ;   in Loop: Header=BB6_1243 Depth=3
	s_and_not1_saveexec_b32 s40, s40
; %bb.1278:                             ;   in Loop: Header=BB6_1243 Depth=3
	v_and_b32_e32 v58, 0xffff, v104
	v_or_b32_e32 v105, 0x10000, v104
	s_delay_alu instid0(VALU_DEP_2) | instskip(NEXT) | instid1(VALU_DEP_2)
	v_cmp_eq_u32_e32 vcc_lo, 0, v58
	v_cndmask_b32_e32 v58, v105, v104, vcc_lo
; %bb.1279:                             ;   in Loop: Header=BB6_1243 Depth=3
	s_or_b32 exec_lo, exec_lo, s40
	v_and_b32_e32 v59, 0xffff0000, v59
	s_wait_loadcnt_dscnt 0x0
	v_lshlrev_b32_e32 v95, 16, v95
	s_delay_alu instid0(VALU_DEP_1) | instskip(NEXT) | instid1(VALU_DEP_1)
	v_add_f32_e32 v95, v59, v95
	v_and_b32_e32 v59, 0x7f800000, v95
	s_delay_alu instid0(VALU_DEP_1) | instskip(SKIP_1) | instid1(SALU_CYCLE_1)
	v_cmp_ne_u32_e32 vcc_lo, 0x7f800000, v59
                                        ; implicit-def: $vgpr59
	s_and_saveexec_b32 s40, vcc_lo
	s_xor_b32 s40, exec_lo, s40
; %bb.1280:                             ;   in Loop: Header=BB6_1243 Depth=3
	v_bfe_u32 v59, v95, 16, 1
	s_delay_alu instid0(VALU_DEP_1)
	v_add3_u32 v59, v95, v59, 0x7fff
                                        ; implicit-def: $vgpr95
; %bb.1281:                             ;   in Loop: Header=BB6_1243 Depth=3
	s_and_not1_saveexec_b32 s40, s40
; %bb.1282:                             ;   in Loop: Header=BB6_1243 Depth=3
	v_and_b32_e32 v59, 0xffff, v95
	v_or_b32_e32 v104, 0x10000, v95
	s_delay_alu instid0(VALU_DEP_2) | instskip(NEXT) | instid1(VALU_DEP_2)
	v_cmp_eq_u32_e32 vcc_lo, 0, v59
	v_cndmask_b32_e32 v59, v104, v95, vcc_lo
; %bb.1283:                             ;   in Loop: Header=BB6_1243 Depth=3
	s_or_b32 exec_lo, exec_lo, s40
	v_and_b32_e32 v75, 0xffff0000, v75
	v_lshlrev_b32_e32 v94, 16, v94
	s_delay_alu instid0(VALU_DEP_1) | instskip(NEXT) | instid1(VALU_DEP_1)
	v_add_f32_e32 v94, v75, v94
	v_and_b32_e32 v75, 0x7f800000, v94
	s_delay_alu instid0(VALU_DEP_1) | instskip(SKIP_1) | instid1(SALU_CYCLE_1)
	v_cmp_ne_u32_e32 vcc_lo, 0x7f800000, v75
                                        ; implicit-def: $vgpr75
	s_and_saveexec_b32 s40, vcc_lo
	s_xor_b32 s40, exec_lo, s40
; %bb.1284:                             ;   in Loop: Header=BB6_1243 Depth=3
	v_bfe_u32 v75, v94, 16, 1
	s_delay_alu instid0(VALU_DEP_1)
	v_add3_u32 v75, v94, v75, 0x7fff
                                        ; implicit-def: $vgpr94
; %bb.1285:                             ;   in Loop: Header=BB6_1243 Depth=3
	s_and_not1_saveexec_b32 s40, s40
; %bb.1286:                             ;   in Loop: Header=BB6_1243 Depth=3
	v_and_b32_e32 v75, 0xffff, v94
	v_or_b32_e32 v95, 0x10000, v94
	s_delay_alu instid0(VALU_DEP_2) | instskip(NEXT) | instid1(VALU_DEP_2)
	v_cmp_eq_u32_e32 vcc_lo, 0, v75
	v_cndmask_b32_e32 v75, v95, v94, vcc_lo
; %bb.1287:                             ;   in Loop: Header=BB6_1243 Depth=3
	s_or_b32 exec_lo, exec_lo, s40
	v_and_b32_e32 v76, 0xffff0000, v76
	v_lshlrev_b32_e32 v93, 16, v93
	s_delay_alu instid0(VALU_DEP_1) | instskip(NEXT) | instid1(VALU_DEP_1)
	v_add_f32_e32 v93, v76, v93
	v_and_b32_e32 v76, 0x7f800000, v93
	s_delay_alu instid0(VALU_DEP_1) | instskip(SKIP_1) | instid1(SALU_CYCLE_1)
	v_cmp_ne_u32_e32 vcc_lo, 0x7f800000, v76
                                        ; implicit-def: $vgpr76
	s_and_saveexec_b32 s40, vcc_lo
	s_xor_b32 s40, exec_lo, s40
; %bb.1288:                             ;   in Loop: Header=BB6_1243 Depth=3
	v_bfe_u32 v76, v93, 16, 1
	s_delay_alu instid0(VALU_DEP_1)
	v_add3_u32 v76, v93, v76, 0x7fff
                                        ; implicit-def: $vgpr93
; %bb.1289:                             ;   in Loop: Header=BB6_1243 Depth=3
	s_and_not1_saveexec_b32 s40, s40
; %bb.1290:                             ;   in Loop: Header=BB6_1243 Depth=3
	v_and_b32_e32 v76, 0xffff, v93
	v_or_b32_e32 v94, 0x10000, v93
	s_delay_alu instid0(VALU_DEP_2) | instskip(NEXT) | instid1(VALU_DEP_2)
	v_cmp_eq_u32_e32 vcc_lo, 0, v76
	v_cndmask_b32_e32 v76, v94, v93, vcc_lo
; %bb.1291:                             ;   in Loop: Header=BB6_1243 Depth=3
	s_or_b32 exec_lo, exec_lo, s40
	v_and_b32_e32 v77, 0xffff0000, v77
	v_lshlrev_b32_e32 v92, 16, v92
	s_delay_alu instid0(VALU_DEP_1) | instskip(NEXT) | instid1(VALU_DEP_1)
	v_add_f32_e32 v92, v77, v92
	v_and_b32_e32 v77, 0x7f800000, v92
	s_delay_alu instid0(VALU_DEP_1) | instskip(SKIP_1) | instid1(SALU_CYCLE_1)
	v_cmp_ne_u32_e32 vcc_lo, 0x7f800000, v77
                                        ; implicit-def: $vgpr77
	s_and_saveexec_b32 s40, vcc_lo
	s_xor_b32 s40, exec_lo, s40
; %bb.1292:                             ;   in Loop: Header=BB6_1243 Depth=3
	v_bfe_u32 v77, v92, 16, 1
	s_delay_alu instid0(VALU_DEP_1)
	v_add3_u32 v77, v92, v77, 0x7fff
                                        ; implicit-def: $vgpr92
; %bb.1293:                             ;   in Loop: Header=BB6_1243 Depth=3
	s_and_not1_saveexec_b32 s40, s40
; %bb.1294:                             ;   in Loop: Header=BB6_1243 Depth=3
	v_and_b32_e32 v77, 0xffff, v92
	v_or_b32_e32 v93, 0x10000, v92
	s_delay_alu instid0(VALU_DEP_2) | instskip(NEXT) | instid1(VALU_DEP_2)
	v_cmp_eq_u32_e32 vcc_lo, 0, v77
	v_cndmask_b32_e32 v77, v93, v92, vcc_lo
; %bb.1295:                             ;   in Loop: Header=BB6_1243 Depth=3
	s_or_b32 exec_lo, exec_lo, s40
	v_and_b32_e32 v78, 0xffff0000, v78
	v_lshlrev_b32_e32 v91, 16, v91
	s_delay_alu instid0(VALU_DEP_1) | instskip(NEXT) | instid1(VALU_DEP_1)
	v_add_f32_e32 v91, v78, v91
	v_and_b32_e32 v78, 0x7f800000, v91
	s_delay_alu instid0(VALU_DEP_1) | instskip(SKIP_1) | instid1(SALU_CYCLE_1)
	v_cmp_ne_u32_e32 vcc_lo, 0x7f800000, v78
                                        ; implicit-def: $vgpr78
	s_and_saveexec_b32 s40, vcc_lo
	s_xor_b32 s40, exec_lo, s40
; %bb.1296:                             ;   in Loop: Header=BB6_1243 Depth=3
	v_bfe_u32 v78, v91, 16, 1
	s_delay_alu instid0(VALU_DEP_1)
	v_add3_u32 v78, v91, v78, 0x7fff
                                        ; implicit-def: $vgpr91
; %bb.1297:                             ;   in Loop: Header=BB6_1243 Depth=3
	s_and_not1_saveexec_b32 s40, s40
; %bb.1298:                             ;   in Loop: Header=BB6_1243 Depth=3
	v_and_b32_e32 v78, 0xffff, v91
	v_or_b32_e32 v92, 0x10000, v91
	s_delay_alu instid0(VALU_DEP_2) | instskip(NEXT) | instid1(VALU_DEP_2)
	v_cmp_eq_u32_e32 vcc_lo, 0, v78
	v_cndmask_b32_e32 v78, v92, v91, vcc_lo
; %bb.1299:                             ;   in Loop: Header=BB6_1243 Depth=3
	s_or_b32 exec_lo, exec_lo, s40
	v_and_b32_e32 v79, 0xffff0000, v79
	v_lshlrev_b32_e32 v90, 16, v90
	s_delay_alu instid0(VALU_DEP_1) | instskip(NEXT) | instid1(VALU_DEP_1)
	v_add_f32_e32 v90, v79, v90
	v_and_b32_e32 v79, 0x7f800000, v90
	s_delay_alu instid0(VALU_DEP_1) | instskip(SKIP_1) | instid1(SALU_CYCLE_1)
	v_cmp_ne_u32_e32 vcc_lo, 0x7f800000, v79
                                        ; implicit-def: $vgpr79
	s_and_saveexec_b32 s40, vcc_lo
	s_xor_b32 s40, exec_lo, s40
; %bb.1300:                             ;   in Loop: Header=BB6_1243 Depth=3
	v_bfe_u32 v79, v90, 16, 1
	s_delay_alu instid0(VALU_DEP_1)
	v_add3_u32 v79, v90, v79, 0x7fff
                                        ; implicit-def: $vgpr90
; %bb.1301:                             ;   in Loop: Header=BB6_1243 Depth=3
	s_and_not1_saveexec_b32 s40, s40
; %bb.1302:                             ;   in Loop: Header=BB6_1243 Depth=3
	v_and_b32_e32 v79, 0xffff, v90
	v_or_b32_e32 v91, 0x10000, v90
	s_delay_alu instid0(VALU_DEP_2) | instskip(NEXT) | instid1(VALU_DEP_2)
	v_cmp_eq_u32_e32 vcc_lo, 0, v79
	v_cndmask_b32_e32 v79, v91, v90, vcc_lo
; %bb.1303:                             ;   in Loop: Header=BB6_1243 Depth=3
	s_or_b32 exec_lo, exec_lo, s40
	v_and_b32_e32 v88, 0xffff0000, v88
	v_lshlrev_b32_e32 v89, 16, v89
	s_delay_alu instid0(VALU_DEP_1) | instskip(NEXT) | instid1(VALU_DEP_1)
	v_add_f32_e32 v89, v88, v89
	v_and_b32_e32 v88, 0x7f800000, v89
	s_delay_alu instid0(VALU_DEP_1) | instskip(SKIP_1) | instid1(SALU_CYCLE_1)
	v_cmp_ne_u32_e32 vcc_lo, 0x7f800000, v88
                                        ; implicit-def: $vgpr88
	s_and_saveexec_b32 s40, vcc_lo
	s_xor_b32 s40, exec_lo, s40
; %bb.1304:                             ;   in Loop: Header=BB6_1243 Depth=3
	v_bfe_u32 v88, v89, 16, 1
	s_delay_alu instid0(VALU_DEP_1)
	v_add3_u32 v88, v89, v88, 0x7fff
                                        ; implicit-def: $vgpr89
; %bb.1305:                             ;   in Loop: Header=BB6_1243 Depth=3
	s_and_not1_saveexec_b32 s40, s40
	s_cbranch_execz .LBB6_1242
; %bb.1306:                             ;   in Loop: Header=BB6_1243 Depth=3
	v_and_b32_e32 v88, 0xffff, v89
	v_or_b32_e32 v90, 0x10000, v89
	s_delay_alu instid0(VALU_DEP_2) | instskip(NEXT) | instid1(VALU_DEP_2)
	v_cmp_eq_u32_e32 vcc_lo, 0, v88
	v_cndmask_b32_e32 v88, v90, v89, vcc_lo
	s_branch .LBB6_1242
.LBB6_1307:                             ;   in Loop: Header=BB6_955 Depth=2
	s_or_b32 exec_lo, exec_lo, s14
.LBB6_1308:                             ;   in Loop: Header=BB6_955 Depth=2
	s_delay_alu instid0(SALU_CYCLE_1) | instskip(SKIP_1) | instid1(VALU_DEP_1)
	s_or_b32 exec_lo, exec_lo, s13
	v_lshlrev_b32_e32 v8, 9, v56
	v_cmp_ne_u32_e32 vcc_lo, v45, v8
	s_and_b32 exec_lo, exec_lo, vcc_lo
	s_cbranch_execz .LBB6_1322
; %bb.1309:                             ;   in Loop: Header=BB6_955 Depth=2
	v_lshlrev_b32_e32 v9, 5, v115
	s_delay_alu instid0(VALU_DEP_1) | instskip(NEXT) | instid1(VALU_DEP_1)
	v_dual_lshlrev_b32 v10, 5, v47 :: v_dual_sub_nc_u32 v9, v46, v9
	v_sub_nc_u32_e32 v9, v9, v10
	s_delay_alu instid0(VALU_DEP_1) | instskip(NEXT) | instid1(VALU_DEP_1)
	v_ashrrev_i32_e32 v10, 31, v9
	v_lshrrev_b32_e32 v10, 27, v10
	s_delay_alu instid0(VALU_DEP_1) | instskip(NEXT) | instid1(VALU_DEP_1)
	v_add_nc_u32_e32 v10, v9, v10
	v_and_b32_e32 v11, 0x7fffffe0, v10
	s_delay_alu instid0(VALU_DEP_1) | instskip(NEXT) | instid1(VALU_DEP_1)
	v_dual_lshlrev_b32 v10, 1, v10 :: v_dual_sub_nc_u32 v9, v9, v11
	v_and_b32_e32 v10, 0xffffffc0, v10
	s_delay_alu instid0(VALU_DEP_2) | instskip(NEXT) | instid1(VALU_DEP_1)
	v_lshlrev_b32_e32 v9, 1, v9
	v_add3_u32 v8, v10, v9, v8
	s_delay_alu instid0(VALU_DEP_1) | instskip(NEXT) | instid1(VALU_DEP_1)
	v_sub_nc_u32_e32 v115, v45, v8
	v_cmp_lt_i32_e32 vcc_lo, 1, v115
	s_and_b32 exec_lo, exec_lo, vcc_lo
	s_cbranch_execz .LBB6_1322
; %bb.1310:                             ;   in Loop: Header=BB6_955 Depth=2
	s_trap 2
	ds_load_b64 v[14:15], v0
	ds_load_b32 v46, v0
	v_add_nc_u32_e32 v44, v8, v44
	s_mov_b32 s62, 0
	s_delay_alu instid0(VALU_DEP_1) | instskip(NEXT) | instid1(VALU_DEP_1)
	v_ashrrev_i32_e32 v45, 31, v44
	v_add_nc_u64_e32 v[10:11], v[44:45], v[42:43]
	s_wait_dscnt 0x0
	v_lshlrev_b32_e32 v42, 16, v46
	v_add_nc_u64_e32 v[8:9], v[44:45], v[40:41]
	v_add_nc_u64_e32 v[12:13], v[44:45], v[118:119]
	v_add_nc_u64_e32 v[14:15], v[14:15], v[44:45]
.LBB6_1311:                             ;   Parent Loop BB6_47 Depth=1
                                        ;     Parent Loop BB6_955 Depth=2
                                        ; =>    This Loop Header: Depth=3
                                        ;         Child Loop BB6_1320 Depth 4
	flat_load_u16 v43, v[12:13] th:TH_LOAD_NT
	s_wait_loadcnt_dscnt 0x0
	v_lshlrev_b32_e32 v43, 16, v43
	s_delay_alu instid0(VALU_DEP_1) | instskip(NEXT) | instid1(VALU_DEP_1)
	v_mul_f32_e32 v43, v42, v43
	v_and_b32_e32 v44, 0x7f800000, v43
	s_delay_alu instid0(VALU_DEP_1) | instskip(SKIP_2) | instid1(SALU_CYCLE_1)
	v_cmp_ne_u32_e32 vcc_lo, 0x7f800000, v44
                                        ; implicit-def: $vgpr44
	s_wait_xcnt 0x0
	s_and_saveexec_b32 s13, vcc_lo
	s_xor_b32 s13, exec_lo, s13
; %bb.1312:                             ;   in Loop: Header=BB6_1311 Depth=3
	v_bfe_u32 v44, v43, 16, 1
	s_delay_alu instid0(VALU_DEP_1)
	v_add3_u32 v44, v43, v44, 0x7fff
                                        ; implicit-def: $vgpr43
; %bb.1313:                             ;   in Loop: Header=BB6_1311 Depth=3
	s_and_not1_saveexec_b32 s13, s13
; %bb.1314:                             ;   in Loop: Header=BB6_1311 Depth=3
	v_and_b32_e32 v44, 0xffff, v43
	v_or_b32_e32 v45, 0x10000, v43
	s_delay_alu instid0(VALU_DEP_2) | instskip(NEXT) | instid1(VALU_DEP_2)
	v_cmp_eq_u32_e32 vcc_lo, 0, v44
	v_cndmask_b32_e32 v44, v45, v43, vcc_lo
; %bb.1315:                             ;   in Loop: Header=BB6_1311 Depth=3
	s_or_b32 exec_lo, exec_lo, s13
	flat_load_u16 v43, v[14:15] th:TH_LOAD_NT
	v_and_b32_e32 v44, 0xffff0000, v44
	s_wait_loadcnt_dscnt 0x0
	v_lshlrev_b32_e32 v43, 16, v43
	s_delay_alu instid0(VALU_DEP_1) | instskip(NEXT) | instid1(VALU_DEP_1)
	v_add_f32_e32 v43, v44, v43
	v_and_b32_e32 v44, 0x7f800000, v43
	s_delay_alu instid0(VALU_DEP_1) | instskip(SKIP_2) | instid1(SALU_CYCLE_1)
	v_cmp_ne_u32_e32 vcc_lo, 0x7f800000, v44
                                        ; implicit-def: $vgpr44
	s_wait_xcnt 0x0
	s_and_saveexec_b32 s13, vcc_lo
	s_xor_b32 s13, exec_lo, s13
; %bb.1316:                             ;   in Loop: Header=BB6_1311 Depth=3
	v_bfe_u32 v44, v43, 16, 1
	s_delay_alu instid0(VALU_DEP_1)
	v_add3_u32 v44, v43, v44, 0x7fff
                                        ; implicit-def: $vgpr43
; %bb.1317:                             ;   in Loop: Header=BB6_1311 Depth=3
	s_and_not1_saveexec_b32 s13, s13
; %bb.1318:                             ;   in Loop: Header=BB6_1311 Depth=3
	v_and_b32_e32 v44, 0xffff, v43
	v_or_b32_e32 v45, 0x10000, v43
	s_delay_alu instid0(VALU_DEP_2) | instskip(NEXT) | instid1(VALU_DEP_2)
	v_cmp_eq_u32_e32 vcc_lo, 0, v44
	v_cndmask_b32_e32 v44, v45, v43, vcc_lo
; %bb.1319:                             ;   in Loop: Header=BB6_1311 Depth=3
	s_or_b32 exec_lo, exec_lo, s13
	s_delay_alu instid0(VALU_DEP_1)
	v_lshrrev_b32_e32 v43, 16, v44
	s_mov_b64 s[40:41], 0
	s_mov_b32 s63, -1
.LBB6_1320:                             ;   Parent Loop BB6_47 Depth=1
                                        ;     Parent Loop BB6_955 Depth=2
                                        ;       Parent Loop BB6_1311 Depth=3
                                        ; =>      This Inner Loop Header: Depth=4
	s_cmp_eq_u32 s40, 1
	s_cselect_b32 vcc_lo, -1, 0
	s_cmp_eq_u32 s40, 0
	s_wait_xcnt 0x0
	v_dual_cndmask_b32 v45, v9, v11 :: v_dual_cndmask_b32 v44, v8, v10
	s_cselect_b32 s13, -1, 0
	s_and_b32 s14, exec_lo, s63
	s_mov_b64 s[40:41], 1
	s_mov_b32 s63, 0
	v_add_nc_u64_e32 v[46:47], 64, v[44:45]
	flat_store_b16 v[44:45], v43 th:TH_STORE_NT
	v_dual_cndmask_b32 v11, v11, v47 :: v_dual_cndmask_b32 v10, v10, v46
	v_dual_cndmask_b32 v9, v9, v47, s13 :: v_dual_cndmask_b32 v8, v8, v46, s13
	s_mov_b32 vcc_lo, s14
	s_cbranch_vccnz .LBB6_1320
; %bb.1321:                             ;   in Loop: Header=BB6_1311 Depth=3
	v_sub_nc_u32_e32 v115, v115, v64
	v_add_nc_u64_e32 v[12:13], v[12:13], v[86:87]
	v_add_nc_u64_e32 v[14:15], v[14:15], v[86:87]
	;; [unrolled: 1-line block ×4, first 2 shown]
	v_cmp_gt_i32_e32 vcc_lo, 2, v115
	s_or_b32 s62, vcc_lo, s62
	s_wait_xcnt 0x0
	s_and_not1_b32 exec_lo, exec_lo, s62
	s_cbranch_execnz .LBB6_1311
.LBB6_1322:                             ;   in Loop: Header=BB6_955 Depth=2
	s_or_b32 exec_lo, exec_lo, s15
	s_mov_b32 s13, 0
.LBB6_1323:                             ;   in Loop: Header=BB6_955 Depth=2
	s_delay_alu instid0(SALU_CYCLE_1)
	s_and_b32 vcc_lo, exec_lo, s13
	s_cbranch_vccz .LBB6_1614
; %bb.1324:                             ;   in Loop: Header=BB6_955 Depth=2
	s_mov_b32 s13, -1
	s_and_saveexec_b32 s14, s11
	s_cbranch_execz .LBB6_1326
; %bb.1325:                             ;   in Loop: Header=BB6_955 Depth=2
	ds_load_b32 v8, v0 offset:720
	s_wait_dscnt 0x0
	v_and_b32_e32 v8, 15, v8
	s_delay_alu instid0(VALU_DEP_1)
	v_cmp_eq_u32_e32 vcc_lo, 0, v8
	s_or_not1_b32 s13, vcc_lo, exec_lo
.LBB6_1326:                             ;   in Loop: Header=BB6_955 Depth=2
	s_or_b32 exec_lo, exec_lo, s14
	s_and_saveexec_b32 s14, s7
	s_cbranch_execz .LBB6_1328
; %bb.1327:                             ;   in Loop: Header=BB6_955 Depth=2
	ds_load_b32 v8, v0 offset:784
	s_wait_dscnt 0x0
	v_and_b32_e32 v8, 15, v8
	s_delay_alu instid0(VALU_DEP_1) | instskip(SKIP_3) | instid1(SALU_CYCLE_1)
	v_cmp_eq_u32_e32 vcc_lo, 0, v8
	s_and_b32 s15, s13, vcc_lo
	s_and_not1_b32 s13, s13, exec_lo
	s_and_b32 s15, s15, exec_lo
	s_or_b32 s13, s13, s15
.LBB6_1328:                             ;   in Loop: Header=BB6_955 Depth=2
	s_or_b32 exec_lo, exec_lo, s14
	s_xor_b32 s13, s13, -1
	v_mov_b32_e32 v14, 0
	v_cndmask_b32_e64 v8, 0, 1, s13
	s_mov_b32 s15, -1
	s_delay_alu instid0(VALU_DEP_1)
	v_cmp_ne_u32_e32 vcc_lo, 0, v8
	s_cbranch_vccz .LBB6_1330
; %bb.1329:                             ;   in Loop: Header=BB6_955 Depth=2
	v_mov_b32_e32 v15, v0
	s_and_saveexec_b32 s13, s15
	s_cbranch_execnz .LBB6_1533
	s_branch .LBB6_1613
.LBB6_1330:                             ;   in Loop: Header=BB6_955 Depth=2
	v_ashrrev_i32_e32 v8, 31, v113
	s_mov_b32 s13, exec_lo
	s_delay_alu instid0(VALU_DEP_1) | instskip(NEXT) | instid1(VALU_DEP_1)
	v_lshrrev_b32_e32 v8, 22, v8
	v_add_nc_u32_e32 v8, v113, v8
	s_delay_alu instid0(VALU_DEP_1) | instskip(NEXT) | instid1(VALU_DEP_1)
	v_ashrrev_i32_e32 v56, 10, v8
	v_sub_nc_u32_e32 v115, v56, v62
	s_delay_alu instid0(VALU_DEP_1)
	v_cmpx_lt_i32_e32 0, v115
	s_cbranch_execz .LBB6_1462
; %bb.1331:                             ;   in Loop: Header=BB6_955 Depth=2
	s_trap 2
	ds_load_b64 v[8:9], v0
	ds_load_b32 v10, v0
	v_add_nc_u64_e32 v[42:43], v[118:119], v[66:67]
	v_add_nc_u64_e32 v[46:47], v[40:41], v[66:67]
	s_mov_b32 s14, 0
	s_wait_dscnt 0x1
	v_add_nc_u64_e32 v[44:45], v[8:9], v[66:67]
	s_wait_dscnt 0x0
	v_lshlrev_b32_e32 v57, 16, v10
	s_branch .LBB6_1333
.LBB6_1332:                             ;   in Loop: Header=BB6_1333 Depth=3
	s_or_b32 exec_lo, exec_lo, s15
	v_dual_lshrrev_b32 v58, 16, v95 :: v_dual_lshrrev_b32 v75, 16, v76
	v_lshrrev_b32_e32 v76, 16, v93
	v_dual_lshrrev_b32 v77, 16, v77 :: v_dual_lshrrev_b32 v59, 16, v59
	s_delay_alu instid0(VALU_DEP_3) | instskip(SKIP_4) | instid1(VALU_DEP_4)
	v_and_or_b32 v13, 0xffff0000, v13, v58
	v_lshrrev_b32_e32 v58, 16, v91
	v_and_or_b32 v12, 0xffff0000, v12, v75
	v_and_or_b32 v14, 0xffff0000, v14, v76
	v_dual_lshrrev_b32 v75, 16, v79 :: v_dual_lshrrev_b32 v76, 16, v89
	v_and_or_b32 v15, 0xffff0000, v15, v58
	v_sub_nc_u32_e32 v115, v115, v36
	v_and_or_b32 v10, 0xffff0000, v10, v77
	s_delay_alu instid0(VALU_DEP_4)
	v_and_or_b32 v9, 0xffff0000, v9, v75
	v_and_or_b32 v8, 0xffff0000, v8, v76
	v_and_or_b32 v11, 0xffff0000, v11, v59
	s_clause 0x1
	global_store_b128 v[46:47], v[12:15], off th:TH_STORE_NT
	global_store_b128 v[46:47], v[8:11], off offset:512 th:TH_STORE_NT
	v_add_nc_u64_e32 v[42:43], v[42:43], v[68:69]
	v_add_nc_u64_e32 v[44:45], v[44:45], v[68:69]
	v_cmp_gt_i32_e32 vcc_lo, 1, v115
	s_wait_xcnt 0x0
	v_add_nc_u64_e32 v[46:47], v[46:47], v[68:69]
	s_or_b32 s14, vcc_lo, s14
	s_delay_alu instid0(SALU_CYCLE_1)
	s_and_not1_b32 exec_lo, exec_lo, s14
	s_cbranch_execz .LBB6_1461
.LBB6_1333:                             ;   Parent Loop BB6_47 Depth=1
                                        ;     Parent Loop BB6_955 Depth=2
                                        ; =>    This Inner Loop Header: Depth=3
	global_load_b128 v[8:11], v[42:43], off th:TH_LOAD_NT
	s_mov_b32 s15, exec_lo
                                        ; implicit-def: $vgpr76
	s_wait_loadcnt 0x0
	v_lshlrev_b32_e32 v12, 16, v8
	s_delay_alu instid0(VALU_DEP_1) | instskip(NEXT) | instid1(VALU_DEP_1)
	v_mul_f32_e32 v12, v57, v12
	v_and_b32_e32 v13, 0x7f800000, v12
	s_wait_xcnt 0x0
	s_delay_alu instid0(VALU_DEP_1)
	v_cmpx_ne_u32_e32 0x7f800000, v13
	s_xor_b32 s15, exec_lo, s15
; %bb.1334:                             ;   in Loop: Header=BB6_1333 Depth=3
	v_bfe_u32 v13, v12, 16, 1
	s_delay_alu instid0(VALU_DEP_1)
	v_add3_u32 v76, v12, v13, 0x7fff
                                        ; implicit-def: $vgpr12
; %bb.1335:                             ;   in Loop: Header=BB6_1333 Depth=3
	s_and_not1_saveexec_b32 s15, s15
; %bb.1336:                             ;   in Loop: Header=BB6_1333 Depth=3
	v_and_b32_e32 v13, 0xffff, v12
	v_or_b32_e32 v14, 0x10000, v12
	s_delay_alu instid0(VALU_DEP_2) | instskip(NEXT) | instid1(VALU_DEP_2)
	v_cmp_eq_u32_e32 vcc_lo, 0, v13
	v_cndmask_b32_e32 v76, v14, v12, vcc_lo
; %bb.1337:                             ;   in Loop: Header=BB6_1333 Depth=3
	s_or_b32 exec_lo, exec_lo, s15
	v_and_b32_e32 v8, 0xffff0000, v8
	s_mov_b32 s15, exec_lo
                                        ; implicit-def: $vgpr95
	s_delay_alu instid0(VALU_DEP_1) | instskip(NEXT) | instid1(VALU_DEP_1)
	v_mul_f32_e32 v8, v57, v8
	v_and_b32_e32 v12, 0x7f800000, v8
	s_delay_alu instid0(VALU_DEP_1)
	v_cmpx_ne_u32_e32 0x7f800000, v12
	s_xor_b32 s15, exec_lo, s15
; %bb.1338:                             ;   in Loop: Header=BB6_1333 Depth=3
	v_bfe_u32 v12, v8, 16, 1
	s_delay_alu instid0(VALU_DEP_1)
	v_add3_u32 v95, v8, v12, 0x7fff
                                        ; implicit-def: $vgpr8
; %bb.1339:                             ;   in Loop: Header=BB6_1333 Depth=3
	s_and_not1_saveexec_b32 s15, s15
; %bb.1340:                             ;   in Loop: Header=BB6_1333 Depth=3
	v_and_b32_e32 v12, 0xffff, v8
	v_or_b32_e32 v13, 0x10000, v8
	s_delay_alu instid0(VALU_DEP_2) | instskip(NEXT) | instid1(VALU_DEP_2)
	v_cmp_eq_u32_e32 vcc_lo, 0, v12
	v_cndmask_b32_e32 v95, v13, v8, vcc_lo
; %bb.1341:                             ;   in Loop: Header=BB6_1333 Depth=3
	s_or_b32 exec_lo, exec_lo, s15
	v_lshlrev_b32_e32 v8, 16, v9
	s_mov_b32 s15, exec_lo
                                        ; implicit-def: $vgpr104
	s_delay_alu instid0(VALU_DEP_1) | instskip(NEXT) | instid1(VALU_DEP_1)
	v_mul_f32_e32 v8, v57, v8
	v_and_b32_e32 v12, 0x7f800000, v8
	s_delay_alu instid0(VALU_DEP_1)
	v_cmpx_ne_u32_e32 0x7f800000, v12
	s_xor_b32 s15, exec_lo, s15
; %bb.1342:                             ;   in Loop: Header=BB6_1333 Depth=3
	v_bfe_u32 v12, v8, 16, 1
	s_delay_alu instid0(VALU_DEP_1)
	v_add3_u32 v104, v8, v12, 0x7fff
                                        ; implicit-def: $vgpr8
; %bb.1343:                             ;   in Loop: Header=BB6_1333 Depth=3
	s_and_not1_saveexec_b32 s15, s15
; %bb.1344:                             ;   in Loop: Header=BB6_1333 Depth=3
	v_and_b32_e32 v12, 0xffff, v8
	v_or_b32_e32 v13, 0x10000, v8
	s_delay_alu instid0(VALU_DEP_2) | instskip(NEXT) | instid1(VALU_DEP_2)
	v_cmp_eq_u32_e32 vcc_lo, 0, v12
	v_cndmask_b32_e32 v104, v13, v8, vcc_lo
; %bb.1345:                             ;   in Loop: Header=BB6_1333 Depth=3
	s_or_b32 exec_lo, exec_lo, s15
	v_and_b32_e32 v8, 0xffff0000, v9
	s_mov_b32 s15, exec_lo
                                        ; implicit-def: $vgpr93
	s_delay_alu instid0(VALU_DEP_1) | instskip(NEXT) | instid1(VALU_DEP_1)
	v_mul_f32_e32 v8, v57, v8
	v_and_b32_e32 v9, 0x7f800000, v8
	s_delay_alu instid0(VALU_DEP_1)
	v_cmpx_ne_u32_e32 0x7f800000, v9
	s_xor_b32 s15, exec_lo, s15
; %bb.1346:                             ;   in Loop: Header=BB6_1333 Depth=3
	v_bfe_u32 v9, v8, 16, 1
	s_delay_alu instid0(VALU_DEP_1)
	v_add3_u32 v93, v8, v9, 0x7fff
                                        ; implicit-def: $vgpr8
; %bb.1347:                             ;   in Loop: Header=BB6_1333 Depth=3
	s_and_not1_saveexec_b32 s15, s15
; %bb.1348:                             ;   in Loop: Header=BB6_1333 Depth=3
	v_and_b32_e32 v9, 0xffff, v8
	v_or_b32_e32 v12, 0x10000, v8
	s_delay_alu instid0(VALU_DEP_2) | instskip(NEXT) | instid1(VALU_DEP_2)
	v_cmp_eq_u32_e32 vcc_lo, 0, v9
	v_cndmask_b32_e32 v93, v12, v8, vcc_lo
; %bb.1349:                             ;   in Loop: Header=BB6_1333 Depth=3
	s_or_b32 exec_lo, exec_lo, s15
	v_lshlrev_b32_e32 v8, 16, v10
	s_mov_b32 s15, exec_lo
                                        ; implicit-def: $vgpr94
	s_delay_alu instid0(VALU_DEP_1) | instskip(NEXT) | instid1(VALU_DEP_1)
	v_mul_f32_e32 v8, v57, v8
	v_and_b32_e32 v9, 0x7f800000, v8
	s_delay_alu instid0(VALU_DEP_1)
	v_cmpx_ne_u32_e32 0x7f800000, v9
	s_xor_b32 s15, exec_lo, s15
; %bb.1350:                             ;   in Loop: Header=BB6_1333 Depth=3
	v_bfe_u32 v9, v8, 16, 1
	s_delay_alu instid0(VALU_DEP_1)
	v_add3_u32 v94, v8, v9, 0x7fff
                                        ; implicit-def: $vgpr8
; %bb.1351:                             ;   in Loop: Header=BB6_1333 Depth=3
	s_and_not1_saveexec_b32 s15, s15
; %bb.1352:                             ;   in Loop: Header=BB6_1333 Depth=3
	v_and_b32_e32 v9, 0xffff, v8
	v_or_b32_e32 v12, 0x10000, v8
	s_delay_alu instid0(VALU_DEP_2) | instskip(NEXT) | instid1(VALU_DEP_2)
	v_cmp_eq_u32_e32 vcc_lo, 0, v9
	v_cndmask_b32_e32 v94, v12, v8, vcc_lo
; %bb.1353:                             ;   in Loop: Header=BB6_1333 Depth=3
	s_or_b32 exec_lo, exec_lo, s15
	v_and_b32_e32 v8, 0xffff0000, v10
	s_mov_b32 s15, exec_lo
                                        ; implicit-def: $vgpr91
	s_delay_alu instid0(VALU_DEP_1) | instskip(NEXT) | instid1(VALU_DEP_1)
	v_mul_f32_e32 v8, v57, v8
	v_and_b32_e32 v9, 0x7f800000, v8
	s_delay_alu instid0(VALU_DEP_1)
	v_cmpx_ne_u32_e32 0x7f800000, v9
	s_xor_b32 s15, exec_lo, s15
; %bb.1354:                             ;   in Loop: Header=BB6_1333 Depth=3
	v_bfe_u32 v9, v8, 16, 1
	s_delay_alu instid0(VALU_DEP_1)
	v_add3_u32 v91, v8, v9, 0x7fff
                                        ; implicit-def: $vgpr8
; %bb.1355:                             ;   in Loop: Header=BB6_1333 Depth=3
	s_and_not1_saveexec_b32 s15, s15
; %bb.1356:                             ;   in Loop: Header=BB6_1333 Depth=3
	v_and_b32_e32 v9, 0xffff, v8
	v_or_b32_e32 v10, 0x10000, v8
	s_delay_alu instid0(VALU_DEP_2) | instskip(NEXT) | instid1(VALU_DEP_2)
	v_cmp_eq_u32_e32 vcc_lo, 0, v9
	v_cndmask_b32_e32 v91, v10, v8, vcc_lo
; %bb.1357:                             ;   in Loop: Header=BB6_1333 Depth=3
	s_or_b32 exec_lo, exec_lo, s15
	v_lshlrev_b32_e32 v8, 16, v11
	s_mov_b32 s15, exec_lo
                                        ; implicit-def: $vgpr92
	s_delay_alu instid0(VALU_DEP_1) | instskip(NEXT) | instid1(VALU_DEP_1)
	v_mul_f32_e32 v8, v57, v8
	v_and_b32_e32 v9, 0x7f800000, v8
	s_delay_alu instid0(VALU_DEP_1)
	v_cmpx_ne_u32_e32 0x7f800000, v9
	s_xor_b32 s15, exec_lo, s15
; %bb.1358:                             ;   in Loop: Header=BB6_1333 Depth=3
	v_bfe_u32 v9, v8, 16, 1
	s_delay_alu instid0(VALU_DEP_1)
	v_add3_u32 v92, v8, v9, 0x7fff
                                        ; implicit-def: $vgpr8
; %bb.1359:                             ;   in Loop: Header=BB6_1333 Depth=3
	s_and_not1_saveexec_b32 s15, s15
; %bb.1360:                             ;   in Loop: Header=BB6_1333 Depth=3
	v_and_b32_e32 v9, 0xffff, v8
	v_or_b32_e32 v10, 0x10000, v8
	s_delay_alu instid0(VALU_DEP_2) | instskip(NEXT) | instid1(VALU_DEP_2)
	v_cmp_eq_u32_e32 vcc_lo, 0, v9
	v_cndmask_b32_e32 v92, v10, v8, vcc_lo
; %bb.1361:                             ;   in Loop: Header=BB6_1333 Depth=3
	s_or_b32 exec_lo, exec_lo, s15
	v_and_b32_e32 v8, 0xffff0000, v11
	s_mov_b32 s15, exec_lo
                                        ; implicit-def: $vgpr89
	s_delay_alu instid0(VALU_DEP_1) | instskip(NEXT) | instid1(VALU_DEP_1)
	v_mul_f32_e32 v8, v57, v8
	v_and_b32_e32 v9, 0x7f800000, v8
	s_delay_alu instid0(VALU_DEP_1)
	v_cmpx_ne_u32_e32 0x7f800000, v9
	s_xor_b32 s15, exec_lo, s15
; %bb.1362:                             ;   in Loop: Header=BB6_1333 Depth=3
	v_bfe_u32 v9, v8, 16, 1
	s_delay_alu instid0(VALU_DEP_1)
	v_add3_u32 v89, v8, v9, 0x7fff
                                        ; implicit-def: $vgpr8
; %bb.1363:                             ;   in Loop: Header=BB6_1333 Depth=3
	s_and_not1_saveexec_b32 s15, s15
; %bb.1364:                             ;   in Loop: Header=BB6_1333 Depth=3
	v_and_b32_e32 v9, 0xffff, v8
	v_or_b32_e32 v10, 0x10000, v8
	s_delay_alu instid0(VALU_DEP_2) | instskip(NEXT) | instid1(VALU_DEP_2)
	v_cmp_eq_u32_e32 vcc_lo, 0, v9
	v_cndmask_b32_e32 v89, v10, v8, vcc_lo
; %bb.1365:                             ;   in Loop: Header=BB6_1333 Depth=3
	s_or_b32 exec_lo, exec_lo, s15
	global_load_b128 v[8:11], v[42:43], off offset:512 th:TH_LOAD_NT
	s_mov_b32 s15, exec_lo
                                        ; implicit-def: $vgpr90
	s_wait_loadcnt 0x0
	v_lshlrev_b32_e32 v12, 16, v8
	s_delay_alu instid0(VALU_DEP_1) | instskip(NEXT) | instid1(VALU_DEP_1)
	v_mul_f32_e32 v12, v57, v12
	v_and_b32_e32 v13, 0x7f800000, v12
	s_wait_xcnt 0x0
	s_delay_alu instid0(VALU_DEP_1)
	v_cmpx_ne_u32_e32 0x7f800000, v13
	s_xor_b32 s15, exec_lo, s15
; %bb.1366:                             ;   in Loop: Header=BB6_1333 Depth=3
	v_bfe_u32 v13, v12, 16, 1
	s_delay_alu instid0(VALU_DEP_1)
	v_add3_u32 v90, v12, v13, 0x7fff
                                        ; implicit-def: $vgpr12
; %bb.1367:                             ;   in Loop: Header=BB6_1333 Depth=3
	s_and_not1_saveexec_b32 s15, s15
; %bb.1368:                             ;   in Loop: Header=BB6_1333 Depth=3
	v_and_b32_e32 v13, 0xffff, v12
	v_or_b32_e32 v14, 0x10000, v12
	s_delay_alu instid0(VALU_DEP_2) | instskip(NEXT) | instid1(VALU_DEP_2)
	v_cmp_eq_u32_e32 vcc_lo, 0, v13
	v_cndmask_b32_e32 v90, v14, v12, vcc_lo
; %bb.1369:                             ;   in Loop: Header=BB6_1333 Depth=3
	s_or_b32 exec_lo, exec_lo, s15
	v_and_b32_e32 v8, 0xffff0000, v8
	s_mov_b32 s15, exec_lo
                                        ; implicit-def: $vgpr79
	s_delay_alu instid0(VALU_DEP_1) | instskip(NEXT) | instid1(VALU_DEP_1)
	v_mul_f32_e32 v8, v57, v8
	v_and_b32_e32 v12, 0x7f800000, v8
	s_delay_alu instid0(VALU_DEP_1)
	v_cmpx_ne_u32_e32 0x7f800000, v12
	s_xor_b32 s15, exec_lo, s15
; %bb.1370:                             ;   in Loop: Header=BB6_1333 Depth=3
	v_bfe_u32 v12, v8, 16, 1
	s_delay_alu instid0(VALU_DEP_1)
	v_add3_u32 v79, v8, v12, 0x7fff
                                        ; implicit-def: $vgpr8
; %bb.1371:                             ;   in Loop: Header=BB6_1333 Depth=3
	s_and_not1_saveexec_b32 s15, s15
; %bb.1372:                             ;   in Loop: Header=BB6_1333 Depth=3
	v_and_b32_e32 v12, 0xffff, v8
	v_or_b32_e32 v13, 0x10000, v8
	s_delay_alu instid0(VALU_DEP_2) | instskip(NEXT) | instid1(VALU_DEP_2)
	v_cmp_eq_u32_e32 vcc_lo, 0, v12
	v_cndmask_b32_e32 v79, v13, v8, vcc_lo
; %bb.1373:                             ;   in Loop: Header=BB6_1333 Depth=3
	s_or_b32 exec_lo, exec_lo, s15
	v_lshlrev_b32_e32 v8, 16, v9
	s_mov_b32 s15, exec_lo
                                        ; implicit-def: $vgpr88
	s_delay_alu instid0(VALU_DEP_1) | instskip(NEXT) | instid1(VALU_DEP_1)
	v_mul_f32_e32 v8, v57, v8
	v_and_b32_e32 v12, 0x7f800000, v8
	s_delay_alu instid0(VALU_DEP_1)
	v_cmpx_ne_u32_e32 0x7f800000, v12
	s_xor_b32 s15, exec_lo, s15
; %bb.1374:                             ;   in Loop: Header=BB6_1333 Depth=3
	v_bfe_u32 v12, v8, 16, 1
	s_delay_alu instid0(VALU_DEP_1)
	v_add3_u32 v88, v8, v12, 0x7fff
                                        ; implicit-def: $vgpr8
; %bb.1375:                             ;   in Loop: Header=BB6_1333 Depth=3
	s_and_not1_saveexec_b32 s15, s15
; %bb.1376:                             ;   in Loop: Header=BB6_1333 Depth=3
	v_and_b32_e32 v12, 0xffff, v8
	v_or_b32_e32 v13, 0x10000, v8
	s_delay_alu instid0(VALU_DEP_2) | instskip(NEXT) | instid1(VALU_DEP_2)
	v_cmp_eq_u32_e32 vcc_lo, 0, v12
	v_cndmask_b32_e32 v88, v13, v8, vcc_lo
; %bb.1377:                             ;   in Loop: Header=BB6_1333 Depth=3
	s_or_b32 exec_lo, exec_lo, s15
	v_and_b32_e32 v8, 0xffff0000, v9
	s_mov_b32 s15, exec_lo
                                        ; implicit-def: $vgpr77
	s_delay_alu instid0(VALU_DEP_1) | instskip(NEXT) | instid1(VALU_DEP_1)
	v_mul_f32_e32 v8, v57, v8
	v_and_b32_e32 v9, 0x7f800000, v8
	s_delay_alu instid0(VALU_DEP_1)
	v_cmpx_ne_u32_e32 0x7f800000, v9
	s_xor_b32 s15, exec_lo, s15
; %bb.1378:                             ;   in Loop: Header=BB6_1333 Depth=3
	v_bfe_u32 v9, v8, 16, 1
	s_delay_alu instid0(VALU_DEP_1)
	v_add3_u32 v77, v8, v9, 0x7fff
                                        ; implicit-def: $vgpr8
; %bb.1379:                             ;   in Loop: Header=BB6_1333 Depth=3
	s_and_not1_saveexec_b32 s15, s15
; %bb.1380:                             ;   in Loop: Header=BB6_1333 Depth=3
	v_and_b32_e32 v9, 0xffff, v8
	v_or_b32_e32 v12, 0x10000, v8
	s_delay_alu instid0(VALU_DEP_2) | instskip(NEXT) | instid1(VALU_DEP_2)
	v_cmp_eq_u32_e32 vcc_lo, 0, v9
	v_cndmask_b32_e32 v77, v12, v8, vcc_lo
; %bb.1381:                             ;   in Loop: Header=BB6_1333 Depth=3
	s_or_b32 exec_lo, exec_lo, s15
	v_lshlrev_b32_e32 v8, 16, v10
	s_mov_b32 s15, exec_lo
                                        ; implicit-def: $vgpr78
	s_delay_alu instid0(VALU_DEP_1) | instskip(NEXT) | instid1(VALU_DEP_1)
	v_mul_f32_e32 v8, v57, v8
	v_and_b32_e32 v9, 0x7f800000, v8
	s_delay_alu instid0(VALU_DEP_1)
	v_cmpx_ne_u32_e32 0x7f800000, v9
	s_xor_b32 s15, exec_lo, s15
; %bb.1382:                             ;   in Loop: Header=BB6_1333 Depth=3
	v_bfe_u32 v9, v8, 16, 1
	s_delay_alu instid0(VALU_DEP_1)
	v_add3_u32 v78, v8, v9, 0x7fff
                                        ; implicit-def: $vgpr8
; %bb.1383:                             ;   in Loop: Header=BB6_1333 Depth=3
	s_and_not1_saveexec_b32 s15, s15
; %bb.1384:                             ;   in Loop: Header=BB6_1333 Depth=3
	v_and_b32_e32 v9, 0xffff, v8
	v_or_b32_e32 v12, 0x10000, v8
	s_delay_alu instid0(VALU_DEP_2) | instskip(NEXT) | instid1(VALU_DEP_2)
	v_cmp_eq_u32_e32 vcc_lo, 0, v9
	v_cndmask_b32_e32 v78, v12, v8, vcc_lo
; %bb.1385:                             ;   in Loop: Header=BB6_1333 Depth=3
	s_or_b32 exec_lo, exec_lo, s15
	v_and_b32_e32 v8, 0xffff0000, v10
	s_mov_b32 s15, exec_lo
                                        ; implicit-def: $vgpr59
	s_delay_alu instid0(VALU_DEP_1) | instskip(NEXT) | instid1(VALU_DEP_1)
	v_mul_f32_e32 v8, v57, v8
	v_and_b32_e32 v9, 0x7f800000, v8
	s_delay_alu instid0(VALU_DEP_1)
	v_cmpx_ne_u32_e32 0x7f800000, v9
	s_xor_b32 s15, exec_lo, s15
; %bb.1386:                             ;   in Loop: Header=BB6_1333 Depth=3
	v_bfe_u32 v9, v8, 16, 1
	s_delay_alu instid0(VALU_DEP_1)
	v_add3_u32 v59, v8, v9, 0x7fff
                                        ; implicit-def: $vgpr8
; %bb.1387:                             ;   in Loop: Header=BB6_1333 Depth=3
	s_and_not1_saveexec_b32 s15, s15
; %bb.1388:                             ;   in Loop: Header=BB6_1333 Depth=3
	v_and_b32_e32 v9, 0xffff, v8
	v_or_b32_e32 v10, 0x10000, v8
	s_delay_alu instid0(VALU_DEP_2) | instskip(NEXT) | instid1(VALU_DEP_2)
	v_cmp_eq_u32_e32 vcc_lo, 0, v9
	v_cndmask_b32_e32 v59, v10, v8, vcc_lo
; %bb.1389:                             ;   in Loop: Header=BB6_1333 Depth=3
	s_or_b32 exec_lo, exec_lo, s15
	v_lshlrev_b32_e32 v8, 16, v11
	s_mov_b32 s15, exec_lo
                                        ; implicit-def: $vgpr75
	s_delay_alu instid0(VALU_DEP_1) | instskip(NEXT) | instid1(VALU_DEP_1)
	v_mul_f32_e32 v8, v57, v8
	v_and_b32_e32 v9, 0x7f800000, v8
	s_delay_alu instid0(VALU_DEP_1)
	v_cmpx_ne_u32_e32 0x7f800000, v9
	s_xor_b32 s15, exec_lo, s15
; %bb.1390:                             ;   in Loop: Header=BB6_1333 Depth=3
	v_bfe_u32 v9, v8, 16, 1
	s_delay_alu instid0(VALU_DEP_1)
	v_add3_u32 v75, v8, v9, 0x7fff
                                        ; implicit-def: $vgpr8
; %bb.1391:                             ;   in Loop: Header=BB6_1333 Depth=3
	s_and_not1_saveexec_b32 s15, s15
; %bb.1392:                             ;   in Loop: Header=BB6_1333 Depth=3
	v_and_b32_e32 v9, 0xffff, v8
	v_or_b32_e32 v10, 0x10000, v8
	s_delay_alu instid0(VALU_DEP_2) | instskip(NEXT) | instid1(VALU_DEP_2)
	v_cmp_eq_u32_e32 vcc_lo, 0, v9
	v_cndmask_b32_e32 v75, v10, v8, vcc_lo
; %bb.1393:                             ;   in Loop: Header=BB6_1333 Depth=3
	s_or_b32 exec_lo, exec_lo, s15
	v_and_b32_e32 v8, 0xffff0000, v11
	s_mov_b32 s15, exec_lo
                                        ; implicit-def: $vgpr58
	s_delay_alu instid0(VALU_DEP_1) | instskip(NEXT) | instid1(VALU_DEP_1)
	v_mul_f32_e32 v8, v57, v8
	v_and_b32_e32 v9, 0x7f800000, v8
	s_delay_alu instid0(VALU_DEP_1)
	v_cmpx_ne_u32_e32 0x7f800000, v9
	s_xor_b32 s15, exec_lo, s15
; %bb.1394:                             ;   in Loop: Header=BB6_1333 Depth=3
	v_bfe_u32 v9, v8, 16, 1
	s_delay_alu instid0(VALU_DEP_1)
	v_add3_u32 v58, v8, v9, 0x7fff
                                        ; implicit-def: $vgpr8
; %bb.1395:                             ;   in Loop: Header=BB6_1333 Depth=3
	s_and_not1_saveexec_b32 s15, s15
; %bb.1396:                             ;   in Loop: Header=BB6_1333 Depth=3
	v_and_b32_e32 v9, 0xffff, v8
	v_or_b32_e32 v10, 0x10000, v8
	s_delay_alu instid0(VALU_DEP_2) | instskip(NEXT) | instid1(VALU_DEP_2)
	v_cmp_eq_u32_e32 vcc_lo, 0, v9
	v_cndmask_b32_e32 v58, v10, v8, vcc_lo
; %bb.1397:                             ;   in Loop: Header=BB6_1333 Depth=3
	s_or_b32 exec_lo, exec_lo, s15
	s_clause 0x1
	global_load_b128 v[12:15], v[44:45], off th:TH_LOAD_NT
	global_load_b128 v[8:11], v[44:45], off offset:512 th:TH_LOAD_NT
	v_and_b32_e32 v76, 0xffff0000, v76
	s_wait_loadcnt 0x1
	v_lshlrev_b32_e32 v105, 16, v12
	s_delay_alu instid0(VALU_DEP_1) | instskip(NEXT) | instid1(VALU_DEP_1)
	v_add_f32_e32 v105, v76, v105
	v_and_b32_e32 v76, 0x7f800000, v105
	s_delay_alu instid0(VALU_DEP_1) | instskip(SKIP_2) | instid1(SALU_CYCLE_1)
	v_cmp_ne_u32_e32 vcc_lo, 0x7f800000, v76
                                        ; implicit-def: $vgpr76
	s_wait_xcnt 0x0
	s_and_saveexec_b32 s15, vcc_lo
	s_xor_b32 s15, exec_lo, s15
; %bb.1398:                             ;   in Loop: Header=BB6_1333 Depth=3
	v_bfe_u32 v76, v105, 16, 1
	s_delay_alu instid0(VALU_DEP_1)
	v_add3_u32 v76, v105, v76, 0x7fff
                                        ; implicit-def: $vgpr105
; %bb.1399:                             ;   in Loop: Header=BB6_1333 Depth=3
	s_and_not1_saveexec_b32 s15, s15
; %bb.1400:                             ;   in Loop: Header=BB6_1333 Depth=3
	v_and_b32_e32 v76, 0xffff, v105
	v_or_b32_e32 v106, 0x10000, v105
	s_delay_alu instid0(VALU_DEP_2) | instskip(NEXT) | instid1(VALU_DEP_2)
	v_cmp_eq_u32_e32 vcc_lo, 0, v76
	v_cndmask_b32_e32 v76, v106, v105, vcc_lo
; %bb.1401:                             ;   in Loop: Header=BB6_1333 Depth=3
	s_or_b32 exec_lo, exec_lo, s15
	v_and_b32_e32 v12, 0xffff0000, v12
	v_and_b32_e32 v95, 0xffff0000, v95
	s_delay_alu instid0(VALU_DEP_1) | instskip(NEXT) | instid1(VALU_DEP_1)
	v_add_f32_e32 v95, v95, v12
	v_and_b32_e32 v12, 0x7f800000, v95
	s_delay_alu instid0(VALU_DEP_1) | instskip(SKIP_1) | instid1(SALU_CYCLE_1)
	v_cmp_ne_u32_e32 vcc_lo, 0x7f800000, v12
                                        ; implicit-def: $vgpr12
	s_and_saveexec_b32 s15, vcc_lo
	s_xor_b32 s15, exec_lo, s15
; %bb.1402:                             ;   in Loop: Header=BB6_1333 Depth=3
	v_bfe_u32 v12, v95, 16, 1
	s_delay_alu instid0(VALU_DEP_1)
	v_add3_u32 v12, v95, v12, 0x7fff
                                        ; implicit-def: $vgpr95
; %bb.1403:                             ;   in Loop: Header=BB6_1333 Depth=3
	s_and_not1_saveexec_b32 s15, s15
; %bb.1404:                             ;   in Loop: Header=BB6_1333 Depth=3
	v_and_b32_e32 v12, 0xffff, v95
	v_or_b32_e32 v105, 0x10000, v95
	s_delay_alu instid0(VALU_DEP_2) | instskip(NEXT) | instid1(VALU_DEP_2)
	v_cmp_eq_u32_e32 vcc_lo, 0, v12
	v_cndmask_b32_e32 v12, v105, v95, vcc_lo
; %bb.1405:                             ;   in Loop: Header=BB6_1333 Depth=3
	s_or_b32 exec_lo, exec_lo, s15
	v_and_b32_e32 v95, 0xffff0000, v104
	v_lshlrev_b32_e32 v104, 16, v13
	s_delay_alu instid0(VALU_DEP_1) | instskip(NEXT) | instid1(VALU_DEP_1)
	v_add_f32_e32 v104, v95, v104
	v_and_b32_e32 v95, 0x7f800000, v104
	s_delay_alu instid0(VALU_DEP_1) | instskip(SKIP_1) | instid1(SALU_CYCLE_1)
	v_cmp_ne_u32_e32 vcc_lo, 0x7f800000, v95
                                        ; implicit-def: $vgpr95
	s_and_saveexec_b32 s15, vcc_lo
	s_xor_b32 s15, exec_lo, s15
; %bb.1406:                             ;   in Loop: Header=BB6_1333 Depth=3
	v_bfe_u32 v95, v104, 16, 1
	s_delay_alu instid0(VALU_DEP_1)
	v_add3_u32 v95, v104, v95, 0x7fff
                                        ; implicit-def: $vgpr104
; %bb.1407:                             ;   in Loop: Header=BB6_1333 Depth=3
	s_and_not1_saveexec_b32 s15, s15
; %bb.1408:                             ;   in Loop: Header=BB6_1333 Depth=3
	v_and_b32_e32 v95, 0xffff, v104
	v_or_b32_e32 v105, 0x10000, v104
	s_delay_alu instid0(VALU_DEP_2) | instskip(NEXT) | instid1(VALU_DEP_2)
	v_cmp_eq_u32_e32 vcc_lo, 0, v95
	v_cndmask_b32_e32 v95, v105, v104, vcc_lo
; %bb.1409:                             ;   in Loop: Header=BB6_1333 Depth=3
	s_or_b32 exec_lo, exec_lo, s15
	v_and_b32_e32 v13, 0xffff0000, v13
	v_and_b32_e32 v93, 0xffff0000, v93
	s_delay_alu instid0(VALU_DEP_1) | instskip(NEXT) | instid1(VALU_DEP_1)
	v_add_f32_e32 v93, v93, v13
	v_and_b32_e32 v13, 0x7f800000, v93
	s_delay_alu instid0(VALU_DEP_1) | instskip(SKIP_1) | instid1(SALU_CYCLE_1)
	v_cmp_ne_u32_e32 vcc_lo, 0x7f800000, v13
                                        ; implicit-def: $vgpr13
	s_and_saveexec_b32 s15, vcc_lo
	s_xor_b32 s15, exec_lo, s15
; %bb.1410:                             ;   in Loop: Header=BB6_1333 Depth=3
	v_bfe_u32 v13, v93, 16, 1
	s_delay_alu instid0(VALU_DEP_1)
	v_add3_u32 v13, v93, v13, 0x7fff
                                        ; implicit-def: $vgpr93
; %bb.1411:                             ;   in Loop: Header=BB6_1333 Depth=3
	s_and_not1_saveexec_b32 s15, s15
; %bb.1412:                             ;   in Loop: Header=BB6_1333 Depth=3
	v_and_b32_e32 v13, 0xffff, v93
	v_or_b32_e32 v104, 0x10000, v93
	s_delay_alu instid0(VALU_DEP_2) | instskip(NEXT) | instid1(VALU_DEP_2)
	v_cmp_eq_u32_e32 vcc_lo, 0, v13
	v_cndmask_b32_e32 v13, v104, v93, vcc_lo
; %bb.1413:                             ;   in Loop: Header=BB6_1333 Depth=3
	s_or_b32 exec_lo, exec_lo, s15
	v_and_b32_e32 v93, 0xffff0000, v94
	v_lshlrev_b32_e32 v94, 16, v14
	s_delay_alu instid0(VALU_DEP_1) | instskip(NEXT) | instid1(VALU_DEP_1)
	v_add_f32_e32 v94, v93, v94
	v_and_b32_e32 v93, 0x7f800000, v94
	s_delay_alu instid0(VALU_DEP_1) | instskip(SKIP_1) | instid1(SALU_CYCLE_1)
	v_cmp_ne_u32_e32 vcc_lo, 0x7f800000, v93
                                        ; implicit-def: $vgpr93
	s_and_saveexec_b32 s15, vcc_lo
	s_xor_b32 s15, exec_lo, s15
; %bb.1414:                             ;   in Loop: Header=BB6_1333 Depth=3
	v_bfe_u32 v93, v94, 16, 1
	s_delay_alu instid0(VALU_DEP_1)
	v_add3_u32 v93, v94, v93, 0x7fff
                                        ; implicit-def: $vgpr94
; %bb.1415:                             ;   in Loop: Header=BB6_1333 Depth=3
	s_and_not1_saveexec_b32 s15, s15
; %bb.1416:                             ;   in Loop: Header=BB6_1333 Depth=3
	v_and_b32_e32 v93, 0xffff, v94
	v_or_b32_e32 v104, 0x10000, v94
	s_delay_alu instid0(VALU_DEP_2) | instskip(NEXT) | instid1(VALU_DEP_2)
	v_cmp_eq_u32_e32 vcc_lo, 0, v93
	v_cndmask_b32_e32 v93, v104, v94, vcc_lo
; %bb.1417:                             ;   in Loop: Header=BB6_1333 Depth=3
	s_or_b32 exec_lo, exec_lo, s15
	v_and_b32_e32 v14, 0xffff0000, v14
	v_and_b32_e32 v91, 0xffff0000, v91
	s_delay_alu instid0(VALU_DEP_1) | instskip(NEXT) | instid1(VALU_DEP_1)
	v_add_f32_e32 v91, v91, v14
	v_and_b32_e32 v14, 0x7f800000, v91
	s_delay_alu instid0(VALU_DEP_1) | instskip(SKIP_1) | instid1(SALU_CYCLE_1)
	v_cmp_ne_u32_e32 vcc_lo, 0x7f800000, v14
                                        ; implicit-def: $vgpr14
	s_and_saveexec_b32 s15, vcc_lo
	s_xor_b32 s15, exec_lo, s15
; %bb.1418:                             ;   in Loop: Header=BB6_1333 Depth=3
	v_bfe_u32 v14, v91, 16, 1
	s_delay_alu instid0(VALU_DEP_1)
	v_add3_u32 v14, v91, v14, 0x7fff
                                        ; implicit-def: $vgpr91
; %bb.1419:                             ;   in Loop: Header=BB6_1333 Depth=3
	s_and_not1_saveexec_b32 s15, s15
; %bb.1420:                             ;   in Loop: Header=BB6_1333 Depth=3
	v_and_b32_e32 v14, 0xffff, v91
	v_or_b32_e32 v94, 0x10000, v91
	s_delay_alu instid0(VALU_DEP_2) | instskip(NEXT) | instid1(VALU_DEP_2)
	v_cmp_eq_u32_e32 vcc_lo, 0, v14
	v_cndmask_b32_e32 v14, v94, v91, vcc_lo
; %bb.1421:                             ;   in Loop: Header=BB6_1333 Depth=3
	s_or_b32 exec_lo, exec_lo, s15
	v_and_b32_e32 v91, 0xffff0000, v92
	v_lshlrev_b32_e32 v92, 16, v15
	s_delay_alu instid0(VALU_DEP_1) | instskip(NEXT) | instid1(VALU_DEP_1)
	v_add_f32_e32 v92, v91, v92
	v_and_b32_e32 v91, 0x7f800000, v92
	s_delay_alu instid0(VALU_DEP_1) | instskip(SKIP_1) | instid1(SALU_CYCLE_1)
	v_cmp_ne_u32_e32 vcc_lo, 0x7f800000, v91
                                        ; implicit-def: $vgpr91
	s_and_saveexec_b32 s15, vcc_lo
	s_xor_b32 s15, exec_lo, s15
; %bb.1422:                             ;   in Loop: Header=BB6_1333 Depth=3
	v_bfe_u32 v91, v92, 16, 1
	s_delay_alu instid0(VALU_DEP_1)
	v_add3_u32 v91, v92, v91, 0x7fff
                                        ; implicit-def: $vgpr92
; %bb.1423:                             ;   in Loop: Header=BB6_1333 Depth=3
	s_and_not1_saveexec_b32 s15, s15
; %bb.1424:                             ;   in Loop: Header=BB6_1333 Depth=3
	v_and_b32_e32 v91, 0xffff, v92
	v_or_b32_e32 v94, 0x10000, v92
	s_delay_alu instid0(VALU_DEP_2) | instskip(NEXT) | instid1(VALU_DEP_2)
	v_cmp_eq_u32_e32 vcc_lo, 0, v91
	v_cndmask_b32_e32 v91, v94, v92, vcc_lo
; %bb.1425:                             ;   in Loop: Header=BB6_1333 Depth=3
	s_or_b32 exec_lo, exec_lo, s15
	v_and_b32_e32 v15, 0xffff0000, v15
	v_and_b32_e32 v89, 0xffff0000, v89
	s_delay_alu instid0(VALU_DEP_1) | instskip(NEXT) | instid1(VALU_DEP_1)
	v_add_f32_e32 v89, v89, v15
	v_and_b32_e32 v15, 0x7f800000, v89
	s_delay_alu instid0(VALU_DEP_1) | instskip(SKIP_1) | instid1(SALU_CYCLE_1)
	v_cmp_ne_u32_e32 vcc_lo, 0x7f800000, v15
                                        ; implicit-def: $vgpr15
	s_and_saveexec_b32 s15, vcc_lo
	s_xor_b32 s15, exec_lo, s15
; %bb.1426:                             ;   in Loop: Header=BB6_1333 Depth=3
	v_bfe_u32 v15, v89, 16, 1
	s_delay_alu instid0(VALU_DEP_1)
	v_add3_u32 v15, v89, v15, 0x7fff
                                        ; implicit-def: $vgpr89
; %bb.1427:                             ;   in Loop: Header=BB6_1333 Depth=3
	s_and_not1_saveexec_b32 s15, s15
; %bb.1428:                             ;   in Loop: Header=BB6_1333 Depth=3
	v_and_b32_e32 v15, 0xffff, v89
	v_or_b32_e32 v92, 0x10000, v89
	s_delay_alu instid0(VALU_DEP_2) | instskip(NEXT) | instid1(VALU_DEP_2)
	v_cmp_eq_u32_e32 vcc_lo, 0, v15
	v_cndmask_b32_e32 v15, v92, v89, vcc_lo
; %bb.1429:                             ;   in Loop: Header=BB6_1333 Depth=3
	s_or_b32 exec_lo, exec_lo, s15
	v_and_b32_e32 v89, 0xffff0000, v90
	s_wait_loadcnt 0x0
	v_lshlrev_b32_e32 v90, 16, v8
	s_delay_alu instid0(VALU_DEP_1) | instskip(NEXT) | instid1(VALU_DEP_1)
	v_add_f32_e32 v90, v89, v90
	v_and_b32_e32 v89, 0x7f800000, v90
	s_delay_alu instid0(VALU_DEP_1) | instskip(SKIP_1) | instid1(SALU_CYCLE_1)
	v_cmp_ne_u32_e32 vcc_lo, 0x7f800000, v89
                                        ; implicit-def: $vgpr89
	s_and_saveexec_b32 s15, vcc_lo
	s_xor_b32 s15, exec_lo, s15
; %bb.1430:                             ;   in Loop: Header=BB6_1333 Depth=3
	v_bfe_u32 v89, v90, 16, 1
	s_delay_alu instid0(VALU_DEP_1)
	v_add3_u32 v89, v90, v89, 0x7fff
                                        ; implicit-def: $vgpr90
; %bb.1431:                             ;   in Loop: Header=BB6_1333 Depth=3
	s_and_not1_saveexec_b32 s15, s15
; %bb.1432:                             ;   in Loop: Header=BB6_1333 Depth=3
	v_and_b32_e32 v89, 0xffff, v90
	v_or_b32_e32 v92, 0x10000, v90
	s_delay_alu instid0(VALU_DEP_2) | instskip(NEXT) | instid1(VALU_DEP_2)
	v_cmp_eq_u32_e32 vcc_lo, 0, v89
	v_cndmask_b32_e32 v89, v92, v90, vcc_lo
; %bb.1433:                             ;   in Loop: Header=BB6_1333 Depth=3
	s_or_b32 exec_lo, exec_lo, s15
	v_and_b32_e32 v8, 0xffff0000, v8
	v_and_b32_e32 v79, 0xffff0000, v79
	s_delay_alu instid0(VALU_DEP_1) | instskip(NEXT) | instid1(VALU_DEP_1)
	v_add_f32_e32 v79, v79, v8
	v_and_b32_e32 v8, 0x7f800000, v79
	s_delay_alu instid0(VALU_DEP_1) | instskip(SKIP_1) | instid1(SALU_CYCLE_1)
	v_cmp_ne_u32_e32 vcc_lo, 0x7f800000, v8
                                        ; implicit-def: $vgpr8
	s_and_saveexec_b32 s15, vcc_lo
	s_xor_b32 s15, exec_lo, s15
; %bb.1434:                             ;   in Loop: Header=BB6_1333 Depth=3
	v_bfe_u32 v8, v79, 16, 1
	s_delay_alu instid0(VALU_DEP_1)
	v_add3_u32 v8, v79, v8, 0x7fff
                                        ; implicit-def: $vgpr79
; %bb.1435:                             ;   in Loop: Header=BB6_1333 Depth=3
	s_and_not1_saveexec_b32 s15, s15
; %bb.1436:                             ;   in Loop: Header=BB6_1333 Depth=3
	v_and_b32_e32 v8, 0xffff, v79
	v_or_b32_e32 v90, 0x10000, v79
	s_delay_alu instid0(VALU_DEP_2) | instskip(NEXT) | instid1(VALU_DEP_2)
	v_cmp_eq_u32_e32 vcc_lo, 0, v8
	v_cndmask_b32_e32 v8, v90, v79, vcc_lo
; %bb.1437:                             ;   in Loop: Header=BB6_1333 Depth=3
	s_or_b32 exec_lo, exec_lo, s15
	v_and_b32_e32 v79, 0xffff0000, v88
	v_lshlrev_b32_e32 v88, 16, v9
	s_delay_alu instid0(VALU_DEP_1) | instskip(NEXT) | instid1(VALU_DEP_1)
	v_add_f32_e32 v88, v79, v88
	v_and_b32_e32 v79, 0x7f800000, v88
	s_delay_alu instid0(VALU_DEP_1) | instskip(SKIP_1) | instid1(SALU_CYCLE_1)
	v_cmp_ne_u32_e32 vcc_lo, 0x7f800000, v79
                                        ; implicit-def: $vgpr79
	s_and_saveexec_b32 s15, vcc_lo
	s_xor_b32 s15, exec_lo, s15
; %bb.1438:                             ;   in Loop: Header=BB6_1333 Depth=3
	v_bfe_u32 v79, v88, 16, 1
	s_delay_alu instid0(VALU_DEP_1)
	v_add3_u32 v79, v88, v79, 0x7fff
                                        ; implicit-def: $vgpr88
; %bb.1439:                             ;   in Loop: Header=BB6_1333 Depth=3
	s_and_not1_saveexec_b32 s15, s15
; %bb.1440:                             ;   in Loop: Header=BB6_1333 Depth=3
	v_and_b32_e32 v79, 0xffff, v88
	v_or_b32_e32 v90, 0x10000, v88
	s_delay_alu instid0(VALU_DEP_2) | instskip(NEXT) | instid1(VALU_DEP_2)
	v_cmp_eq_u32_e32 vcc_lo, 0, v79
	v_cndmask_b32_e32 v79, v90, v88, vcc_lo
; %bb.1441:                             ;   in Loop: Header=BB6_1333 Depth=3
	s_or_b32 exec_lo, exec_lo, s15
	v_and_b32_e32 v9, 0xffff0000, v9
	v_and_b32_e32 v77, 0xffff0000, v77
	s_delay_alu instid0(VALU_DEP_1) | instskip(NEXT) | instid1(VALU_DEP_1)
	v_add_f32_e32 v77, v77, v9
	v_and_b32_e32 v9, 0x7f800000, v77
	s_delay_alu instid0(VALU_DEP_1) | instskip(SKIP_1) | instid1(SALU_CYCLE_1)
	v_cmp_ne_u32_e32 vcc_lo, 0x7f800000, v9
                                        ; implicit-def: $vgpr9
	s_and_saveexec_b32 s15, vcc_lo
	s_xor_b32 s15, exec_lo, s15
; %bb.1442:                             ;   in Loop: Header=BB6_1333 Depth=3
	v_bfe_u32 v9, v77, 16, 1
	s_delay_alu instid0(VALU_DEP_1)
	v_add3_u32 v9, v77, v9, 0x7fff
                                        ; implicit-def: $vgpr77
; %bb.1443:                             ;   in Loop: Header=BB6_1333 Depth=3
	s_and_not1_saveexec_b32 s15, s15
; %bb.1444:                             ;   in Loop: Header=BB6_1333 Depth=3
	v_and_b32_e32 v9, 0xffff, v77
	v_or_b32_e32 v88, 0x10000, v77
	s_delay_alu instid0(VALU_DEP_2) | instskip(NEXT) | instid1(VALU_DEP_2)
	v_cmp_eq_u32_e32 vcc_lo, 0, v9
	v_cndmask_b32_e32 v9, v88, v77, vcc_lo
; %bb.1445:                             ;   in Loop: Header=BB6_1333 Depth=3
	s_or_b32 exec_lo, exec_lo, s15
	v_and_b32_e32 v77, 0xffff0000, v78
	v_lshlrev_b32_e32 v78, 16, v10
	s_delay_alu instid0(VALU_DEP_1) | instskip(NEXT) | instid1(VALU_DEP_1)
	v_add_f32_e32 v78, v77, v78
	v_and_b32_e32 v77, 0x7f800000, v78
	s_delay_alu instid0(VALU_DEP_1) | instskip(SKIP_1) | instid1(SALU_CYCLE_1)
	v_cmp_ne_u32_e32 vcc_lo, 0x7f800000, v77
                                        ; implicit-def: $vgpr77
	s_and_saveexec_b32 s15, vcc_lo
	s_xor_b32 s15, exec_lo, s15
; %bb.1446:                             ;   in Loop: Header=BB6_1333 Depth=3
	v_bfe_u32 v77, v78, 16, 1
	s_delay_alu instid0(VALU_DEP_1)
	v_add3_u32 v77, v78, v77, 0x7fff
                                        ; implicit-def: $vgpr78
; %bb.1447:                             ;   in Loop: Header=BB6_1333 Depth=3
	s_and_not1_saveexec_b32 s15, s15
; %bb.1448:                             ;   in Loop: Header=BB6_1333 Depth=3
	v_and_b32_e32 v77, 0xffff, v78
	v_or_b32_e32 v88, 0x10000, v78
	s_delay_alu instid0(VALU_DEP_2) | instskip(NEXT) | instid1(VALU_DEP_2)
	v_cmp_eq_u32_e32 vcc_lo, 0, v77
	v_cndmask_b32_e32 v77, v88, v78, vcc_lo
; %bb.1449:                             ;   in Loop: Header=BB6_1333 Depth=3
	s_or_b32 exec_lo, exec_lo, s15
	v_and_b32_e32 v10, 0xffff0000, v10
	v_and_b32_e32 v59, 0xffff0000, v59
	s_delay_alu instid0(VALU_DEP_1) | instskip(NEXT) | instid1(VALU_DEP_1)
	v_add_f32_e32 v59, v59, v10
	v_and_b32_e32 v10, 0x7f800000, v59
	s_delay_alu instid0(VALU_DEP_1) | instskip(SKIP_1) | instid1(SALU_CYCLE_1)
	v_cmp_ne_u32_e32 vcc_lo, 0x7f800000, v10
                                        ; implicit-def: $vgpr10
	s_and_saveexec_b32 s15, vcc_lo
	s_xor_b32 s15, exec_lo, s15
; %bb.1450:                             ;   in Loop: Header=BB6_1333 Depth=3
	v_bfe_u32 v10, v59, 16, 1
	s_delay_alu instid0(VALU_DEP_1)
	v_add3_u32 v10, v59, v10, 0x7fff
                                        ; implicit-def: $vgpr59
; %bb.1451:                             ;   in Loop: Header=BB6_1333 Depth=3
	s_and_not1_saveexec_b32 s15, s15
; %bb.1452:                             ;   in Loop: Header=BB6_1333 Depth=3
	v_and_b32_e32 v10, 0xffff, v59
	v_or_b32_e32 v78, 0x10000, v59
	s_delay_alu instid0(VALU_DEP_2) | instskip(NEXT) | instid1(VALU_DEP_2)
	v_cmp_eq_u32_e32 vcc_lo, 0, v10
	v_cndmask_b32_e32 v10, v78, v59, vcc_lo
; %bb.1453:                             ;   in Loop: Header=BB6_1333 Depth=3
	s_or_b32 exec_lo, exec_lo, s15
	v_and_b32_e32 v59, 0xffff0000, v75
	v_lshlrev_b32_e32 v75, 16, v11
	s_delay_alu instid0(VALU_DEP_1) | instskip(NEXT) | instid1(VALU_DEP_1)
	v_add_f32_e32 v75, v59, v75
	v_and_b32_e32 v59, 0x7f800000, v75
	s_delay_alu instid0(VALU_DEP_1) | instskip(SKIP_1) | instid1(SALU_CYCLE_1)
	v_cmp_ne_u32_e32 vcc_lo, 0x7f800000, v59
                                        ; implicit-def: $vgpr59
	s_and_saveexec_b32 s15, vcc_lo
	s_xor_b32 s15, exec_lo, s15
; %bb.1454:                             ;   in Loop: Header=BB6_1333 Depth=3
	v_bfe_u32 v59, v75, 16, 1
	s_delay_alu instid0(VALU_DEP_1)
	v_add3_u32 v59, v75, v59, 0x7fff
                                        ; implicit-def: $vgpr75
; %bb.1455:                             ;   in Loop: Header=BB6_1333 Depth=3
	s_and_not1_saveexec_b32 s15, s15
; %bb.1456:                             ;   in Loop: Header=BB6_1333 Depth=3
	v_and_b32_e32 v59, 0xffff, v75
	v_or_b32_e32 v78, 0x10000, v75
	s_delay_alu instid0(VALU_DEP_2) | instskip(NEXT) | instid1(VALU_DEP_2)
	v_cmp_eq_u32_e32 vcc_lo, 0, v59
	v_cndmask_b32_e32 v59, v78, v75, vcc_lo
; %bb.1457:                             ;   in Loop: Header=BB6_1333 Depth=3
	s_or_b32 exec_lo, exec_lo, s15
	v_and_b32_e32 v11, 0xffff0000, v11
	v_and_b32_e32 v58, 0xffff0000, v58
	s_delay_alu instid0(VALU_DEP_1) | instskip(NEXT) | instid1(VALU_DEP_1)
	v_add_f32_e32 v58, v58, v11
	v_and_b32_e32 v11, 0x7f800000, v58
	s_delay_alu instid0(VALU_DEP_1) | instskip(SKIP_1) | instid1(SALU_CYCLE_1)
	v_cmp_ne_u32_e32 vcc_lo, 0x7f800000, v11
                                        ; implicit-def: $vgpr11
	s_and_saveexec_b32 s15, vcc_lo
	s_xor_b32 s15, exec_lo, s15
; %bb.1458:                             ;   in Loop: Header=BB6_1333 Depth=3
	v_bfe_u32 v11, v58, 16, 1
	s_delay_alu instid0(VALU_DEP_1)
	v_add3_u32 v11, v58, v11, 0x7fff
                                        ; implicit-def: $vgpr58
; %bb.1459:                             ;   in Loop: Header=BB6_1333 Depth=3
	s_and_not1_saveexec_b32 s15, s15
	s_cbranch_execz .LBB6_1332
; %bb.1460:                             ;   in Loop: Header=BB6_1333 Depth=3
	v_and_b32_e32 v11, 0xffff, v58
	v_or_b32_e32 v75, 0x10000, v58
	s_delay_alu instid0(VALU_DEP_2) | instskip(NEXT) | instid1(VALU_DEP_2)
	v_cmp_eq_u32_e32 vcc_lo, 0, v11
	v_cndmask_b32_e32 v11, v75, v58, vcc_lo
	s_branch .LBB6_1332
.LBB6_1461:                             ;   in Loop: Header=BB6_955 Depth=2
	s_or_b32 exec_lo, exec_lo, s14
.LBB6_1462:                             ;   in Loop: Header=BB6_955 Depth=2
	s_delay_alu instid0(SALU_CYCLE_1) | instskip(SKIP_3) | instid1(VALU_DEP_1)
	s_or_b32 exec_lo, exec_lo, s13
	v_dual_lshlrev_b32 v44, 10, v56 :: v_dual_mov_b32 v14, 0
	s_mov_b32 s15, 0
	s_mov_b32 s14, exec_lo
                                        ; implicit-def: $vgpr15
	v_cmpx_ne_u32_e64 v113, v44
	s_cbranch_execz .LBB6_1532
; %bb.1463:                             ;   in Loop: Header=BB6_955 Depth=2
	v_dual_lshlrev_b32 v8, 5, v115 :: v_dual_sub_nc_u32 v10, v113, v44
	s_mov_b32 s15, exec_lo
	s_delay_alu instid0(VALU_DEP_1) | instskip(NEXT) | instid1(VALU_DEP_1)
	v_dual_sub_nc_u32 v8, v61, v8 :: v_dual_ashrrev_i32 v11, 31, v10
	v_dual_ashrrev_i32 v9, 31, v8 :: v_dual_lshrrev_b32 v11, 23, v11
	s_delay_alu instid0(VALU_DEP_1) | instskip(NEXT) | instid1(VALU_DEP_1)
	v_lshrrev_b32_e32 v9, 27, v9
	v_add_nc_u32_e32 v9, v8, v9
	s_delay_alu instid0(VALU_DEP_1) | instskip(NEXT) | instid1(VALU_DEP_1)
	v_and_b32_e32 v12, 0xffffffe0, v9
	v_dual_add_nc_u32 v11, v10, v11 :: v_dual_sub_nc_u32 v115, v8, v12
	s_delay_alu instid0(VALU_DEP_1) | instskip(SKIP_1) | instid1(VALU_DEP_2)
	v_and_b32_e32 v45, 0xfffffe00, v11
	v_dual_ashrrev_i32 v9, 5, v9 :: v_dual_ashrrev_i32 v11, 9, v11
	v_dual_lshlrev_b32 v8, 4, v115 :: v_dual_sub_nc_u32 v46, v10, v45
	s_delay_alu instid0(VALU_DEP_1) | instskip(NEXT) | instid1(VALU_DEP_2)
	v_lshl_add_u32 v8, v9, 9, v8
	v_cmp_lt_i32_e32 vcc_lo, 15, v46
	s_delay_alu instid0(VALU_DEP_4) | instskip(NEXT) | instid1(VALU_DEP_1)
	v_add_co_ci_u32_e64 v11, null, 0, v11, vcc_lo
	v_dual_sub_nc_u32 v56, v10, v8 :: v_dual_sub_nc_u32 v47, v11, v9
	s_delay_alu instid0(VALU_DEP_1)
	v_cmpx_lt_i32_e32 15, v56
	s_cbranch_execz .LBB6_1531
; %bb.1464:                             ;   in Loop: Header=BB6_955 Depth=2
	s_trap 2
	ds_load_b64 v[10:11], v0
	ds_load_b32 v57, v0
	v_add_nc_u32_e32 v8, v8, v44
	s_mov_b32 s40, 0
	s_wait_dscnt 0x0
	s_delay_alu instid0(VALU_DEP_1) | instskip(NEXT) | instid1(VALU_DEP_1)
	v_dual_lshlrev_b32 v57, 16, v57 :: v_dual_ashrrev_i32 v9, 31, v8
	v_add_nc_u64_e32 v[12:13], v[8:9], v[118:119]
	v_add_nc_u64_e32 v[14:15], v[10:11], v[8:9]
	;; [unrolled: 1-line block ×3, first 2 shown]
	s_branch .LBB6_1466
.LBB6_1465:                             ;   in Loop: Header=BB6_1466 Depth=3
	s_or_b32 exec_lo, exec_lo, s41
	v_dual_lshrrev_b32 v58, 16, v79 :: v_dual_lshrrev_b32 v76, 16, v77
	v_dual_lshrrev_b32 v59, 16, v59 :: v_dual_sub_nc_u32 v56, v56, v54
	v_dual_lshrrev_b32 v75, 16, v75 :: v_dual_sub_nc_u32 v47, v47, v36
	s_delay_alu instid0(VALU_DEP_3) | instskip(NEXT) | instid1(VALU_DEP_3)
	v_and_or_b32 v9, 0xffff0000, v9, v58
	v_and_or_b32 v8, 0xffff0000, v8, v59
	;; [unrolled: 1-line block ×3, first 2 shown]
	s_delay_alu instid0(VALU_DEP_4)
	v_and_or_b32 v11, 0xffff0000, v11, v75
	v_add_nc_u64_e32 v[12:13], v[12:13], v[54:55]
	v_add_nc_u64_e32 v[14:15], v[14:15], v[54:55]
	v_cmp_gt_i32_e64 s13, 16, v56
	global_store_b128 v[42:43], v[8:11], off th:TH_STORE_NT
	s_wait_xcnt 0x0
	v_add_nc_u64_e32 v[42:43], v[42:43], v[54:55]
	s_or_b32 s40, s13, s40
	s_delay_alu instid0(SALU_CYCLE_1)
	s_and_not1_b32 exec_lo, exec_lo, s40
	s_cbranch_execz .LBB6_1530
.LBB6_1466:                             ;   Parent Loop BB6_47 Depth=1
                                        ;     Parent Loop BB6_955 Depth=2
                                        ; =>    This Inner Loop Header: Depth=3
	global_load_b128 v[8:11], v[12:13], off th:TH_LOAD_NT
	s_wait_loadcnt 0x0
	v_lshlrev_b32_e32 v58, 16, v8
	s_delay_alu instid0(VALU_DEP_1) | instskip(NEXT) | instid1(VALU_DEP_1)
	v_mul_f32_e32 v58, v57, v58
	v_and_b32_e32 v59, 0x7f800000, v58
	s_delay_alu instid0(VALU_DEP_1) | instskip(SKIP_2) | instid1(SALU_CYCLE_1)
	v_cmp_ne_u32_e64 s13, 0x7f800000, v59
                                        ; implicit-def: $vgpr59
	s_wait_xcnt 0x0
	s_and_saveexec_b32 s41, s13
	s_xor_b32 s13, exec_lo, s41
; %bb.1467:                             ;   in Loop: Header=BB6_1466 Depth=3
	v_bfe_u32 v59, v58, 16, 1
	s_delay_alu instid0(VALU_DEP_1)
	v_add3_u32 v59, v58, v59, 0x7fff
                                        ; implicit-def: $vgpr58
; %bb.1468:                             ;   in Loop: Header=BB6_1466 Depth=3
	s_and_not1_saveexec_b32 s41, s13
; %bb.1469:                             ;   in Loop: Header=BB6_1466 Depth=3
	v_and_b32_e32 v59, 0xffff, v58
	v_or_b32_e32 v75, 0x10000, v58
	s_delay_alu instid0(VALU_DEP_2) | instskip(NEXT) | instid1(VALU_DEP_1)
	v_cmp_eq_u32_e64 s13, 0, v59
	v_cndmask_b32_e64 v59, v75, v58, s13
; %bb.1470:                             ;   in Loop: Header=BB6_1466 Depth=3
	s_or_b32 exec_lo, exec_lo, s41
	v_and_b32_e32 v8, 0xffff0000, v8
                                        ; implicit-def: $vgpr88
	s_delay_alu instid0(VALU_DEP_1) | instskip(NEXT) | instid1(VALU_DEP_1)
	v_mul_f32_e32 v8, v57, v8
	v_and_b32_e32 v58, 0x7f800000, v8
	s_delay_alu instid0(VALU_DEP_1) | instskip(SKIP_1) | instid1(SALU_CYCLE_1)
	v_cmp_ne_u32_e64 s13, 0x7f800000, v58
	s_and_saveexec_b32 s41, s13
	s_xor_b32 s13, exec_lo, s41
; %bb.1471:                             ;   in Loop: Header=BB6_1466 Depth=3
	v_bfe_u32 v58, v8, 16, 1
	s_delay_alu instid0(VALU_DEP_1)
	v_add3_u32 v88, v8, v58, 0x7fff
                                        ; implicit-def: $vgpr8
; %bb.1472:                             ;   in Loop: Header=BB6_1466 Depth=3
	s_and_not1_saveexec_b32 s41, s13
; %bb.1473:                             ;   in Loop: Header=BB6_1466 Depth=3
	v_and_b32_e32 v58, 0xffff, v8
	v_or_b32_e32 v75, 0x10000, v8
	s_delay_alu instid0(VALU_DEP_2) | instskip(NEXT) | instid1(VALU_DEP_1)
	v_cmp_eq_u32_e64 s13, 0, v58
	v_cndmask_b32_e64 v88, v75, v8, s13
; %bb.1474:                             ;   in Loop: Header=BB6_1466 Depth=3
	s_or_b32 exec_lo, exec_lo, s41
	v_lshlrev_b32_e32 v8, 16, v9
                                        ; implicit-def: $vgpr79
	s_delay_alu instid0(VALU_DEP_1) | instskip(NEXT) | instid1(VALU_DEP_1)
	v_mul_f32_e32 v8, v57, v8
	v_and_b32_e32 v58, 0x7f800000, v8
	s_delay_alu instid0(VALU_DEP_1) | instskip(SKIP_1) | instid1(SALU_CYCLE_1)
	v_cmp_ne_u32_e64 s13, 0x7f800000, v58
	s_and_saveexec_b32 s41, s13
	s_xor_b32 s13, exec_lo, s41
; %bb.1475:                             ;   in Loop: Header=BB6_1466 Depth=3
	v_bfe_u32 v58, v8, 16, 1
	s_delay_alu instid0(VALU_DEP_1)
	v_add3_u32 v79, v8, v58, 0x7fff
                                        ; implicit-def: $vgpr8
; %bb.1476:                             ;   in Loop: Header=BB6_1466 Depth=3
	s_and_not1_saveexec_b32 s41, s13
; %bb.1477:                             ;   in Loop: Header=BB6_1466 Depth=3
	v_and_b32_e32 v58, 0xffff, v8
	v_or_b32_e32 v75, 0x10000, v8
	s_delay_alu instid0(VALU_DEP_2) | instskip(NEXT) | instid1(VALU_DEP_1)
	v_cmp_eq_u32_e64 s13, 0, v58
	v_cndmask_b32_e64 v79, v75, v8, s13
; %bb.1478:                             ;   in Loop: Header=BB6_1466 Depth=3
	s_or_b32 exec_lo, exec_lo, s41
	v_and_b32_e32 v8, 0xffff0000, v9
                                        ; implicit-def: $vgpr78
	s_delay_alu instid0(VALU_DEP_1) | instskip(NEXT) | instid1(VALU_DEP_1)
	v_mul_f32_e32 v8, v57, v8
	v_and_b32_e32 v9, 0x7f800000, v8
	s_delay_alu instid0(VALU_DEP_1) | instskip(SKIP_1) | instid1(SALU_CYCLE_1)
	v_cmp_ne_u32_e64 s13, 0x7f800000, v9
	s_and_saveexec_b32 s41, s13
	s_xor_b32 s13, exec_lo, s41
; %bb.1479:                             ;   in Loop: Header=BB6_1466 Depth=3
	v_bfe_u32 v9, v8, 16, 1
	s_delay_alu instid0(VALU_DEP_1)
	v_add3_u32 v78, v8, v9, 0x7fff
                                        ; implicit-def: $vgpr8
; %bb.1480:                             ;   in Loop: Header=BB6_1466 Depth=3
	s_and_not1_saveexec_b32 s41, s13
; %bb.1481:                             ;   in Loop: Header=BB6_1466 Depth=3
	v_and_b32_e32 v9, 0xffff, v8
	v_or_b32_e32 v58, 0x10000, v8
	s_delay_alu instid0(VALU_DEP_2) | instskip(NEXT) | instid1(VALU_DEP_1)
	v_cmp_eq_u32_e64 s13, 0, v9
	v_cndmask_b32_e64 v78, v58, v8, s13
; %bb.1482:                             ;   in Loop: Header=BB6_1466 Depth=3
	s_or_b32 exec_lo, exec_lo, s41
	v_lshlrev_b32_e32 v8, 16, v10
                                        ; implicit-def: $vgpr77
	s_delay_alu instid0(VALU_DEP_1) | instskip(NEXT) | instid1(VALU_DEP_1)
	v_mul_f32_e32 v8, v57, v8
	v_and_b32_e32 v9, 0x7f800000, v8
	s_delay_alu instid0(VALU_DEP_1) | instskip(SKIP_1) | instid1(SALU_CYCLE_1)
	v_cmp_ne_u32_e64 s13, 0x7f800000, v9
	s_and_saveexec_b32 s41, s13
	s_xor_b32 s13, exec_lo, s41
; %bb.1483:                             ;   in Loop: Header=BB6_1466 Depth=3
	v_bfe_u32 v9, v8, 16, 1
	s_delay_alu instid0(VALU_DEP_1)
	v_add3_u32 v77, v8, v9, 0x7fff
                                        ; implicit-def: $vgpr8
; %bb.1484:                             ;   in Loop: Header=BB6_1466 Depth=3
	s_and_not1_saveexec_b32 s41, s13
; %bb.1485:                             ;   in Loop: Header=BB6_1466 Depth=3
	v_and_b32_e32 v9, 0xffff, v8
	v_or_b32_e32 v58, 0x10000, v8
	s_delay_alu instid0(VALU_DEP_2) | instskip(NEXT) | instid1(VALU_DEP_1)
	v_cmp_eq_u32_e64 s13, 0, v9
	v_cndmask_b32_e64 v77, v58, v8, s13
; %bb.1486:                             ;   in Loop: Header=BB6_1466 Depth=3
	s_or_b32 exec_lo, exec_lo, s41
	v_and_b32_e32 v8, 0xffff0000, v10
                                        ; implicit-def: $vgpr76
	s_delay_alu instid0(VALU_DEP_1) | instskip(NEXT) | instid1(VALU_DEP_1)
	v_mul_f32_e32 v8, v57, v8
	v_and_b32_e32 v9, 0x7f800000, v8
	s_delay_alu instid0(VALU_DEP_1) | instskip(SKIP_1) | instid1(SALU_CYCLE_1)
	v_cmp_ne_u32_e64 s13, 0x7f800000, v9
	s_and_saveexec_b32 s41, s13
	s_xor_b32 s13, exec_lo, s41
; %bb.1487:                             ;   in Loop: Header=BB6_1466 Depth=3
	v_bfe_u32 v9, v8, 16, 1
	s_delay_alu instid0(VALU_DEP_1)
	v_add3_u32 v76, v8, v9, 0x7fff
                                        ; implicit-def: $vgpr8
; %bb.1488:                             ;   in Loop: Header=BB6_1466 Depth=3
	s_and_not1_saveexec_b32 s41, s13
; %bb.1489:                             ;   in Loop: Header=BB6_1466 Depth=3
	v_and_b32_e32 v9, 0xffff, v8
	v_or_b32_e32 v10, 0x10000, v8
	s_delay_alu instid0(VALU_DEP_2) | instskip(NEXT) | instid1(VALU_DEP_1)
	v_cmp_eq_u32_e64 s13, 0, v9
	v_cndmask_b32_e64 v76, v10, v8, s13
; %bb.1490:                             ;   in Loop: Header=BB6_1466 Depth=3
	s_or_b32 exec_lo, exec_lo, s41
	v_lshlrev_b32_e32 v8, 16, v11
                                        ; implicit-def: $vgpr75
	s_delay_alu instid0(VALU_DEP_1) | instskip(NEXT) | instid1(VALU_DEP_1)
	v_mul_f32_e32 v8, v57, v8
	v_and_b32_e32 v9, 0x7f800000, v8
	s_delay_alu instid0(VALU_DEP_1) | instskip(SKIP_1) | instid1(SALU_CYCLE_1)
	v_cmp_ne_u32_e64 s13, 0x7f800000, v9
	s_and_saveexec_b32 s41, s13
	s_xor_b32 s13, exec_lo, s41
; %bb.1491:                             ;   in Loop: Header=BB6_1466 Depth=3
	v_bfe_u32 v9, v8, 16, 1
	s_delay_alu instid0(VALU_DEP_1)
	v_add3_u32 v75, v8, v9, 0x7fff
                                        ; implicit-def: $vgpr8
; %bb.1492:                             ;   in Loop: Header=BB6_1466 Depth=3
	s_and_not1_saveexec_b32 s41, s13
; %bb.1493:                             ;   in Loop: Header=BB6_1466 Depth=3
	v_and_b32_e32 v9, 0xffff, v8
	v_or_b32_e32 v10, 0x10000, v8
	s_delay_alu instid0(VALU_DEP_2) | instskip(NEXT) | instid1(VALU_DEP_1)
	v_cmp_eq_u32_e64 s13, 0, v9
	v_cndmask_b32_e64 v75, v10, v8, s13
; %bb.1494:                             ;   in Loop: Header=BB6_1466 Depth=3
	s_or_b32 exec_lo, exec_lo, s41
	v_and_b32_e32 v8, 0xffff0000, v11
                                        ; implicit-def: $vgpr58
	s_delay_alu instid0(VALU_DEP_1) | instskip(NEXT) | instid1(VALU_DEP_1)
	v_mul_f32_e32 v8, v57, v8
	v_and_b32_e32 v9, 0x7f800000, v8
	s_delay_alu instid0(VALU_DEP_1) | instskip(SKIP_1) | instid1(SALU_CYCLE_1)
	v_cmp_ne_u32_e64 s13, 0x7f800000, v9
	s_and_saveexec_b32 s41, s13
	s_xor_b32 s13, exec_lo, s41
; %bb.1495:                             ;   in Loop: Header=BB6_1466 Depth=3
	v_bfe_u32 v9, v8, 16, 1
	s_delay_alu instid0(VALU_DEP_1)
	v_add3_u32 v58, v8, v9, 0x7fff
                                        ; implicit-def: $vgpr8
; %bb.1496:                             ;   in Loop: Header=BB6_1466 Depth=3
	s_and_not1_saveexec_b32 s41, s13
; %bb.1497:                             ;   in Loop: Header=BB6_1466 Depth=3
	v_and_b32_e32 v9, 0xffff, v8
	v_or_b32_e32 v10, 0x10000, v8
	s_delay_alu instid0(VALU_DEP_2) | instskip(NEXT) | instid1(VALU_DEP_1)
	v_cmp_eq_u32_e64 s13, 0, v9
	v_cndmask_b32_e64 v58, v10, v8, s13
; %bb.1498:                             ;   in Loop: Header=BB6_1466 Depth=3
	s_or_b32 exec_lo, exec_lo, s41
	global_load_b128 v[8:11], v[14:15], off th:TH_LOAD_NT
	v_and_b32_e32 v59, 0xffff0000, v59
	s_wait_loadcnt 0x0
	v_lshlrev_b32_e32 v89, 16, v8
	s_delay_alu instid0(VALU_DEP_1) | instskip(NEXT) | instid1(VALU_DEP_1)
	v_add_f32_e32 v89, v59, v89
	v_and_b32_e32 v59, 0x7f800000, v89
	s_delay_alu instid0(VALU_DEP_1) | instskip(SKIP_2) | instid1(SALU_CYCLE_1)
	v_cmp_ne_u32_e64 s13, 0x7f800000, v59
                                        ; implicit-def: $vgpr59
	s_wait_xcnt 0x0
	s_and_saveexec_b32 s41, s13
	s_xor_b32 s13, exec_lo, s41
; %bb.1499:                             ;   in Loop: Header=BB6_1466 Depth=3
	v_bfe_u32 v59, v89, 16, 1
	s_delay_alu instid0(VALU_DEP_1)
	v_add3_u32 v59, v89, v59, 0x7fff
                                        ; implicit-def: $vgpr89
; %bb.1500:                             ;   in Loop: Header=BB6_1466 Depth=3
	s_and_not1_saveexec_b32 s41, s13
; %bb.1501:                             ;   in Loop: Header=BB6_1466 Depth=3
	v_and_b32_e32 v59, 0xffff, v89
	v_or_b32_e32 v90, 0x10000, v89
	s_delay_alu instid0(VALU_DEP_2) | instskip(NEXT) | instid1(VALU_DEP_1)
	v_cmp_eq_u32_e64 s13, 0, v59
	v_cndmask_b32_e64 v59, v90, v89, s13
; %bb.1502:                             ;   in Loop: Header=BB6_1466 Depth=3
	s_or_b32 exec_lo, exec_lo, s41
	v_and_b32_e32 v88, 0xffff0000, v88
	v_and_b32_e32 v8, 0xffff0000, v8
	s_delay_alu instid0(VALU_DEP_1) | instskip(NEXT) | instid1(VALU_DEP_1)
	v_add_f32_e32 v88, v88, v8
	v_and_b32_e32 v8, 0x7f800000, v88
	s_delay_alu instid0(VALU_DEP_1) | instskip(SKIP_1) | instid1(SALU_CYCLE_1)
	v_cmp_ne_u32_e64 s13, 0x7f800000, v8
                                        ; implicit-def: $vgpr8
	s_and_saveexec_b32 s41, s13
	s_xor_b32 s13, exec_lo, s41
; %bb.1503:                             ;   in Loop: Header=BB6_1466 Depth=3
	v_bfe_u32 v8, v88, 16, 1
	s_delay_alu instid0(VALU_DEP_1)
	v_add3_u32 v8, v88, v8, 0x7fff
                                        ; implicit-def: $vgpr88
; %bb.1504:                             ;   in Loop: Header=BB6_1466 Depth=3
	s_and_not1_saveexec_b32 s41, s13
; %bb.1505:                             ;   in Loop: Header=BB6_1466 Depth=3
	v_and_b32_e32 v8, 0xffff, v88
	v_or_b32_e32 v89, 0x10000, v88
	s_delay_alu instid0(VALU_DEP_2) | instskip(NEXT) | instid1(VALU_DEP_1)
	v_cmp_eq_u32_e64 s13, 0, v8
	v_cndmask_b32_e64 v8, v89, v88, s13
; %bb.1506:                             ;   in Loop: Header=BB6_1466 Depth=3
	s_or_b32 exec_lo, exec_lo, s41
	v_and_b32_e32 v79, 0xffff0000, v79
	v_lshlrev_b32_e32 v88, 16, v9
	s_delay_alu instid0(VALU_DEP_1) | instskip(NEXT) | instid1(VALU_DEP_1)
	v_add_f32_e32 v88, v79, v88
	v_and_b32_e32 v79, 0x7f800000, v88
	s_delay_alu instid0(VALU_DEP_1) | instskip(SKIP_1) | instid1(SALU_CYCLE_1)
	v_cmp_ne_u32_e64 s13, 0x7f800000, v79
                                        ; implicit-def: $vgpr79
	s_and_saveexec_b32 s41, s13
	s_xor_b32 s13, exec_lo, s41
; %bb.1507:                             ;   in Loop: Header=BB6_1466 Depth=3
	v_bfe_u32 v79, v88, 16, 1
	s_delay_alu instid0(VALU_DEP_1)
	v_add3_u32 v79, v88, v79, 0x7fff
                                        ; implicit-def: $vgpr88
; %bb.1508:                             ;   in Loop: Header=BB6_1466 Depth=3
	s_and_not1_saveexec_b32 s41, s13
; %bb.1509:                             ;   in Loop: Header=BB6_1466 Depth=3
	v_and_b32_e32 v79, 0xffff, v88
	v_or_b32_e32 v89, 0x10000, v88
	s_delay_alu instid0(VALU_DEP_2) | instskip(NEXT) | instid1(VALU_DEP_1)
	v_cmp_eq_u32_e64 s13, 0, v79
	v_cndmask_b32_e64 v79, v89, v88, s13
; %bb.1510:                             ;   in Loop: Header=BB6_1466 Depth=3
	s_or_b32 exec_lo, exec_lo, s41
	v_and_b32_e32 v78, 0xffff0000, v78
	v_and_b32_e32 v9, 0xffff0000, v9
	s_delay_alu instid0(VALU_DEP_1) | instskip(NEXT) | instid1(VALU_DEP_1)
	v_add_f32_e32 v78, v78, v9
	v_and_b32_e32 v9, 0x7f800000, v78
	s_delay_alu instid0(VALU_DEP_1) | instskip(SKIP_1) | instid1(SALU_CYCLE_1)
	v_cmp_ne_u32_e64 s13, 0x7f800000, v9
                                        ; implicit-def: $vgpr9
	s_and_saveexec_b32 s41, s13
	s_xor_b32 s13, exec_lo, s41
; %bb.1511:                             ;   in Loop: Header=BB6_1466 Depth=3
	v_bfe_u32 v9, v78, 16, 1
	s_delay_alu instid0(VALU_DEP_1)
	v_add3_u32 v9, v78, v9, 0x7fff
                                        ; implicit-def: $vgpr78
; %bb.1512:                             ;   in Loop: Header=BB6_1466 Depth=3
	s_and_not1_saveexec_b32 s41, s13
; %bb.1513:                             ;   in Loop: Header=BB6_1466 Depth=3
	v_and_b32_e32 v9, 0xffff, v78
	v_or_b32_e32 v88, 0x10000, v78
	s_delay_alu instid0(VALU_DEP_2) | instskip(NEXT) | instid1(VALU_DEP_1)
	v_cmp_eq_u32_e64 s13, 0, v9
	v_cndmask_b32_e64 v9, v88, v78, s13
; %bb.1514:                             ;   in Loop: Header=BB6_1466 Depth=3
	s_or_b32 exec_lo, exec_lo, s41
	v_and_b32_e32 v77, 0xffff0000, v77
	v_lshlrev_b32_e32 v78, 16, v10
	s_delay_alu instid0(VALU_DEP_1) | instskip(NEXT) | instid1(VALU_DEP_1)
	v_add_f32_e32 v78, v77, v78
	v_and_b32_e32 v77, 0x7f800000, v78
	s_delay_alu instid0(VALU_DEP_1) | instskip(SKIP_1) | instid1(SALU_CYCLE_1)
	v_cmp_ne_u32_e64 s13, 0x7f800000, v77
                                        ; implicit-def: $vgpr77
	s_and_saveexec_b32 s41, s13
	s_xor_b32 s13, exec_lo, s41
; %bb.1515:                             ;   in Loop: Header=BB6_1466 Depth=3
	v_bfe_u32 v77, v78, 16, 1
	s_delay_alu instid0(VALU_DEP_1)
	v_add3_u32 v77, v78, v77, 0x7fff
                                        ; implicit-def: $vgpr78
; %bb.1516:                             ;   in Loop: Header=BB6_1466 Depth=3
	s_and_not1_saveexec_b32 s41, s13
; %bb.1517:                             ;   in Loop: Header=BB6_1466 Depth=3
	v_and_b32_e32 v77, 0xffff, v78
	v_or_b32_e32 v88, 0x10000, v78
	s_delay_alu instid0(VALU_DEP_2) | instskip(NEXT) | instid1(VALU_DEP_1)
	v_cmp_eq_u32_e64 s13, 0, v77
	v_cndmask_b32_e64 v77, v88, v78, s13
; %bb.1518:                             ;   in Loop: Header=BB6_1466 Depth=3
	s_or_b32 exec_lo, exec_lo, s41
	v_and_b32_e32 v76, 0xffff0000, v76
	v_and_b32_e32 v10, 0xffff0000, v10
	s_delay_alu instid0(VALU_DEP_1) | instskip(NEXT) | instid1(VALU_DEP_1)
	v_add_f32_e32 v76, v76, v10
	v_and_b32_e32 v10, 0x7f800000, v76
	s_delay_alu instid0(VALU_DEP_1) | instskip(SKIP_1) | instid1(SALU_CYCLE_1)
	v_cmp_ne_u32_e64 s13, 0x7f800000, v10
                                        ; implicit-def: $vgpr10
	s_and_saveexec_b32 s41, s13
	s_xor_b32 s13, exec_lo, s41
; %bb.1519:                             ;   in Loop: Header=BB6_1466 Depth=3
	v_bfe_u32 v10, v76, 16, 1
	s_delay_alu instid0(VALU_DEP_1)
	v_add3_u32 v10, v76, v10, 0x7fff
                                        ; implicit-def: $vgpr76
; %bb.1520:                             ;   in Loop: Header=BB6_1466 Depth=3
	s_and_not1_saveexec_b32 s41, s13
; %bb.1521:                             ;   in Loop: Header=BB6_1466 Depth=3
	v_and_b32_e32 v10, 0xffff, v76
	v_or_b32_e32 v78, 0x10000, v76
	s_delay_alu instid0(VALU_DEP_2) | instskip(NEXT) | instid1(VALU_DEP_1)
	v_cmp_eq_u32_e64 s13, 0, v10
	v_cndmask_b32_e64 v10, v78, v76, s13
; %bb.1522:                             ;   in Loop: Header=BB6_1466 Depth=3
	s_or_b32 exec_lo, exec_lo, s41
	v_and_b32_e32 v75, 0xffff0000, v75
	v_lshlrev_b32_e32 v76, 16, v11
	s_delay_alu instid0(VALU_DEP_1) | instskip(NEXT) | instid1(VALU_DEP_1)
	v_add_f32_e32 v76, v75, v76
	v_and_b32_e32 v75, 0x7f800000, v76
	s_delay_alu instid0(VALU_DEP_1) | instskip(SKIP_1) | instid1(SALU_CYCLE_1)
	v_cmp_ne_u32_e64 s13, 0x7f800000, v75
                                        ; implicit-def: $vgpr75
	s_and_saveexec_b32 s41, s13
	s_xor_b32 s13, exec_lo, s41
; %bb.1523:                             ;   in Loop: Header=BB6_1466 Depth=3
	v_bfe_u32 v75, v76, 16, 1
	s_delay_alu instid0(VALU_DEP_1)
	v_add3_u32 v75, v76, v75, 0x7fff
                                        ; implicit-def: $vgpr76
; %bb.1524:                             ;   in Loop: Header=BB6_1466 Depth=3
	s_and_not1_saveexec_b32 s41, s13
; %bb.1525:                             ;   in Loop: Header=BB6_1466 Depth=3
	v_and_b32_e32 v75, 0xffff, v76
	v_or_b32_e32 v78, 0x10000, v76
	s_delay_alu instid0(VALU_DEP_2) | instskip(NEXT) | instid1(VALU_DEP_1)
	v_cmp_eq_u32_e64 s13, 0, v75
	v_cndmask_b32_e64 v75, v78, v76, s13
; %bb.1526:                             ;   in Loop: Header=BB6_1466 Depth=3
	s_or_b32 exec_lo, exec_lo, s41
	v_and_b32_e32 v58, 0xffff0000, v58
	v_and_b32_e32 v11, 0xffff0000, v11
	s_delay_alu instid0(VALU_DEP_1) | instskip(NEXT) | instid1(VALU_DEP_1)
	v_add_f32_e32 v58, v58, v11
	v_and_b32_e32 v11, 0x7f800000, v58
	s_delay_alu instid0(VALU_DEP_1) | instskip(SKIP_1) | instid1(SALU_CYCLE_1)
	v_cmp_ne_u32_e64 s13, 0x7f800000, v11
                                        ; implicit-def: $vgpr11
	s_and_saveexec_b32 s41, s13
	s_xor_b32 s13, exec_lo, s41
; %bb.1527:                             ;   in Loop: Header=BB6_1466 Depth=3
	v_bfe_u32 v11, v58, 16, 1
	s_delay_alu instid0(VALU_DEP_1)
	v_add3_u32 v11, v58, v11, 0x7fff
                                        ; implicit-def: $vgpr58
; %bb.1528:                             ;   in Loop: Header=BB6_1466 Depth=3
	s_and_not1_saveexec_b32 s41, s13
	s_cbranch_execz .LBB6_1465
; %bb.1529:                             ;   in Loop: Header=BB6_1466 Depth=3
	v_and_b32_e32 v11, 0xffff, v58
	v_or_b32_e32 v76, 0x10000, v58
	s_delay_alu instid0(VALU_DEP_2) | instskip(NEXT) | instid1(VALU_DEP_1)
	v_cmp_eq_u32_e64 s13, 0, v11
	v_cndmask_b32_e64 v11, v76, v58, s13
	s_branch .LBB6_1465
.LBB6_1530:                             ;   in Loop: Header=BB6_955 Depth=2
	s_or_b32 exec_lo, exec_lo, s40
.LBB6_1531:                             ;   in Loop: Header=BB6_955 Depth=2
	s_delay_alu instid0(SALU_CYCLE_1) | instskip(NEXT) | instid1(VALU_DEP_2)
	s_or_b32 exec_lo, exec_lo, s15
	v_cmp_lt_i32_e64 s13, 0, v47
	s_delay_alu instid0(VALU_DEP_1) | instskip(NEXT) | instid1(VALU_DEP_1)
	v_dual_cndmask_b32 v10, 0, v36, s13 :: v_dual_bitop2_b32 v8, 14, v113 bitop3:0x40
	v_dual_sub_nc_u32 v9, v46, v8 :: v_dual_cndmask_b32 v113, v46, v8, vcc_lo
	s_delay_alu instid0(VALU_DEP_1) | instskip(NEXT) | instid1(VALU_DEP_2)
	v_dual_cndmask_b32 v8, 0, v9 :: v_dual_sub_nc_u32 v9, v10, v47
	v_cmp_ne_u32_e32 vcc_lo, 0, v113
	s_delay_alu instid0(VALU_DEP_2) | instskip(NEXT) | instid1(VALU_DEP_3)
	v_add3_u32 v14, v45, v44, v8
	v_lshl_add_u32 v15, v9, 5, v115
	s_and_b32 s15, vcc_lo, exec_lo
.LBB6_1532:                             ;   in Loop: Header=BB6_955 Depth=2
	s_or_b32 exec_lo, exec_lo, s14
	s_and_saveexec_b32 s13, s15
	s_cbranch_execz .LBB6_1613
.LBB6_1533:                             ;   in Loop: Header=BB6_955 Depth=2
	s_delay_alu instid0(VALU_DEP_1) | instskip(SKIP_1) | instid1(VALU_DEP_1)
	v_dual_ashrrev_i32 v8, 31, v15 :: v_dual_ashrrev_i32 v9, 31, v113
	s_mov_b32 s14, exec_lo
	v_dual_lshrrev_b32 v8, 27, v8 :: v_dual_lshrrev_b32 v9, 23, v9
	s_delay_alu instid0(VALU_DEP_1) | instskip(NEXT) | instid1(VALU_DEP_1)
	v_dual_add_nc_u32 v8, v15, v8 :: v_dual_add_nc_u32 v9, v113, v9
	v_dual_ashrrev_i32 v115, 5, v8 :: v_dual_ashrrev_i32 v43, 9, v9
	s_delay_alu instid0(VALU_DEP_1) | instskip(NEXT) | instid1(VALU_DEP_1)
	v_sub_nc_u32_e32 v42, v43, v115
	v_cmpx_lt_i32_e32 0, v42
	s_cbranch_execz .LBB6_1601
; %bb.1534:                             ;   in Loop: Header=BB6_955 Depth=2
	v_and_b32_e32 v8, 0x7fffffe0, v8
	s_trap 2
	ds_load_b64 v[10:11], v0
	ds_load_b32 v46, v0
	v_add_nc_u64_e32 v[44:45], 0x1c0, v[40:41]
	v_dual_sub_nc_u32 v8, v15, v8 :: v_dual_lshlrev_b32 v9, 9, v115
	s_mov_b32 s15, 0
	s_delay_alu instid0(VALU_DEP_1) | instskip(NEXT) | instid1(VALU_DEP_1)
	v_lshlrev_b32_e32 v8, 1, v8
	v_add3_u32 v12, v8, v14, v9
	s_delay_alu instid0(VALU_DEP_1) | instskip(NEXT) | instid1(VALU_DEP_1)
	v_ashrrev_i32_e32 v13, 31, v12
	v_add_nc_u64_e32 v[8:9], v[12:13], v[118:119]
	s_wait_dscnt 0x1
	v_add_nc_u64_e32 v[10:11], v[10:11], v[12:13]
	v_add_nc_u64_e32 v[12:13], v[44:45], v[12:13]
	s_wait_dscnt 0x0
	v_lshlrev_b32_e32 v44, 16, v46
	s_branch .LBB6_1536
.LBB6_1535:                             ;   in Loop: Header=BB6_1536 Depth=3
	s_or_b32 exec_lo, exec_lo, s40
	v_sub_nc_u32_e32 v42, v42, v36
	s_clause 0x7
	flat_store_d16_hi_b16 v[12:13], v45 offset:-448 th:TH_STORE_NT
	flat_store_d16_hi_b16 v[12:13], v46 offset:-384 th:TH_STORE_NT
	;; [unrolled: 1-line block ×7, first 2 shown]
	flat_store_d16_hi_b16 v[12:13], v75 th:TH_STORE_NT
	v_add_nc_u64_e32 v[8:9], v[8:9], v[54:55]
	v_add_nc_u64_e32 v[10:11], v[10:11], v[54:55]
	s_wait_xcnt 0x0
	v_add_nc_u64_e32 v[12:13], v[12:13], v[54:55]
	v_cmp_gt_i32_e32 vcc_lo, 1, v42
	s_or_b32 s15, vcc_lo, s15
	s_delay_alu instid0(SALU_CYCLE_1)
	s_and_not1_b32 exec_lo, exec_lo, s15
	s_cbranch_execz .LBB6_1600
.LBB6_1536:                             ;   Parent Loop BB6_47 Depth=1
                                        ;     Parent Loop BB6_955 Depth=2
                                        ; =>    This Inner Loop Header: Depth=3
	flat_load_u16 v45, v[8:9] th:TH_LOAD_NT
	s_wait_loadcnt_dscnt 0x0
	v_lshlrev_b32_e32 v45, 16, v45
	s_delay_alu instid0(VALU_DEP_1) | instskip(NEXT) | instid1(VALU_DEP_1)
	v_mul_f32_e32 v46, v44, v45
	v_and_b32_e32 v45, 0x7f800000, v46
	s_delay_alu instid0(VALU_DEP_1) | instskip(SKIP_2) | instid1(SALU_CYCLE_1)
	v_cmp_ne_u32_e32 vcc_lo, 0x7f800000, v45
                                        ; implicit-def: $vgpr45
	s_wait_xcnt 0x0
	s_and_saveexec_b32 s40, vcc_lo
	s_xor_b32 s40, exec_lo, s40
; %bb.1537:                             ;   in Loop: Header=BB6_1536 Depth=3
	v_bfe_u32 v45, v46, 16, 1
	s_delay_alu instid0(VALU_DEP_1)
	v_add3_u32 v45, v46, v45, 0x7fff
                                        ; implicit-def: $vgpr46
; %bb.1538:                             ;   in Loop: Header=BB6_1536 Depth=3
	s_and_not1_saveexec_b32 s40, s40
; %bb.1539:                             ;   in Loop: Header=BB6_1536 Depth=3
	v_and_b32_e32 v45, 0xffff, v46
	v_or_b32_e32 v47, 0x10000, v46
	s_delay_alu instid0(VALU_DEP_2) | instskip(NEXT) | instid1(VALU_DEP_2)
	v_cmp_eq_u32_e32 vcc_lo, 0, v45
	v_cndmask_b32_e32 v45, v47, v46, vcc_lo
; %bb.1540:                             ;   in Loop: Header=BB6_1536 Depth=3
	s_or_b32 exec_lo, exec_lo, s40
	flat_load_u16 v46, v[8:9] offset:64 th:TH_LOAD_NT
	s_wait_loadcnt_dscnt 0x0
	v_lshlrev_b32_e32 v46, 16, v46
	s_delay_alu instid0(VALU_DEP_1) | instskip(NEXT) | instid1(VALU_DEP_1)
	v_mul_f32_e32 v47, v44, v46
	v_and_b32_e32 v46, 0x7f800000, v47
	s_delay_alu instid0(VALU_DEP_1) | instskip(SKIP_2) | instid1(SALU_CYCLE_1)
	v_cmp_ne_u32_e32 vcc_lo, 0x7f800000, v46
                                        ; implicit-def: $vgpr46
	s_wait_xcnt 0x0
	s_and_saveexec_b32 s40, vcc_lo
	s_xor_b32 s40, exec_lo, s40
; %bb.1541:                             ;   in Loop: Header=BB6_1536 Depth=3
	v_bfe_u32 v46, v47, 16, 1
	s_delay_alu instid0(VALU_DEP_1)
	v_add3_u32 v46, v47, v46, 0x7fff
                                        ; implicit-def: $vgpr47
; %bb.1542:                             ;   in Loop: Header=BB6_1536 Depth=3
	s_and_not1_saveexec_b32 s40, s40
; %bb.1543:                             ;   in Loop: Header=BB6_1536 Depth=3
	v_and_b32_e32 v46, 0xffff, v47
	v_or_b32_e32 v56, 0x10000, v47
	s_delay_alu instid0(VALU_DEP_2) | instskip(NEXT) | instid1(VALU_DEP_2)
	v_cmp_eq_u32_e32 vcc_lo, 0, v46
	v_cndmask_b32_e32 v46, v56, v47, vcc_lo
; %bb.1544:                             ;   in Loop: Header=BB6_1536 Depth=3
	s_or_b32 exec_lo, exec_lo, s40
	flat_load_u16 v47, v[8:9] offset:128 th:TH_LOAD_NT
	s_wait_loadcnt_dscnt 0x0
	v_lshlrev_b32_e32 v47, 16, v47
	s_delay_alu instid0(VALU_DEP_1) | instskip(NEXT) | instid1(VALU_DEP_1)
	v_mul_f32_e32 v56, v44, v47
	v_and_b32_e32 v47, 0x7f800000, v56
	s_delay_alu instid0(VALU_DEP_1) | instskip(SKIP_2) | instid1(SALU_CYCLE_1)
	v_cmp_ne_u32_e32 vcc_lo, 0x7f800000, v47
                                        ; implicit-def: $vgpr47
	s_wait_xcnt 0x0
	s_and_saveexec_b32 s40, vcc_lo
	s_xor_b32 s40, exec_lo, s40
; %bb.1545:                             ;   in Loop: Header=BB6_1536 Depth=3
	v_bfe_u32 v47, v56, 16, 1
	s_delay_alu instid0(VALU_DEP_1)
	v_add3_u32 v47, v56, v47, 0x7fff
                                        ; implicit-def: $vgpr56
; %bb.1546:                             ;   in Loop: Header=BB6_1536 Depth=3
	s_and_not1_saveexec_b32 s40, s40
; %bb.1547:                             ;   in Loop: Header=BB6_1536 Depth=3
	v_and_b32_e32 v47, 0xffff, v56
	v_or_b32_e32 v57, 0x10000, v56
	s_delay_alu instid0(VALU_DEP_2) | instskip(NEXT) | instid1(VALU_DEP_2)
	v_cmp_eq_u32_e32 vcc_lo, 0, v47
	v_cndmask_b32_e32 v47, v57, v56, vcc_lo
; %bb.1548:                             ;   in Loop: Header=BB6_1536 Depth=3
	s_or_b32 exec_lo, exec_lo, s40
	flat_load_u16 v56, v[8:9] offset:192 th:TH_LOAD_NT
	s_wait_loadcnt_dscnt 0x0
	v_lshlrev_b32_e32 v56, 16, v56
	s_delay_alu instid0(VALU_DEP_1) | instskip(NEXT) | instid1(VALU_DEP_1)
	v_mul_f32_e32 v57, v44, v56
	v_and_b32_e32 v56, 0x7f800000, v57
	s_delay_alu instid0(VALU_DEP_1) | instskip(SKIP_2) | instid1(SALU_CYCLE_1)
	v_cmp_ne_u32_e32 vcc_lo, 0x7f800000, v56
                                        ; implicit-def: $vgpr56
	s_wait_xcnt 0x0
	s_and_saveexec_b32 s40, vcc_lo
	s_xor_b32 s40, exec_lo, s40
; %bb.1549:                             ;   in Loop: Header=BB6_1536 Depth=3
	v_bfe_u32 v56, v57, 16, 1
	s_delay_alu instid0(VALU_DEP_1)
	v_add3_u32 v56, v57, v56, 0x7fff
                                        ; implicit-def: $vgpr57
; %bb.1550:                             ;   in Loop: Header=BB6_1536 Depth=3
	s_and_not1_saveexec_b32 s40, s40
; %bb.1551:                             ;   in Loop: Header=BB6_1536 Depth=3
	v_and_b32_e32 v56, 0xffff, v57
	v_or_b32_e32 v58, 0x10000, v57
	s_delay_alu instid0(VALU_DEP_2) | instskip(NEXT) | instid1(VALU_DEP_2)
	v_cmp_eq_u32_e32 vcc_lo, 0, v56
	v_cndmask_b32_e32 v56, v58, v57, vcc_lo
; %bb.1552:                             ;   in Loop: Header=BB6_1536 Depth=3
	s_or_b32 exec_lo, exec_lo, s40
	flat_load_u16 v57, v[8:9] offset:256 th:TH_LOAD_NT
	s_wait_loadcnt_dscnt 0x0
	v_lshlrev_b32_e32 v57, 16, v57
	s_delay_alu instid0(VALU_DEP_1) | instskip(NEXT) | instid1(VALU_DEP_1)
	v_mul_f32_e32 v58, v44, v57
	v_and_b32_e32 v57, 0x7f800000, v58
	s_delay_alu instid0(VALU_DEP_1) | instskip(SKIP_2) | instid1(SALU_CYCLE_1)
	v_cmp_ne_u32_e32 vcc_lo, 0x7f800000, v57
                                        ; implicit-def: $vgpr57
	s_wait_xcnt 0x0
	s_and_saveexec_b32 s40, vcc_lo
	s_xor_b32 s40, exec_lo, s40
; %bb.1553:                             ;   in Loop: Header=BB6_1536 Depth=3
	v_bfe_u32 v57, v58, 16, 1
	s_delay_alu instid0(VALU_DEP_1)
	v_add3_u32 v57, v58, v57, 0x7fff
                                        ; implicit-def: $vgpr58
; %bb.1554:                             ;   in Loop: Header=BB6_1536 Depth=3
	s_and_not1_saveexec_b32 s40, s40
; %bb.1555:                             ;   in Loop: Header=BB6_1536 Depth=3
	v_and_b32_e32 v57, 0xffff, v58
	v_or_b32_e32 v59, 0x10000, v58
	s_delay_alu instid0(VALU_DEP_2) | instskip(NEXT) | instid1(VALU_DEP_2)
	v_cmp_eq_u32_e32 vcc_lo, 0, v57
	v_cndmask_b32_e32 v57, v59, v58, vcc_lo
; %bb.1556:                             ;   in Loop: Header=BB6_1536 Depth=3
	s_or_b32 exec_lo, exec_lo, s40
	flat_load_u16 v58, v[8:9] offset:320 th:TH_LOAD_NT
	s_wait_loadcnt_dscnt 0x0
	v_lshlrev_b32_e32 v58, 16, v58
	s_delay_alu instid0(VALU_DEP_1) | instskip(NEXT) | instid1(VALU_DEP_1)
	v_mul_f32_e32 v59, v44, v58
	v_and_b32_e32 v58, 0x7f800000, v59
	s_delay_alu instid0(VALU_DEP_1) | instskip(SKIP_2) | instid1(SALU_CYCLE_1)
	v_cmp_ne_u32_e32 vcc_lo, 0x7f800000, v58
                                        ; implicit-def: $vgpr58
	s_wait_xcnt 0x0
	s_and_saveexec_b32 s40, vcc_lo
	s_xor_b32 s40, exec_lo, s40
; %bb.1557:                             ;   in Loop: Header=BB6_1536 Depth=3
	v_bfe_u32 v58, v59, 16, 1
	s_delay_alu instid0(VALU_DEP_1)
	v_add3_u32 v58, v59, v58, 0x7fff
                                        ; implicit-def: $vgpr59
; %bb.1558:                             ;   in Loop: Header=BB6_1536 Depth=3
	s_and_not1_saveexec_b32 s40, s40
; %bb.1559:                             ;   in Loop: Header=BB6_1536 Depth=3
	v_and_b32_e32 v58, 0xffff, v59
	v_or_b32_e32 v75, 0x10000, v59
	s_delay_alu instid0(VALU_DEP_2) | instskip(NEXT) | instid1(VALU_DEP_2)
	v_cmp_eq_u32_e32 vcc_lo, 0, v58
	v_cndmask_b32_e32 v58, v75, v59, vcc_lo
; %bb.1560:                             ;   in Loop: Header=BB6_1536 Depth=3
	s_or_b32 exec_lo, exec_lo, s40
	flat_load_u16 v59, v[8:9] offset:384 th:TH_LOAD_NT
	s_wait_loadcnt_dscnt 0x0
	v_lshlrev_b32_e32 v59, 16, v59
	s_delay_alu instid0(VALU_DEP_1) | instskip(NEXT) | instid1(VALU_DEP_1)
	v_mul_f32_e32 v75, v44, v59
	v_and_b32_e32 v59, 0x7f800000, v75
	s_delay_alu instid0(VALU_DEP_1) | instskip(SKIP_2) | instid1(SALU_CYCLE_1)
	v_cmp_ne_u32_e32 vcc_lo, 0x7f800000, v59
                                        ; implicit-def: $vgpr59
	s_wait_xcnt 0x0
	s_and_saveexec_b32 s40, vcc_lo
	s_xor_b32 s40, exec_lo, s40
; %bb.1561:                             ;   in Loop: Header=BB6_1536 Depth=3
	v_bfe_u32 v59, v75, 16, 1
	s_delay_alu instid0(VALU_DEP_1)
	v_add3_u32 v59, v75, v59, 0x7fff
                                        ; implicit-def: $vgpr75
; %bb.1562:                             ;   in Loop: Header=BB6_1536 Depth=3
	s_and_not1_saveexec_b32 s40, s40
; %bb.1563:                             ;   in Loop: Header=BB6_1536 Depth=3
	v_and_b32_e32 v59, 0xffff, v75
	v_or_b32_e32 v76, 0x10000, v75
	s_delay_alu instid0(VALU_DEP_2) | instskip(NEXT) | instid1(VALU_DEP_2)
	v_cmp_eq_u32_e32 vcc_lo, 0, v59
	v_cndmask_b32_e32 v59, v76, v75, vcc_lo
; %bb.1564:                             ;   in Loop: Header=BB6_1536 Depth=3
	s_or_b32 exec_lo, exec_lo, s40
	flat_load_u16 v75, v[8:9] offset:448 th:TH_LOAD_NT
	s_wait_loadcnt_dscnt 0x0
	v_lshlrev_b32_e32 v75, 16, v75
	s_delay_alu instid0(VALU_DEP_1) | instskip(NEXT) | instid1(VALU_DEP_1)
	v_mul_f32_e32 v76, v44, v75
	v_and_b32_e32 v75, 0x7f800000, v76
	s_delay_alu instid0(VALU_DEP_1) | instskip(SKIP_2) | instid1(SALU_CYCLE_1)
	v_cmp_ne_u32_e32 vcc_lo, 0x7f800000, v75
                                        ; implicit-def: $vgpr75
	s_wait_xcnt 0x0
	s_and_saveexec_b32 s40, vcc_lo
	s_xor_b32 s40, exec_lo, s40
; %bb.1565:                             ;   in Loop: Header=BB6_1536 Depth=3
	v_bfe_u32 v75, v76, 16, 1
	s_delay_alu instid0(VALU_DEP_1)
	v_add3_u32 v75, v76, v75, 0x7fff
                                        ; implicit-def: $vgpr76
; %bb.1566:                             ;   in Loop: Header=BB6_1536 Depth=3
	s_and_not1_saveexec_b32 s40, s40
; %bb.1567:                             ;   in Loop: Header=BB6_1536 Depth=3
	v_and_b32_e32 v75, 0xffff, v76
	v_or_b32_e32 v77, 0x10000, v76
	s_delay_alu instid0(VALU_DEP_2) | instskip(NEXT) | instid1(VALU_DEP_2)
	v_cmp_eq_u32_e32 vcc_lo, 0, v75
	v_cndmask_b32_e32 v75, v77, v76, vcc_lo
; %bb.1568:                             ;   in Loop: Header=BB6_1536 Depth=3
	s_or_b32 exec_lo, exec_lo, s40
	s_clause 0x7
	flat_load_u16 v89, v[10:11] offset:128 th:TH_LOAD_NT
	flat_load_u16 v88, v[10:11] offset:192 th:TH_LOAD_NT
	;; [unrolled: 1-line block ×6, first 2 shown]
	flat_load_u16 v91, v[10:11] th:TH_LOAD_NT
	flat_load_u16 v90, v[10:11] offset:64 th:TH_LOAD_NT
	v_and_b32_e32 v45, 0xffff0000, v45
	s_wait_loadcnt_dscnt 0x101
	v_lshlrev_b32_e32 v91, 16, v91
	s_delay_alu instid0(VALU_DEP_1) | instskip(NEXT) | instid1(VALU_DEP_1)
	v_add_f32_e32 v91, v45, v91
	v_and_b32_e32 v45, 0x7f800000, v91
	s_delay_alu instid0(VALU_DEP_1) | instskip(SKIP_2) | instid1(SALU_CYCLE_1)
	v_cmp_ne_u32_e32 vcc_lo, 0x7f800000, v45
                                        ; implicit-def: $vgpr45
	s_wait_xcnt 0x0
	s_and_saveexec_b32 s40, vcc_lo
	s_xor_b32 s40, exec_lo, s40
; %bb.1569:                             ;   in Loop: Header=BB6_1536 Depth=3
	v_bfe_u32 v45, v91, 16, 1
	s_delay_alu instid0(VALU_DEP_1)
	v_add3_u32 v45, v91, v45, 0x7fff
                                        ; implicit-def: $vgpr91
; %bb.1570:                             ;   in Loop: Header=BB6_1536 Depth=3
	s_and_not1_saveexec_b32 s40, s40
; %bb.1571:                             ;   in Loop: Header=BB6_1536 Depth=3
	v_and_b32_e32 v45, 0xffff, v91
	v_or_b32_e32 v92, 0x10000, v91
	s_delay_alu instid0(VALU_DEP_2) | instskip(NEXT) | instid1(VALU_DEP_2)
	v_cmp_eq_u32_e32 vcc_lo, 0, v45
	v_cndmask_b32_e32 v45, v92, v91, vcc_lo
; %bb.1572:                             ;   in Loop: Header=BB6_1536 Depth=3
	s_or_b32 exec_lo, exec_lo, s40
	v_and_b32_e32 v46, 0xffff0000, v46
	s_wait_loadcnt_dscnt 0x0
	v_lshlrev_b32_e32 v90, 16, v90
	s_delay_alu instid0(VALU_DEP_1) | instskip(NEXT) | instid1(VALU_DEP_1)
	v_add_f32_e32 v90, v46, v90
	v_and_b32_e32 v46, 0x7f800000, v90
	s_delay_alu instid0(VALU_DEP_1) | instskip(SKIP_1) | instid1(SALU_CYCLE_1)
	v_cmp_ne_u32_e32 vcc_lo, 0x7f800000, v46
                                        ; implicit-def: $vgpr46
	s_and_saveexec_b32 s40, vcc_lo
	s_xor_b32 s40, exec_lo, s40
; %bb.1573:                             ;   in Loop: Header=BB6_1536 Depth=3
	v_bfe_u32 v46, v90, 16, 1
	s_delay_alu instid0(VALU_DEP_1)
	v_add3_u32 v46, v90, v46, 0x7fff
                                        ; implicit-def: $vgpr90
; %bb.1574:                             ;   in Loop: Header=BB6_1536 Depth=3
	s_and_not1_saveexec_b32 s40, s40
; %bb.1575:                             ;   in Loop: Header=BB6_1536 Depth=3
	v_and_b32_e32 v46, 0xffff, v90
	v_or_b32_e32 v91, 0x10000, v90
	s_delay_alu instid0(VALU_DEP_2) | instskip(NEXT) | instid1(VALU_DEP_2)
	v_cmp_eq_u32_e32 vcc_lo, 0, v46
	v_cndmask_b32_e32 v46, v91, v90, vcc_lo
; %bb.1576:                             ;   in Loop: Header=BB6_1536 Depth=3
	s_or_b32 exec_lo, exec_lo, s40
	v_and_b32_e32 v47, 0xffff0000, v47
	v_lshlrev_b32_e32 v89, 16, v89
	s_delay_alu instid0(VALU_DEP_1) | instskip(NEXT) | instid1(VALU_DEP_1)
	v_add_f32_e32 v89, v47, v89
	v_and_b32_e32 v47, 0x7f800000, v89
	s_delay_alu instid0(VALU_DEP_1) | instskip(SKIP_1) | instid1(SALU_CYCLE_1)
	v_cmp_ne_u32_e32 vcc_lo, 0x7f800000, v47
                                        ; implicit-def: $vgpr47
	s_and_saveexec_b32 s40, vcc_lo
	s_xor_b32 s40, exec_lo, s40
; %bb.1577:                             ;   in Loop: Header=BB6_1536 Depth=3
	v_bfe_u32 v47, v89, 16, 1
	s_delay_alu instid0(VALU_DEP_1)
	v_add3_u32 v47, v89, v47, 0x7fff
                                        ; implicit-def: $vgpr89
; %bb.1578:                             ;   in Loop: Header=BB6_1536 Depth=3
	s_and_not1_saveexec_b32 s40, s40
; %bb.1579:                             ;   in Loop: Header=BB6_1536 Depth=3
	v_and_b32_e32 v47, 0xffff, v89
	v_or_b32_e32 v90, 0x10000, v89
	s_delay_alu instid0(VALU_DEP_2) | instskip(NEXT) | instid1(VALU_DEP_2)
	v_cmp_eq_u32_e32 vcc_lo, 0, v47
	v_cndmask_b32_e32 v47, v90, v89, vcc_lo
; %bb.1580:                             ;   in Loop: Header=BB6_1536 Depth=3
	s_or_b32 exec_lo, exec_lo, s40
	v_and_b32_e32 v56, 0xffff0000, v56
	v_lshlrev_b32_e32 v88, 16, v88
	s_delay_alu instid0(VALU_DEP_1) | instskip(NEXT) | instid1(VALU_DEP_1)
	v_add_f32_e32 v88, v56, v88
	v_and_b32_e32 v56, 0x7f800000, v88
	s_delay_alu instid0(VALU_DEP_1) | instskip(SKIP_1) | instid1(SALU_CYCLE_1)
	v_cmp_ne_u32_e32 vcc_lo, 0x7f800000, v56
                                        ; implicit-def: $vgpr56
	s_and_saveexec_b32 s40, vcc_lo
	s_xor_b32 s40, exec_lo, s40
; %bb.1581:                             ;   in Loop: Header=BB6_1536 Depth=3
	v_bfe_u32 v56, v88, 16, 1
	s_delay_alu instid0(VALU_DEP_1)
	v_add3_u32 v56, v88, v56, 0x7fff
                                        ; implicit-def: $vgpr88
; %bb.1582:                             ;   in Loop: Header=BB6_1536 Depth=3
	s_and_not1_saveexec_b32 s40, s40
; %bb.1583:                             ;   in Loop: Header=BB6_1536 Depth=3
	v_and_b32_e32 v56, 0xffff, v88
	v_or_b32_e32 v89, 0x10000, v88
	s_delay_alu instid0(VALU_DEP_2) | instskip(NEXT) | instid1(VALU_DEP_2)
	v_cmp_eq_u32_e32 vcc_lo, 0, v56
	v_cndmask_b32_e32 v56, v89, v88, vcc_lo
; %bb.1584:                             ;   in Loop: Header=BB6_1536 Depth=3
	s_or_b32 exec_lo, exec_lo, s40
	v_and_b32_e32 v57, 0xffff0000, v57
	v_lshlrev_b32_e32 v79, 16, v79
	s_delay_alu instid0(VALU_DEP_1) | instskip(NEXT) | instid1(VALU_DEP_1)
	v_add_f32_e32 v79, v57, v79
	v_and_b32_e32 v57, 0x7f800000, v79
	s_delay_alu instid0(VALU_DEP_1) | instskip(SKIP_1) | instid1(SALU_CYCLE_1)
	v_cmp_ne_u32_e32 vcc_lo, 0x7f800000, v57
                                        ; implicit-def: $vgpr57
	s_and_saveexec_b32 s40, vcc_lo
	s_xor_b32 s40, exec_lo, s40
; %bb.1585:                             ;   in Loop: Header=BB6_1536 Depth=3
	v_bfe_u32 v57, v79, 16, 1
	s_delay_alu instid0(VALU_DEP_1)
	v_add3_u32 v57, v79, v57, 0x7fff
                                        ; implicit-def: $vgpr79
; %bb.1586:                             ;   in Loop: Header=BB6_1536 Depth=3
	s_and_not1_saveexec_b32 s40, s40
; %bb.1587:                             ;   in Loop: Header=BB6_1536 Depth=3
	v_and_b32_e32 v57, 0xffff, v79
	v_or_b32_e32 v88, 0x10000, v79
	s_delay_alu instid0(VALU_DEP_2) | instskip(NEXT) | instid1(VALU_DEP_2)
	v_cmp_eq_u32_e32 vcc_lo, 0, v57
	v_cndmask_b32_e32 v57, v88, v79, vcc_lo
; %bb.1588:                             ;   in Loop: Header=BB6_1536 Depth=3
	s_or_b32 exec_lo, exec_lo, s40
	v_and_b32_e32 v58, 0xffff0000, v58
	v_lshlrev_b32_e32 v78, 16, v78
	s_delay_alu instid0(VALU_DEP_1) | instskip(NEXT) | instid1(VALU_DEP_1)
	v_add_f32_e32 v78, v58, v78
	v_and_b32_e32 v58, 0x7f800000, v78
	s_delay_alu instid0(VALU_DEP_1) | instskip(SKIP_1) | instid1(SALU_CYCLE_1)
	v_cmp_ne_u32_e32 vcc_lo, 0x7f800000, v58
                                        ; implicit-def: $vgpr58
	s_and_saveexec_b32 s40, vcc_lo
	s_xor_b32 s40, exec_lo, s40
; %bb.1589:                             ;   in Loop: Header=BB6_1536 Depth=3
	v_bfe_u32 v58, v78, 16, 1
	s_delay_alu instid0(VALU_DEP_1)
	v_add3_u32 v58, v78, v58, 0x7fff
                                        ; implicit-def: $vgpr78
; %bb.1590:                             ;   in Loop: Header=BB6_1536 Depth=3
	s_and_not1_saveexec_b32 s40, s40
; %bb.1591:                             ;   in Loop: Header=BB6_1536 Depth=3
	v_and_b32_e32 v58, 0xffff, v78
	v_or_b32_e32 v79, 0x10000, v78
	s_delay_alu instid0(VALU_DEP_2) | instskip(NEXT) | instid1(VALU_DEP_2)
	v_cmp_eq_u32_e32 vcc_lo, 0, v58
	v_cndmask_b32_e32 v58, v79, v78, vcc_lo
; %bb.1592:                             ;   in Loop: Header=BB6_1536 Depth=3
	s_or_b32 exec_lo, exec_lo, s40
	v_and_b32_e32 v59, 0xffff0000, v59
	v_lshlrev_b32_e32 v77, 16, v77
	s_delay_alu instid0(VALU_DEP_1) | instskip(NEXT) | instid1(VALU_DEP_1)
	v_add_f32_e32 v77, v59, v77
	v_and_b32_e32 v59, 0x7f800000, v77
	s_delay_alu instid0(VALU_DEP_1) | instskip(SKIP_1) | instid1(SALU_CYCLE_1)
	v_cmp_ne_u32_e32 vcc_lo, 0x7f800000, v59
                                        ; implicit-def: $vgpr59
	s_and_saveexec_b32 s40, vcc_lo
	s_xor_b32 s40, exec_lo, s40
; %bb.1593:                             ;   in Loop: Header=BB6_1536 Depth=3
	v_bfe_u32 v59, v77, 16, 1
	s_delay_alu instid0(VALU_DEP_1)
	v_add3_u32 v59, v77, v59, 0x7fff
                                        ; implicit-def: $vgpr77
; %bb.1594:                             ;   in Loop: Header=BB6_1536 Depth=3
	s_and_not1_saveexec_b32 s40, s40
; %bb.1595:                             ;   in Loop: Header=BB6_1536 Depth=3
	v_and_b32_e32 v59, 0xffff, v77
	v_or_b32_e32 v78, 0x10000, v77
	s_delay_alu instid0(VALU_DEP_2) | instskip(NEXT) | instid1(VALU_DEP_2)
	v_cmp_eq_u32_e32 vcc_lo, 0, v59
	v_cndmask_b32_e32 v59, v78, v77, vcc_lo
; %bb.1596:                             ;   in Loop: Header=BB6_1536 Depth=3
	s_or_b32 exec_lo, exec_lo, s40
	v_and_b32_e32 v75, 0xffff0000, v75
	v_lshlrev_b32_e32 v76, 16, v76
	s_delay_alu instid0(VALU_DEP_1) | instskip(NEXT) | instid1(VALU_DEP_1)
	v_add_f32_e32 v76, v75, v76
	v_and_b32_e32 v75, 0x7f800000, v76
	s_delay_alu instid0(VALU_DEP_1) | instskip(SKIP_1) | instid1(SALU_CYCLE_1)
	v_cmp_ne_u32_e32 vcc_lo, 0x7f800000, v75
                                        ; implicit-def: $vgpr75
	s_and_saveexec_b32 s40, vcc_lo
	s_xor_b32 s40, exec_lo, s40
; %bb.1597:                             ;   in Loop: Header=BB6_1536 Depth=3
	v_bfe_u32 v75, v76, 16, 1
	s_delay_alu instid0(VALU_DEP_1)
	v_add3_u32 v75, v76, v75, 0x7fff
                                        ; implicit-def: $vgpr76
; %bb.1598:                             ;   in Loop: Header=BB6_1536 Depth=3
	s_and_not1_saveexec_b32 s40, s40
	s_cbranch_execz .LBB6_1535
; %bb.1599:                             ;   in Loop: Header=BB6_1536 Depth=3
	v_and_b32_e32 v75, 0xffff, v76
	v_or_b32_e32 v77, 0x10000, v76
	s_delay_alu instid0(VALU_DEP_2) | instskip(NEXT) | instid1(VALU_DEP_2)
	v_cmp_eq_u32_e32 vcc_lo, 0, v75
	v_cndmask_b32_e32 v75, v77, v76, vcc_lo
	s_branch .LBB6_1535
.LBB6_1600:                             ;   in Loop: Header=BB6_955 Depth=2
	s_or_b32 exec_lo, exec_lo, s15
.LBB6_1601:                             ;   in Loop: Header=BB6_955 Depth=2
	s_delay_alu instid0(SALU_CYCLE_1) | instskip(SKIP_1) | instid1(VALU_DEP_1)
	s_or_b32 exec_lo, exec_lo, s14
	v_lshlrev_b32_e32 v8, 9, v43
	v_cmp_ne_u32_e32 vcc_lo, v113, v8
	s_and_b32 exec_lo, exec_lo, vcc_lo
	s_cbranch_execz .LBB6_1613
; %bb.1602:                             ;   in Loop: Header=BB6_955 Depth=2
	v_dual_lshlrev_b32 v9, 5, v115 :: v_dual_lshlrev_b32 v10, 5, v42
	s_delay_alu instid0(VALU_DEP_1) | instskip(NEXT) | instid1(VALU_DEP_1)
	v_sub_nc_u32_e32 v9, v15, v9
	v_sub_nc_u32_e32 v9, v9, v10
	s_delay_alu instid0(VALU_DEP_1) | instskip(NEXT) | instid1(VALU_DEP_1)
	v_ashrrev_i32_e32 v10, 31, v9
	v_lshrrev_b32_e32 v10, 27, v10
	s_delay_alu instid0(VALU_DEP_1) | instskip(NEXT) | instid1(VALU_DEP_1)
	v_add_nc_u32_e32 v10, v9, v10
	v_and_b32_e32 v11, 0x7fffffe0, v10
	s_delay_alu instid0(VALU_DEP_1) | instskip(NEXT) | instid1(VALU_DEP_1)
	v_dual_lshlrev_b32 v10, 1, v10 :: v_dual_sub_nc_u32 v9, v9, v11
	v_and_b32_e32 v10, 0xffffffc0, v10
	s_delay_alu instid0(VALU_DEP_2) | instskip(NEXT) | instid1(VALU_DEP_1)
	v_lshlrev_b32_e32 v9, 1, v9
	v_add3_u32 v8, v10, v9, v8
	s_delay_alu instid0(VALU_DEP_1) | instskip(NEXT) | instid1(VALU_DEP_1)
	v_sub_nc_u32_e32 v15, v113, v8
	v_cmp_lt_i32_e32 vcc_lo, 1, v15
	s_and_b32 exec_lo, exec_lo, vcc_lo
	s_cbranch_execz .LBB6_1613
; %bb.1603:                             ;   in Loop: Header=BB6_955 Depth=2
	s_trap 2
	ds_load_b64 v[10:11], v0
	ds_load_b32 v113, v0
	v_add_nc_u32_e32 v12, v8, v14
	s_mov_b32 s14, 0
	s_wait_dscnt 0x0
	s_delay_alu instid0(VALU_DEP_1) | instskip(NEXT) | instid1(VALU_DEP_1)
	v_dual_lshlrev_b32 v14, 16, v113 :: v_dual_ashrrev_i32 v13, 31, v12
	v_add_nc_u64_e32 v[8:9], v[12:13], v[118:119]
	v_add_nc_u64_e32 v[10:11], v[10:11], v[12:13]
	;; [unrolled: 1-line block ×3, first 2 shown]
	s_branch .LBB6_1605
.LBB6_1604:                             ;   in Loop: Header=BB6_1605 Depth=3
	s_or_b32 exec_lo, exec_lo, s15
	v_sub_nc_u32_e32 v15, v15, v64
	flat_store_d16_hi_b16 v[12:13], v113 th:TH_STORE_NT
	v_add_nc_u64_e32 v[8:9], v[8:9], v[64:65]
	v_add_nc_u64_e32 v[10:11], v[10:11], v[64:65]
	s_wait_xcnt 0x0
	v_add_nc_u64_e32 v[12:13], v[12:13], v[64:65]
	v_cmp_gt_i32_e32 vcc_lo, 2, v15
	s_or_b32 s14, vcc_lo, s14
	s_delay_alu instid0(SALU_CYCLE_1)
	s_and_not1_b32 exec_lo, exec_lo, s14
	s_cbranch_execz .LBB6_1613
.LBB6_1605:                             ;   Parent Loop BB6_47 Depth=1
                                        ;     Parent Loop BB6_955 Depth=2
                                        ; =>    This Inner Loop Header: Depth=3
	flat_load_u16 v113, v[8:9] th:TH_LOAD_NT
	s_wait_loadcnt_dscnt 0x0
	v_lshlrev_b32_e32 v113, 16, v113
	s_delay_alu instid0(VALU_DEP_1) | instskip(NEXT) | instid1(VALU_DEP_1)
	v_mul_f32_e32 v113, v14, v113
	v_and_b32_e32 v115, 0x7f800000, v113
	s_delay_alu instid0(VALU_DEP_1) | instskip(SKIP_2) | instid1(SALU_CYCLE_1)
	v_cmp_ne_u32_e32 vcc_lo, 0x7f800000, v115
                                        ; implicit-def: $vgpr115
	s_wait_xcnt 0x0
	s_and_saveexec_b32 s15, vcc_lo
	s_xor_b32 s15, exec_lo, s15
; %bb.1606:                             ;   in Loop: Header=BB6_1605 Depth=3
	v_bfe_u32 v115, v113, 16, 1
	s_delay_alu instid0(VALU_DEP_1)
	v_add3_u32 v115, v113, v115, 0x7fff
                                        ; implicit-def: $vgpr113
; %bb.1607:                             ;   in Loop: Header=BB6_1605 Depth=3
	s_and_not1_saveexec_b32 s15, s15
; %bb.1608:                             ;   in Loop: Header=BB6_1605 Depth=3
	v_and_b32_e32 v115, 0xffff, v113
	v_or_b32_e32 v118, 0x10000, v113
	s_delay_alu instid0(VALU_DEP_2) | instskip(NEXT) | instid1(VALU_DEP_2)
	v_cmp_eq_u32_e32 vcc_lo, 0, v115
	v_cndmask_b32_e32 v115, v118, v113, vcc_lo
; %bb.1609:                             ;   in Loop: Header=BB6_1605 Depth=3
	s_or_b32 exec_lo, exec_lo, s15
	flat_load_u16 v113, v[10:11] th:TH_LOAD_NT
	v_and_b32_e32 v115, 0xffff0000, v115
	s_wait_loadcnt_dscnt 0x0
	v_lshlrev_b32_e32 v113, 16, v113
	s_delay_alu instid0(VALU_DEP_1) | instskip(NEXT) | instid1(VALU_DEP_1)
	v_add_f32_e32 v115, v115, v113
	v_and_b32_e32 v113, 0x7f800000, v115
	s_delay_alu instid0(VALU_DEP_1) | instskip(SKIP_2) | instid1(SALU_CYCLE_1)
	v_cmp_ne_u32_e32 vcc_lo, 0x7f800000, v113
                                        ; implicit-def: $vgpr113
	s_wait_xcnt 0x0
	s_and_saveexec_b32 s15, vcc_lo
	s_xor_b32 s15, exec_lo, s15
; %bb.1610:                             ;   in Loop: Header=BB6_1605 Depth=3
	v_bfe_u32 v113, v115, 16, 1
	s_delay_alu instid0(VALU_DEP_1)
	v_add3_u32 v113, v115, v113, 0x7fff
                                        ; implicit-def: $vgpr115
; %bb.1611:                             ;   in Loop: Header=BB6_1605 Depth=3
	s_and_not1_saveexec_b32 s15, s15
	s_cbranch_execz .LBB6_1604
; %bb.1612:                             ;   in Loop: Header=BB6_1605 Depth=3
	v_and_b32_e32 v113, 0xffff, v115
	v_or_b32_e32 v118, 0x10000, v115
	s_delay_alu instid0(VALU_DEP_2) | instskip(NEXT) | instid1(VALU_DEP_2)
	v_cmp_eq_u32_e32 vcc_lo, 0, v113
	v_cndmask_b32_e32 v113, v118, v115, vcc_lo
	s_branch .LBB6_1604
.LBB6_1613:                             ;   in Loop: Header=BB6_955 Depth=2
	s_or_b32 exec_lo, exec_lo, s13
.LBB6_1614:                             ;   in Loop: Header=BB6_955 Depth=2
	v_cmp_lt_i32_e64 s13, 0, v2
	s_and_saveexec_b32 s14, s2
	s_cbranch_execz .LBB6_1031
.LBB6_1615:                             ;   in Loop: Header=BB6_955 Depth=2
	s_and_saveexec_b32 s15, s3
	s_delay_alu instid0(SALU_CYCLE_1)
	s_xor_b32 s15, exec_lo, s15
	s_cbranch_execz .LBB6_1630
; %bb.1616:                             ;   in Loop: Header=BB6_955 Depth=2
	s_and_saveexec_b32 s40, s6
	s_cbranch_execz .LBB6_1629
; %bb.1617:                             ;   in Loop: Header=BB6_955 Depth=2
	s_mov_b32 s62, exec_lo
	s_mov_b32 s41, exec_lo
	v_mbcnt_lo_u32_b32 v2, s62, 0
	global_wb scope:SCOPE_DEV
	s_wait_storecnt 0x0
	s_wait_loadcnt_dscnt 0x0
	global_inv scope:SCOPE_DEV
	v_cmpx_eq_u32_e32 0, v2
	s_cbranch_execz .LBB6_1619
; %bb.1618:                             ;   in Loop: Header=BB6_955 Depth=2
	s_bcnt1_i32_b32 s62, s62
	s_delay_alu instid0(SALU_CYCLE_1)
	v_mov_b32_e32 v2, s62
	s_wait_loadcnt 0x0
	ds_add_u64 v0, v[2:3]
	s_trap 2
.LBB6_1619:                             ;   in Loop: Header=BB6_955 Depth=2
	s_or_b32 exec_lo, exec_lo, s41
	s_trap 2
	ds_load_b64 v[8:9], v0
	s_wait_dscnt 0x0
	v_add_nc_u64_e32 v[32:33], v[32:33], v[36:37]
	s_mov_b32 s41, exec_lo
	s_delay_alu instid0(VALU_DEP_1)
	v_cmpx_lt_u64_e64 v[8:9], v[32:33]
	s_cbranch_execz .LBB6_1628
; %bb.1620:                             ;   in Loop: Header=BB6_955 Depth=2
	s_mov_b32 s62, 0
	s_mov_b32 s73, 0
                                        ; implicit-def: $sgpr63
                                        ; implicit-def: $sgpr72
	s_branch .LBB6_1622
.LBB6_1621:                             ;   in Loop: Header=BB6_1622 Depth=3
	s_or_b32 exec_lo, exec_lo, s75
	s_delay_alu instid0(SALU_CYCLE_1) | instskip(NEXT) | instid1(SALU_CYCLE_1)
	s_and_b32 s74, exec_lo, s76
	s_or_b32 s62, s74, s62
	s_and_not1_b32 s63, s63, exec_lo
	s_and_b32 s74, s72, exec_lo
	s_delay_alu instid0(SALU_CYCLE_1)
	s_or_b32 s63, s63, s74
	s_and_not1_b32 exec_lo, exec_lo, s62
	s_cbranch_execz .LBB6_1626
.LBB6_1622:                             ;   Parent Loop BB6_47 Depth=1
                                        ;     Parent Loop BB6_955 Depth=2
                                        ; =>    This Inner Loop Header: Depth=3
	s_add_co_i32 s73, s73, 1
	s_delay_alu instid0(SALU_CYCLE_1) | instskip(SKIP_1) | instid1(SALU_CYCLE_1)
	s_cmp_lg_u32 s73, 0x2710
	s_cselect_b32 s74, -1, 0
	s_and_b32 vcc_lo, exec_lo, s74
	s_cbranch_vccz .LBB6_1624
; %bb.1623:                             ;   in Loop: Header=BB6_1622 Depth=3
	s_mov_b32 s76, -1
	s_or_b32 s72, s72, exec_lo
	s_and_saveexec_b32 s75, s74
	s_cbranch_execz .LBB6_1621
	s_branch .LBB6_1625
.LBB6_1624:                             ;   in Loop: Header=BB6_1622 Depth=3
	s_trap 2
	ds_load_b64 v[8:9], v0
	s_and_not1_b32 s74, s74, exec_lo
	s_mov_b32 s73, 0
	s_wait_loadcnt_dscnt 0x0
	flat_load_b32 v2, v[8:9] scope:SCOPE_SYS
	s_wait_loadcnt_dscnt 0x0
	global_inv scope:SCOPE_SYS
	v_cmp_eq_u32_e32 vcc_lo, 0, v2
	s_and_b32 s75, vcc_lo, exec_lo
	s_delay_alu instid0(SALU_CYCLE_1)
	s_or_b32 s74, s74, s75
	s_mov_b32 s76, -1
	s_or_b32 s72, s72, exec_lo
	s_and_saveexec_b32 s75, s74
	s_cbranch_execz .LBB6_1621
.LBB6_1625:                             ;   in Loop: Header=BB6_1622 Depth=3
	s_sleep 1
	s_trap 2
	ds_load_b64 v[8:9], v0
	s_wait_dscnt 0x0
	s_and_not1_b32 s72, s72, exec_lo
	v_cmp_ge_u64_e32 vcc_lo, v[8:9], v[32:33]
	s_or_not1_b32 s76, vcc_lo, exec_lo
	s_branch .LBB6_1621
.LBB6_1626:                             ;   in Loop: Header=BB6_955 Depth=2
	s_or_b32 exec_lo, exec_lo, s62
	s_and_saveexec_b32 s62, s63
	s_delay_alu instid0(SALU_CYCLE_1)
	s_xor_b32 s62, exec_lo, s62
	s_cbranch_execz .LBB6_1628
; %bb.1627:                             ;   in Loop: Header=BB6_955 Depth=2
	ds_store_b32 v0, v63
	s_trap 2
.LBB6_1628:                             ;   in Loop: Header=BB6_955 Depth=2
	s_or_b32 exec_lo, exec_lo, s41
	;;#ASMSTART
	s_wakeup
	;;#ASMEND
.LBB6_1629:                             ;   in Loop: Header=BB6_955 Depth=2
	s_or_b32 exec_lo, exec_lo, s40
.LBB6_1630:                             ;   in Loop: Header=BB6_955 Depth=2
	s_and_not1_saveexec_b32 s15, s15
	s_cbranch_execz .LBB6_1632
; %bb.1631:                             ;   in Loop: Header=BB6_955 Depth=2
	global_wb scope:SCOPE_DEV
	s_wait_storecnt 0x0
	s_wait_loadcnt_dscnt 0x0
	global_inv scope:SCOPE_DEV
	s_barrier_signal -1
	s_barrier_wait -1
.LBB6_1632:                             ;   in Loop: Header=BB6_955 Depth=2
	s_or_b32 exec_lo, exec_lo, s15
	s_delay_alu instid0(SALU_CYCLE_1) | instskip(SKIP_1) | instid1(SALU_CYCLE_1)
	s_or_b32 exec_lo, exec_lo, s14
                                        ; implicit-def: $vgpr2
	s_and_saveexec_b32 s14, s12
	s_xor_b32 s14, exec_lo, s14
	s_cbranch_execnz .LBB6_1032
.LBB6_1633:                             ;   in Loop: Header=BB6_955 Depth=2
	s_and_not1_saveexec_b32 s13, s14
	s_cbranch_execz .LBB6_1652
.LBB6_1634:                             ;   in Loop: Header=BB6_955 Depth=2
	s_and_saveexec_b32 s14, s3
	s_delay_alu instid0(SALU_CYCLE_1)
	s_xor_b32 s14, exec_lo, s14
	s_cbranch_execz .LBB6_1649
; %bb.1635:                             ;   in Loop: Header=BB6_955 Depth=2
	s_and_saveexec_b32 s15, s6
	s_cbranch_execz .LBB6_1648
; %bb.1636:                             ;   in Loop: Header=BB6_955 Depth=2
	s_mov_b32 s41, exec_lo
	s_mov_b32 s40, exec_lo
	v_mbcnt_lo_u32_b32 v2, s41, 0
	;;#ASMSTART
	s_waitcnt lgkmcnt(0) vmcnt(0)
	;;#ASMEND
	s_delay_alu instid0(VALU_DEP_1)
	v_cmpx_eq_u32_e32 0, v2
	s_cbranch_execz .LBB6_1638
; %bb.1637:                             ;   in Loop: Header=BB6_955 Depth=2
	s_bcnt1_i32_b32 s41, s41
	s_delay_alu instid0(SALU_CYCLE_1)
	v_mov_b32_e32 v2, s41
	s_wait_storecnt 0x0
	s_wait_loadcnt_dscnt 0x0
	ds_add_u64 v0, v[2:3]
	s_trap 2
.LBB6_1638:                             ;   in Loop: Header=BB6_955 Depth=2
	s_or_b32 exec_lo, exec_lo, s40
	s_trap 2
	ds_load_b64 v[8:9], v0
	s_wait_dscnt 0x0
	v_add_nc_u64_e32 v[32:33], v[32:33], v[36:37]
	s_mov_b32 s40, exec_lo
	s_delay_alu instid0(VALU_DEP_1)
	v_cmpx_lt_u64_e64 v[8:9], v[32:33]
	s_cbranch_execz .LBB6_1647
; %bb.1639:                             ;   in Loop: Header=BB6_955 Depth=2
	s_mov_b32 s41, 0
	s_mov_b32 s72, 0
                                        ; implicit-def: $sgpr62
                                        ; implicit-def: $sgpr63
	s_branch .LBB6_1641
.LBB6_1640:                             ;   in Loop: Header=BB6_1641 Depth=3
	s_or_b32 exec_lo, exec_lo, s74
	s_delay_alu instid0(SALU_CYCLE_1) | instskip(NEXT) | instid1(SALU_CYCLE_1)
	s_and_b32 s73, exec_lo, s75
	s_or_b32 s41, s73, s41
	s_and_not1_b32 s62, s62, exec_lo
	s_and_b32 s73, s63, exec_lo
	s_delay_alu instid0(SALU_CYCLE_1)
	s_or_b32 s62, s62, s73
	s_and_not1_b32 exec_lo, exec_lo, s41
	s_cbranch_execz .LBB6_1645
.LBB6_1641:                             ;   Parent Loop BB6_47 Depth=1
                                        ;     Parent Loop BB6_955 Depth=2
                                        ; =>    This Inner Loop Header: Depth=3
	s_add_co_i32 s72, s72, 1
	s_delay_alu instid0(SALU_CYCLE_1) | instskip(SKIP_1) | instid1(SALU_CYCLE_1)
	s_cmp_lg_u32 s72, 0x2710
	s_cselect_b32 s73, -1, 0
	s_and_b32 vcc_lo, exec_lo, s73
	s_cbranch_vccz .LBB6_1643
; %bb.1642:                             ;   in Loop: Header=BB6_1641 Depth=3
	s_mov_b32 s75, -1
	s_or_b32 s63, s63, exec_lo
	s_and_saveexec_b32 s74, s73
	s_cbranch_execz .LBB6_1640
	s_branch .LBB6_1644
.LBB6_1643:                             ;   in Loop: Header=BB6_1641 Depth=3
	s_trap 2
	ds_load_b64 v[8:9], v0
	s_and_not1_b32 s73, s73, exec_lo
	s_mov_b32 s72, 0
	s_wait_storecnt 0x0
	s_wait_loadcnt_dscnt 0x0
	flat_load_b32 v2, v[8:9] scope:SCOPE_SYS
	s_wait_loadcnt_dscnt 0x0
	global_inv scope:SCOPE_SYS
	v_cmp_eq_u32_e32 vcc_lo, 0, v2
	s_and_b32 s74, vcc_lo, exec_lo
	s_delay_alu instid0(SALU_CYCLE_1)
	s_or_b32 s73, s73, s74
	s_mov_b32 s75, -1
	s_or_b32 s63, s63, exec_lo
	s_and_saveexec_b32 s74, s73
	s_cbranch_execz .LBB6_1640
.LBB6_1644:                             ;   in Loop: Header=BB6_1641 Depth=3
	s_sleep 1
	s_trap 2
	ds_load_b64 v[8:9], v0
	s_wait_dscnt 0x0
	s_and_not1_b32 s63, s63, exec_lo
	v_cmp_ge_u64_e32 vcc_lo, v[8:9], v[32:33]
	s_or_not1_b32 s75, vcc_lo, exec_lo
	s_branch .LBB6_1640
.LBB6_1645:                             ;   in Loop: Header=BB6_955 Depth=2
	s_or_b32 exec_lo, exec_lo, s41
	s_and_saveexec_b32 s41, s62
	s_delay_alu instid0(SALU_CYCLE_1)
	s_xor_b32 s41, exec_lo, s41
	s_cbranch_execz .LBB6_1647
; %bb.1646:                             ;   in Loop: Header=BB6_955 Depth=2
	ds_store_b32 v0, v63
	s_trap 2
.LBB6_1647:                             ;   in Loop: Header=BB6_955 Depth=2
	s_or_b32 exec_lo, exec_lo, s40
	;;#ASMSTART
	s_wakeup
	;;#ASMEND
.LBB6_1648:                             ;   in Loop: Header=BB6_955 Depth=2
	s_or_b32 exec_lo, exec_lo, s15
.LBB6_1649:                             ;   in Loop: Header=BB6_955 Depth=2
	s_and_not1_saveexec_b32 s14, s14
	s_cbranch_execz .LBB6_1651
; %bb.1650:                             ;   in Loop: Header=BB6_955 Depth=2
	;;#ASMSTART
	s_waitcnt lgkmcnt(0) vmcnt(0)
	;;#ASMEND
	s_barrier_signal -1
	s_barrier_wait -1
.LBB6_1651:                             ;   in Loop: Header=BB6_955 Depth=2
	s_or_b32 exec_lo, exec_lo, s14
	v_and_b32_e32 v2, 16, v30
.LBB6_1652:                             ;   in Loop: Header=BB6_955 Depth=2
	s_or_b32 exec_lo, exec_lo, s13
	s_delay_alu instid0(VALU_DEP_1) | instskip(SKIP_1) | instid1(SALU_CYCLE_1)
	v_cmp_ne_u32_e32 vcc_lo, 0, v2
	s_xor_b32 s13, s4, -1
	s_and_b32 s14, vcc_lo, s13
	s_delay_alu instid0(SALU_CYCLE_1)
	s_and_saveexec_b32 s13, s14
	s_cbranch_execz .LBB6_1654
; %bb.1653:                             ;   in Loop: Header=BB6_955 Depth=2
	global_wb scope:SCOPE_SYS
	s_wait_storecnt 0x0
	s_wait_loadcnt_dscnt 0x0
	flat_store_b32 v[28:29], v63 scope:SCOPE_SYS
.LBB6_1654:                             ;   in Loop: Header=BB6_955 Depth=2
	s_wait_xcnt 0x0
	s_or_b32 exec_lo, exec_lo, s13
	v_and_b32_e32 v2, 48, v30
	s_mov_b32 s13, exec_lo
	s_delay_alu instid0(VALU_DEP_1)
	v_cmpx_ne_u32_e32 0, v2
	s_cbranch_execz .LBB6_954
; %bb.1655:                             ;   in Loop: Header=BB6_955 Depth=2
	v_add_nc_u64_e32 v[98:99], 2, v[98:99]
	global_wb scope:SCOPE_SYS
	s_wait_storecnt 0x0
	s_wait_loadcnt_dscnt 0x0
	flat_store_b64 v[22:23], v[98:99] scope:SCOPE_SYS
	s_branch .LBB6_954
.LBB6_1656:                             ;   in Loop: Header=BB6_47 Depth=1
	s_or_b32 exec_lo, exec_lo, s27
.LBB6_1657:                             ;   in Loop: Header=BB6_47 Depth=1
	s_delay_alu instid0(SALU_CYCLE_1) | instskip(NEXT) | instid1(SALU_CYCLE_1)
	s_or_b32 exec_lo, exec_lo, s18
	s_mov_b32 s14, exec_lo
	v_cmpx_gt_i32_e32 2, v2
	s_cbranch_execz .LBB6_1733
; %bb.1658:                             ;   in Loop: Header=BB6_47 Depth=1
	v_cmp_eq_u32_e64 s18, 0, v2
	s_mov_b32 s15, 0
	s_branch .LBB6_1660
.LBB6_1659:                             ;   in Loop: Header=BB6_1660 Depth=2
	s_wait_xcnt 0x0
	s_or_b32 exec_lo, exec_lo, s13
	v_add_nc_u32_e32 v114, v112, v114
	s_mov_b32 s18, 0
	s_and_not1_b32 exec_lo, exec_lo, s15
	s_cbranch_execz .LBB6_1732
.LBB6_1660:                             ;   Parent Loop BB6_47 Depth=1
                                        ; =>  This Loop Header: Depth=2
                                        ;       Child Loop BB6_1666 Depth 3
                                        ;       Child Loop BB6_1694 Depth 3
	;; [unrolled: 1-line block ×3, first 2 shown]
	s_delay_alu instid0(VALU_DEP_1) | instskip(SKIP_2) | instid1(VALU_DEP_2)
	v_sub_nc_u32_e32 v2, v74, v114
	v_and_b32_e32 v8, 12, v30
	s_mov_b32 s27, exec_lo
	v_min_i32_e32 v112, v112, v2
	s_delay_alu instid0(VALU_DEP_2)
	v_cmpx_ne_u32_e32 0, v8
	s_cbranch_execz .LBB6_1686
; %bb.1661:                             ;   in Loop: Header=BB6_1660 Depth=2
	v_and_b32_e32 v2, 8, v30
	v_add_nc_u64_e32 v[8:9], 2, v[98:99]
	s_mov_b32 s40, exec_lo
	s_wait_loadcnt_dscnt 0x1
	s_delay_alu instid0(VALU_DEP_2) | instskip(NEXT) | instid1(VALU_DEP_1)
	v_add_nc_u64_e32 v[10:11], v[34:35], v[2:3]
	v_cmpx_lt_u64_e64 v[10:11], v[8:9]
	s_cbranch_execz .LBB6_1673
; %bb.1662:                             ;   in Loop: Header=BB6_1660 Depth=2
	v_and_b32_e32 v10, 64, v30
	s_mov_b32 s41, 0
	s_mov_b32 s63, 0
                                        ; implicit-def: $sgpr60
                                        ; implicit-def: $sgpr61
                                        ; implicit-def: $sgpr62
	s_delay_alu instid0(VALU_DEP_1)
	v_cmp_eq_u32_e32 vcc_lo, 0, v10
	s_branch .LBB6_1666
.LBB6_1663:                             ;   in Loop: Header=BB6_1666 Depth=3
	s_wait_loadcnt_dscnt 0x0
	v_add_nc_u64_e32 v[12:13], v[34:35], v[2:3]
	s_or_b32 s74, s74, exec_lo
	s_delay_alu instid0(VALU_DEP_1)
	v_cmp_ge_u64_e64 s13, v[12:13], v[8:9]
	s_or_not1_b32 s73, s13, exec_lo
.LBB6_1664:                             ;   in Loop: Header=BB6_1666 Depth=3
	s_or_b32 exec_lo, exec_lo, s76
	s_delay_alu instid0(SALU_CYCLE_1)
	s_and_not1_b32 s13, s62, exec_lo
	s_and_b32 s62, s74, exec_lo
	s_and_not1_b32 s61, s61, exec_lo
	s_and_b32 s73, s73, exec_lo
	s_or_b32 s62, s13, s62
	s_or_b32 s61, s61, s73
.LBB6_1665:                             ;   in Loop: Header=BB6_1666 Depth=3
	s_or_b32 exec_lo, exec_lo, s72
	s_delay_alu instid0(SALU_CYCLE_1) | instskip(NEXT) | instid1(SALU_CYCLE_1)
	s_and_b32 s13, exec_lo, s61
	s_or_b32 s41, s13, s41
	s_and_not1_b32 s13, s60, exec_lo
	s_and_b32 s60, s62, exec_lo
	s_delay_alu instid0(SALU_CYCLE_1)
	s_or_b32 s60, s13, s60
	s_and_not1_b32 exec_lo, exec_lo, s41
	s_cbranch_execz .LBB6_1670
.LBB6_1666:                             ;   Parent Loop BB6_47 Depth=1
                                        ;     Parent Loop BB6_1660 Depth=2
                                        ; =>    This Inner Loop Header: Depth=3
	s_sleep 1
	s_wait_loadcnt_dscnt 0x0
	flat_load_b64 v[34:35], v[22:23] scope:SCOPE_SYS
	s_or_b32 s62, s62, exec_lo
	s_or_b32 s61, s61, exec_lo
                                        ; implicit-def: $vgpr10
	s_wait_xcnt 0x0
	s_and_saveexec_b32 s72, vcc_lo
	s_cbranch_execz .LBB6_1665
; %bb.1667:                             ;   in Loop: Header=BB6_1666 Depth=3
	s_cmp_lt_i32 s63, 0x270f
	s_mov_b32 s73, -1
	s_cselect_b32 s75, -1, 0
	s_cmp_gt_i32 s63, 0x270e
	s_cbranch_scc0 .LBB6_1669
; %bb.1668:                             ;   in Loop: Header=BB6_1666 Depth=3
	s_trap 2
	ds_load_b64 v[10:11], v0
	s_and_not1_b32 s63, s75, exec_lo
	s_mov_b32 s74, 0
	s_wait_storecnt 0x0
	s_wait_loadcnt_dscnt 0x0
	flat_load_b32 v10, v[10:11] scope:SCOPE_SYS
	s_wait_loadcnt_dscnt 0x0
	global_inv scope:SCOPE_SYS
	v_cmp_eq_u32_e64 s13, 0, v10
	s_and_b32 s13, s13, exec_lo
	s_delay_alu instid0(SALU_CYCLE_1)
	s_or_b32 s75, s63, s13
	s_mov_b32 s63, 0
	s_and_saveexec_b32 s76, s75
	s_cbranch_execz .LBB6_1664
	s_branch .LBB6_1663
.LBB6_1669:                             ;   in Loop: Header=BB6_1666 Depth=3
	s_add_co_i32 s63, s63, 1
	s_mov_b32 s74, -1
                                        ; implicit-def: $vgpr10
	s_and_saveexec_b32 s76, s75
	s_cbranch_execz .LBB6_1664
	s_branch .LBB6_1663
.LBB6_1670:                             ;   in Loop: Header=BB6_1660 Depth=2
	s_or_b32 exec_lo, exec_lo, s41
	s_xor_b32 s13, s60, -1
	s_delay_alu instid0(SALU_CYCLE_1) | instskip(NEXT) | instid1(SALU_CYCLE_1)
	s_and_saveexec_b32 s41, s13
	s_xor_b32 s13, exec_lo, s41
	s_cbranch_execz .LBB6_1672
; %bb.1671:                             ;   in Loop: Header=BB6_1660 Depth=2
	v_or_b32_e32 v30, 64, v30
	s_wait_storecnt 0x0
	s_wait_loadcnt_dscnt 0x0
	ds_store_b32 v0, v10
	s_trap 2
.LBB6_1672:                             ;   in Loop: Header=BB6_1660 Depth=2
	s_or_b32 exec_lo, exec_lo, s13
.LBB6_1673:                             ;   in Loop: Header=BB6_1660 Depth=2
	s_delay_alu instid0(SALU_CYCLE_1) | instskip(SKIP_2) | instid1(VALU_DEP_1)
	s_or_b32 exec_lo, exec_lo, s40
	v_and_b32_e32 v10, 0x108, v30
	;;#ASMSTART
	s_wakeup
	;;#ASMEND
	v_cmp_ne_u32_e32 vcc_lo, 0x108, v10
                                        ; implicit-def: $vgpr10_vgpr11
	s_and_saveexec_b32 s13, vcc_lo
	s_delay_alu instid0(SALU_CYCLE_1)
	s_xor_b32 s13, exec_lo, s13
; %bb.1674:                             ;   in Loop: Header=BB6_1660 Depth=2
	v_dual_mov_b32 v11, v3 :: v_dual_bitop2_b32 v10, 7, v98 bitop3:0x40
                                        ; implicit-def: $vgpr98_vgpr99
; %bb.1675:                             ;   in Loop: Header=BB6_1660 Depth=2
	s_and_not1_saveexec_b32 s13, s13
	s_cbranch_execz .LBB6_1677
; %bb.1676:                             ;   in Loop: Header=BB6_1660 Depth=2
	v_dual_ashrrev_i32 v113, 31, v112 :: v_dual_bitop2_b32 v10, 7, v98 bitop3:0x40
	v_mov_b32_e32 v11, v3
	s_delay_alu instid0(VALU_DEP_2) | instskip(NEXT) | instid1(VALU_DEP_3)
	v_mad_nc_u64_u32 v[12:13], v10, 24, v[6:7]
	v_lshlrev_b64_e32 v[14:15], 1, v[112:113]
	flat_store_b64 v[12:13], v[14:15] offset:8
.LBB6_1677:                             ;   in Loop: Header=BB6_1660 Depth=2
	s_wait_xcnt 0x0
	s_or_b32 exec_lo, exec_lo, s13
	v_and_b32_e32 v12, 0x100, v30
	s_mov_b32 s13, -1
	s_delay_alu instid0(VALU_DEP_1)
	v_cmp_ne_u32_e32 vcc_lo, 0, v12
                                        ; implicit-def: $vgpr12_vgpr13
	s_and_saveexec_b32 s40, vcc_lo
	s_cbranch_execz .LBB6_1681
; %bb.1678:                             ;   in Loop: Header=BB6_1660 Depth=2
	v_mad_nc_u64_u32 v[14:15], v10, 24, v[6:7]
	s_delay_alu instid0(VALU_DEP_1)
	v_mad_u32 v15, v11, 24, v15
	flat_load_b32 v12, v[14:15]
	s_wait_loadcnt_dscnt 0x0
	v_cmp_eq_u32_e64 s13, 1, v12
	v_cmp_ne_u32_e32 vcc_lo, 1, v12
                                        ; implicit-def: $vgpr12_vgpr13
	s_wait_xcnt 0x0
	s_and_saveexec_b32 s41, s13
	s_cbranch_execz .LBB6_1680
; %bb.1679:                             ;   in Loop: Header=BB6_1660 Depth=2
	flat_load_b32 v12, v[14:15] offset:4 scope:SCOPE_SYS
	s_wait_loadcnt_dscnt 0x0
	v_ashrrev_i32_e32 v13, 31, v12
	s_delay_alu instid0(VALU_DEP_1)
	v_lshrrev_b64 v[12:13], 1, v[12:13]
.LBB6_1680:                             ;   in Loop: Header=BB6_1660 Depth=2
	s_wait_xcnt 0x0
	s_or_b32 exec_lo, exec_lo, s41
	s_delay_alu instid0(SALU_CYCLE_1)
	s_or_not1_b32 s13, vcc_lo, exec_lo
.LBB6_1681:                             ;   in Loop: Header=BB6_1660 Depth=2
	s_or_b32 exec_lo, exec_lo, s40
	s_and_saveexec_b32 s40, s13
; %bb.1682:                             ;   in Loop: Header=BB6_1660 Depth=2
	v_mul_u64_e32 v[12:13], v[10:11], v[24:25]
; %bb.1683:                             ;   in Loop: Header=BB6_1660 Depth=2
	s_or_b32 exec_lo, exec_lo, s40
	v_cmp_eq_u32_e32 vcc_lo, 0, v2
	v_and_b32_e32 v14, 0x2000, v30
	s_delay_alu instid0(VALU_DEP_3) | instskip(SKIP_2) | instid1(VALU_DEP_1)
	v_lshl_add_u64 v[10:11], v[12:13], 1, v[26:27]
	s_mov_b32 s13, exec_lo
	v_cndmask_b32_e32 v2, 0xd0, v72, vcc_lo
	v_add_nc_u32_e32 v2, v0, v2
	ds_store_b64 v2, v[10:11] offset:584
	v_cmpx_ne_u32_e32 0, v14
	s_cbranch_execz .LBB6_1685
; %bb.1684:                             ;   in Loop: Header=BB6_1660 Depth=2
	ds_load_b64 v[10:11], v0 offset:872
	s_wait_dscnt 0x0
	v_add_nc_u64_e32 v[10:11], 1, v[10:11]
	ds_store_b64 v0, v[10:11] offset:872
.LBB6_1685:                             ;   in Loop: Header=BB6_1660 Depth=2
	s_or_b32 exec_lo, exec_lo, s13
	v_mov_b64_e32 v[98:99], v[8:9]
.LBB6_1686:                             ;   in Loop: Header=BB6_1660 Depth=2
	s_or_b32 exec_lo, exec_lo, s27
	s_xor_b32 s13, s18, -1
	s_delay_alu instid0(SALU_CYCLE_1) | instskip(NEXT) | instid1(SALU_CYCLE_1)
	s_and_b32 s13, exec_lo, s13
	s_or_b32 s15, s13, s15
	s_and_saveexec_b32 s13, s2
	s_cbranch_execz .LBB6_1705
; %bb.1687:                             ;   in Loop: Header=BB6_1660 Depth=2
	s_and_saveexec_b32 s18, s3
	s_delay_alu instid0(SALU_CYCLE_1)
	s_xor_b32 s18, exec_lo, s18
	s_cbranch_execz .LBB6_1702
; %bb.1688:                             ;   in Loop: Header=BB6_1660 Depth=2
	s_and_saveexec_b32 s27, s6
	s_cbranch_execz .LBB6_1701
; %bb.1689:                             ;   in Loop: Header=BB6_1660 Depth=2
	s_mov_b32 s41, exec_lo
	s_mov_b32 s40, exec_lo
	v_mbcnt_lo_u32_b32 v2, s41, 0
	global_wb scope:SCOPE_DEV
	s_wait_storecnt 0x0
	s_wait_loadcnt_dscnt 0x0
	global_inv scope:SCOPE_DEV
	v_cmpx_eq_u32_e32 0, v2
	s_cbranch_execz .LBB6_1691
; %bb.1690:                             ;   in Loop: Header=BB6_1660 Depth=2
	s_bcnt1_i32_b32 s41, s41
	s_delay_alu instid0(SALU_CYCLE_1)
	v_mov_b32_e32 v2, s41
	s_wait_loadcnt 0x0
	ds_add_u64 v0, v[2:3]
	s_trap 2
.LBB6_1691:                             ;   in Loop: Header=BB6_1660 Depth=2
	s_or_b32 exec_lo, exec_lo, s40
	s_trap 2
	ds_load_b64 v[8:9], v0
	s_wait_dscnt 0x0
	v_add_nc_u64_e32 v[32:33], v[32:33], v[36:37]
	s_mov_b32 s40, exec_lo
	s_delay_alu instid0(VALU_DEP_1)
	v_cmpx_lt_u64_e64 v[8:9], v[32:33]
	s_cbranch_execz .LBB6_1700
; %bb.1692:                             ;   in Loop: Header=BB6_1660 Depth=2
	s_mov_b32 s41, 0
	s_mov_b32 s62, 0
                                        ; implicit-def: $sgpr60
                                        ; implicit-def: $sgpr61
	s_branch .LBB6_1694
.LBB6_1693:                             ;   in Loop: Header=BB6_1694 Depth=3
	s_or_b32 exec_lo, exec_lo, s72
	s_delay_alu instid0(SALU_CYCLE_1) | instskip(NEXT) | instid1(SALU_CYCLE_1)
	s_and_b32 s63, exec_lo, s73
	s_or_b32 s41, s63, s41
	s_and_not1_b32 s60, s60, exec_lo
	s_and_b32 s63, s61, exec_lo
	s_delay_alu instid0(SALU_CYCLE_1)
	s_or_b32 s60, s60, s63
	s_and_not1_b32 exec_lo, exec_lo, s41
	s_cbranch_execz .LBB6_1698
.LBB6_1694:                             ;   Parent Loop BB6_47 Depth=1
                                        ;     Parent Loop BB6_1660 Depth=2
                                        ; =>    This Inner Loop Header: Depth=3
	s_add_co_i32 s62, s62, 1
	s_delay_alu instid0(SALU_CYCLE_1) | instskip(SKIP_1) | instid1(SALU_CYCLE_1)
	s_cmp_lg_u32 s62, 0x2710
	s_cselect_b32 s63, -1, 0
	s_and_b32 vcc_lo, exec_lo, s63
	s_cbranch_vccz .LBB6_1696
; %bb.1695:                             ;   in Loop: Header=BB6_1694 Depth=3
	s_mov_b32 s73, -1
	s_or_b32 s61, s61, exec_lo
	s_and_saveexec_b32 s72, s63
	s_cbranch_execz .LBB6_1693
	s_branch .LBB6_1697
.LBB6_1696:                             ;   in Loop: Header=BB6_1694 Depth=3
	s_trap 2
	ds_load_b64 v[8:9], v0
	s_and_not1_b32 s63, s63, exec_lo
	s_mov_b32 s62, 0
	s_wait_loadcnt_dscnt 0x0
	flat_load_b32 v2, v[8:9] scope:SCOPE_SYS
	s_wait_loadcnt_dscnt 0x0
	global_inv scope:SCOPE_SYS
	v_cmp_eq_u32_e32 vcc_lo, 0, v2
	s_and_b32 s72, vcc_lo, exec_lo
	s_delay_alu instid0(SALU_CYCLE_1)
	s_or_b32 s63, s63, s72
	s_mov_b32 s73, -1
	s_or_b32 s61, s61, exec_lo
	s_and_saveexec_b32 s72, s63
	s_cbranch_execz .LBB6_1693
.LBB6_1697:                             ;   in Loop: Header=BB6_1694 Depth=3
	s_sleep 1
	s_trap 2
	ds_load_b64 v[8:9], v0
	s_wait_dscnt 0x0
	s_and_not1_b32 s61, s61, exec_lo
	v_cmp_ge_u64_e32 vcc_lo, v[8:9], v[32:33]
	s_or_not1_b32 s73, vcc_lo, exec_lo
	s_branch .LBB6_1693
.LBB6_1698:                             ;   in Loop: Header=BB6_1660 Depth=2
	s_or_b32 exec_lo, exec_lo, s41
	s_and_saveexec_b32 s41, s60
	s_delay_alu instid0(SALU_CYCLE_1)
	s_xor_b32 s41, exec_lo, s41
	s_cbranch_execz .LBB6_1700
; %bb.1699:                             ;   in Loop: Header=BB6_1660 Depth=2
	ds_store_b32 v0, v63
	s_trap 2
.LBB6_1700:                             ;   in Loop: Header=BB6_1660 Depth=2
	s_or_b32 exec_lo, exec_lo, s40
	;;#ASMSTART
	s_wakeup
	;;#ASMEND
.LBB6_1701:                             ;   in Loop: Header=BB6_1660 Depth=2
	s_or_b32 exec_lo, exec_lo, s27
.LBB6_1702:                             ;   in Loop: Header=BB6_1660 Depth=2
	s_and_not1_saveexec_b32 s18, s18
	s_cbranch_execz .LBB6_1704
; %bb.1703:                             ;   in Loop: Header=BB6_1660 Depth=2
	global_wb scope:SCOPE_DEV
	s_wait_storecnt 0x0
	s_wait_loadcnt_dscnt 0x0
	global_inv scope:SCOPE_DEV
	s_barrier_signal -1
	s_barrier_wait -1
.LBB6_1704:                             ;   in Loop: Header=BB6_1660 Depth=2
	s_or_b32 exec_lo, exec_lo, s18
.LBB6_1705:                             ;   in Loop: Header=BB6_1660 Depth=2
	s_delay_alu instid0(SALU_CYCLE_1) | instskip(SKIP_1) | instid1(SALU_CYCLE_1)
	s_or_b32 exec_lo, exec_lo, s13
                                        ; implicit-def: $vgpr2
	s_and_saveexec_b32 s13, s12
	s_xor_b32 s18, exec_lo, s13
	s_cbranch_execz .LBB6_1709
; %bb.1706:                             ;   in Loop: Header=BB6_1660 Depth=2
	s_trap 2
	ds_load_b32 v2, v0
	v_cmp_lt_i32_e32 vcc_lo, 0, v112
	s_wait_dscnt 0x0
	v_readfirstlane_b32 s13, v2
	v_and_b32_e32 v2, 16, v30
	s_cmp_eq_u32 s13, 0
	s_delay_alu instid0(VALU_DEP_1) | instskip(SKIP_3) | instid1(SALU_CYCLE_1)
	v_cmp_ne_u32_e64 s13, 0, v2
	s_cselect_b32 s27, -1, 0
	v_and_b32_e32 v2, 16, v30
	s_and_b32 s27, vcc_lo, s27
	s_and_b32 s27, s13, s27
	s_delay_alu instid0(SALU_CYCLE_1)
	s_and_saveexec_b32 s13, s27
	s_cbranch_execz .LBB6_1708
; %bb.1707:                             ;   in Loop: Header=BB6_1660 Depth=2
	v_mov_b32_e32 v2, 1
	global_wb scope:SCOPE_SYS
	s_wait_loadcnt 0x0
	s_wait_storecnt 0x0
	global_inv scope:SCOPE_SYS
.LBB6_1708:                             ;   in Loop: Header=BB6_1660 Depth=2
	s_or_b32 exec_lo, exec_lo, s13
	s_and_not1_saveexec_b32 s13, s18
	s_cbranch_execz .LBB6_1728
	s_branch .LBB6_1710
.LBB6_1709:                             ;   in Loop: Header=BB6_1660 Depth=2
	s_and_not1_saveexec_b32 s13, s18
	s_cbranch_execz .LBB6_1728
.LBB6_1710:                             ;   in Loop: Header=BB6_1660 Depth=2
	s_and_saveexec_b32 s18, s3
	s_delay_alu instid0(SALU_CYCLE_1)
	s_xor_b32 s18, exec_lo, s18
	s_cbranch_execz .LBB6_1725
; %bb.1711:                             ;   in Loop: Header=BB6_1660 Depth=2
	s_and_saveexec_b32 s27, s6
	s_cbranch_execz .LBB6_1724
; %bb.1712:                             ;   in Loop: Header=BB6_1660 Depth=2
	s_mov_b32 s41, exec_lo
	s_mov_b32 s40, exec_lo
	v_mbcnt_lo_u32_b32 v2, s41, 0
	;;#ASMSTART
	s_waitcnt lgkmcnt(0) vmcnt(0)
	;;#ASMEND
	s_delay_alu instid0(VALU_DEP_1)
	v_cmpx_eq_u32_e32 0, v2
	s_cbranch_execz .LBB6_1714
; %bb.1713:                             ;   in Loop: Header=BB6_1660 Depth=2
	s_bcnt1_i32_b32 s41, s41
	s_delay_alu instid0(SALU_CYCLE_1)
	v_mov_b32_e32 v2, s41
	s_wait_storecnt 0x0
	s_wait_loadcnt_dscnt 0x0
	ds_add_u64 v0, v[2:3]
	s_trap 2
.LBB6_1714:                             ;   in Loop: Header=BB6_1660 Depth=2
	s_or_b32 exec_lo, exec_lo, s40
	s_trap 2
	ds_load_b64 v[8:9], v0
	s_wait_dscnt 0x0
	v_add_nc_u64_e32 v[32:33], v[32:33], v[36:37]
	s_mov_b32 s40, exec_lo
	s_delay_alu instid0(VALU_DEP_1)
	v_cmpx_lt_u64_e64 v[8:9], v[32:33]
	s_cbranch_execz .LBB6_1723
; %bb.1715:                             ;   in Loop: Header=BB6_1660 Depth=2
	s_mov_b32 s41, 0
	s_mov_b32 s62, 0
                                        ; implicit-def: $sgpr60
                                        ; implicit-def: $sgpr61
	s_branch .LBB6_1717
.LBB6_1716:                             ;   in Loop: Header=BB6_1717 Depth=3
	s_or_b32 exec_lo, exec_lo, s72
	s_delay_alu instid0(SALU_CYCLE_1) | instskip(NEXT) | instid1(SALU_CYCLE_1)
	s_and_b32 s63, exec_lo, s73
	s_or_b32 s41, s63, s41
	s_and_not1_b32 s60, s60, exec_lo
	s_and_b32 s63, s61, exec_lo
	s_delay_alu instid0(SALU_CYCLE_1)
	s_or_b32 s60, s60, s63
	s_and_not1_b32 exec_lo, exec_lo, s41
	s_cbranch_execz .LBB6_1721
.LBB6_1717:                             ;   Parent Loop BB6_47 Depth=1
                                        ;     Parent Loop BB6_1660 Depth=2
                                        ; =>    This Inner Loop Header: Depth=3
	s_add_co_i32 s62, s62, 1
	s_delay_alu instid0(SALU_CYCLE_1) | instskip(SKIP_1) | instid1(SALU_CYCLE_1)
	s_cmp_lg_u32 s62, 0x2710
	s_cselect_b32 s63, -1, 0
	s_and_b32 vcc_lo, exec_lo, s63
	s_cbranch_vccz .LBB6_1719
; %bb.1718:                             ;   in Loop: Header=BB6_1717 Depth=3
	s_mov_b32 s73, -1
	s_or_b32 s61, s61, exec_lo
	s_and_saveexec_b32 s72, s63
	s_cbranch_execz .LBB6_1716
	s_branch .LBB6_1720
.LBB6_1719:                             ;   in Loop: Header=BB6_1717 Depth=3
	s_trap 2
	ds_load_b64 v[8:9], v0
	s_and_not1_b32 s63, s63, exec_lo
	s_mov_b32 s62, 0
	s_wait_storecnt 0x0
	s_wait_loadcnt_dscnt 0x0
	flat_load_b32 v2, v[8:9] scope:SCOPE_SYS
	s_wait_loadcnt_dscnt 0x0
	global_inv scope:SCOPE_SYS
	v_cmp_eq_u32_e32 vcc_lo, 0, v2
	s_and_b32 s72, vcc_lo, exec_lo
	s_delay_alu instid0(SALU_CYCLE_1)
	s_or_b32 s63, s63, s72
	s_mov_b32 s73, -1
	s_or_b32 s61, s61, exec_lo
	s_and_saveexec_b32 s72, s63
	s_cbranch_execz .LBB6_1716
.LBB6_1720:                             ;   in Loop: Header=BB6_1717 Depth=3
	s_sleep 1
	s_trap 2
	ds_load_b64 v[8:9], v0
	s_wait_dscnt 0x0
	s_and_not1_b32 s61, s61, exec_lo
	v_cmp_ge_u64_e32 vcc_lo, v[8:9], v[32:33]
	s_or_not1_b32 s73, vcc_lo, exec_lo
	s_branch .LBB6_1716
.LBB6_1721:                             ;   in Loop: Header=BB6_1660 Depth=2
	s_or_b32 exec_lo, exec_lo, s41
	s_and_saveexec_b32 s41, s60
	s_delay_alu instid0(SALU_CYCLE_1)
	s_xor_b32 s41, exec_lo, s41
	s_cbranch_execz .LBB6_1723
; %bb.1722:                             ;   in Loop: Header=BB6_1660 Depth=2
	ds_store_b32 v0, v63
	s_trap 2
.LBB6_1723:                             ;   in Loop: Header=BB6_1660 Depth=2
	s_or_b32 exec_lo, exec_lo, s40
	;;#ASMSTART
	s_wakeup
	;;#ASMEND
.LBB6_1724:                             ;   in Loop: Header=BB6_1660 Depth=2
	s_or_b32 exec_lo, exec_lo, s27
.LBB6_1725:                             ;   in Loop: Header=BB6_1660 Depth=2
	s_and_not1_saveexec_b32 s18, s18
	s_cbranch_execz .LBB6_1727
; %bb.1726:                             ;   in Loop: Header=BB6_1660 Depth=2
	;;#ASMSTART
	s_waitcnt lgkmcnt(0) vmcnt(0)
	;;#ASMEND
	s_barrier_signal -1
	s_barrier_wait -1
.LBB6_1727:                             ;   in Loop: Header=BB6_1660 Depth=2
	s_or_b32 exec_lo, exec_lo, s18
	v_and_b32_e32 v2, 16, v30
.LBB6_1728:                             ;   in Loop: Header=BB6_1660 Depth=2
	s_or_b32 exec_lo, exec_lo, s13
	s_delay_alu instid0(VALU_DEP_1) | instskip(SKIP_1) | instid1(SALU_CYCLE_1)
	v_cmp_ne_u32_e32 vcc_lo, 0, v2
	s_xor_b32 s13, s4, -1
	s_and_b32 s18, vcc_lo, s13
	s_delay_alu instid0(SALU_CYCLE_1)
	s_and_saveexec_b32 s13, s18
	s_cbranch_execz .LBB6_1730
; %bb.1729:                             ;   in Loop: Header=BB6_1660 Depth=2
	global_wb scope:SCOPE_SYS
	s_wait_storecnt 0x0
	s_wait_loadcnt_dscnt 0x0
	flat_store_b32 v[28:29], v63 scope:SCOPE_SYS
.LBB6_1730:                             ;   in Loop: Header=BB6_1660 Depth=2
	s_wait_xcnt 0x0
	s_or_b32 exec_lo, exec_lo, s13
	v_and_b32_e32 v2, 48, v30
	s_mov_b32 s13, exec_lo
	s_delay_alu instid0(VALU_DEP_1)
	v_cmpx_ne_u32_e32 0, v2
	s_cbranch_execz .LBB6_1659
; %bb.1731:                             ;   in Loop: Header=BB6_1660 Depth=2
	v_add_nc_u64_e32 v[98:99], 2, v[98:99]
	global_wb scope:SCOPE_SYS
	s_wait_storecnt 0x0
	s_wait_loadcnt_dscnt 0x0
	flat_store_b64 v[22:23], v[98:99] scope:SCOPE_SYS
	s_branch .LBB6_1659
.LBB6_1732:                             ;   in Loop: Header=BB6_47 Depth=1
	s_or_b32 exec_lo, exec_lo, s15
.LBB6_1733:                             ;   in Loop: Header=BB6_47 Depth=1
	s_delay_alu instid0(SALU_CYCLE_1) | instskip(NEXT) | instid1(SALU_CYCLE_1)
	s_or_b32 exec_lo, exec_lo, s14
	s_and_not1_b32 vcc_lo, exec_lo, s46
	s_cbranch_vccnz .LBB6_1990
; %bb.1734:                             ;   in Loop: Header=BB6_47 Depth=1
	s_mov_b32 s18, 1
.LBB6_1735:                             ;   Parent Loop BB6_47 Depth=1
                                        ; =>  This Loop Header: Depth=2
                                        ;       Child Loop BB6_1738 Depth 3
                                        ;         Child Loop BB6_1746 Depth 4
                                        ;         Child Loop BB6_1774 Depth 4
	;; [unrolled: 1-line block ×5, first 2 shown]
                                        ;           Child Loop BB6_1826 Depth 5
                                        ;         Child Loop BB6_1833 Depth 4
                                        ;         Child Loop BB6_1838 Depth 4
                                        ;           Child Loop BB6_1839 Depth 5
                                        ;         Child Loop BB6_1851 Depth 4
                                        ;         Child Loop BB6_1856 Depth 4
                                        ;         Child Loop BB6_1862 Depth 4
                                        ;         Child Loop BB6_1867 Depth 4
                                        ;         Child Loop BB6_1877 Depth 4
                                        ;         Child Loop BB6_1896 Depth 4
                                        ;       Child Loop BB6_1915 Depth 3
                                        ;         Child Loop BB6_1921 Depth 4
                                        ;         Child Loop BB6_1949 Depth 4
	;; [unrolled: 1-line block ×3, first 2 shown]
	s_delay_alu instid0(SALU_CYCLE_1) | instskip(SKIP_4) | instid1(SALU_CYCLE_1)
	s_sub_co_i32 s13, s44, s18
	s_mov_b32 s60, 0
	s_cmp_ge_i32 s13, s16
	v_mov_b32_e32 v14, 0
	s_cselect_b32 s14, s16, 0
	s_sub_co_i32 s14, s13, s14
	s_delay_alu instid0(SALU_CYCLE_1) | instskip(NEXT) | instid1(SALU_CYCLE_1)
	s_ashr_i32 s15, s14, 31
	v_mul_u64_e32 v[8:9], s[14:15], v[96:97]
	s_delay_alu instid0(VALU_DEP_1) | instskip(NEXT) | instid1(VALU_DEP_1)
	v_sub_nc_u64_e32 v[10:11], v[100:101], v[8:9]
	v_min_i64 v[10:11], v[96:97], v[10:11]
	s_delay_alu instid0(VALU_DEP_1) | instskip(SKIP_1) | instid1(VALU_DEP_2)
	v_max_i32_e32 v46, 0, v10
	v_cmp_lt_i32_e32 vcc_lo, 0, v10
	v_add_nc_u32_e32 v2, 31, v46
	s_and_b32 s13, s57, vcc_lo
	s_delay_alu instid0(VALU_DEP_1) | instskip(NEXT) | instid1(VALU_DEP_1)
	v_lshrrev_b32_e32 v2, 1, v2
	v_and_b32_e32 v11, 0x3ffffff0, v2
	s_delay_alu instid0(VALU_DEP_1)
	v_dual_mov_b32 v2, 0 :: v_dual_max_i32 v12, s45, v11
	s_and_saveexec_b32 s27, s13
	s_cbranch_execz .LBB6_1912
; %bb.1736:                             ;   in Loop: Header=BB6_1735 Depth=2
	v_add_nc_u64_e32 v[8:9], v[8:9], v[102:103]
	v_mov_b32_e32 v14, 0
	s_mov_b32 s62, 1
	s_mov_b32 s61, -1
	s_delay_alu instid0(VALU_DEP_2)
	v_lshlrev_b64_e32 v[112:113], 1, v[8:9]
	s_branch .LBB6_1738
.LBB6_1737:                             ;   in Loop: Header=BB6_1738 Depth=3
	s_wait_xcnt 0x0
	s_or_b32 exec_lo, exec_lo, s13
	v_dual_add_nc_u32 v14, v12, v14 :: v_dual_mov_b32 v2, s62
	s_xor_b32 s13, s61, -1
	s_mov_b32 s61, 0
	s_mov_b32 s62, 2
	s_delay_alu instid0(VALU_DEP_1) | instskip(SKIP_1) | instid1(SALU_CYCLE_1)
	v_cmp_ge_i32_e32 vcc_lo, v14, v46
	s_or_b32 s13, s13, vcc_lo
	s_and_b32 s13, exec_lo, s13
	s_delay_alu instid0(SALU_CYCLE_1) | instskip(NEXT) | instid1(SALU_CYCLE_1)
	s_or_b32 s60, s13, s60
	s_and_not1_b32 exec_lo, exec_lo, s60
	s_cbranch_execz .LBB6_1911
.LBB6_1738:                             ;   Parent Loop BB6_47 Depth=1
                                        ;     Parent Loop BB6_1735 Depth=2
                                        ; =>    This Loop Header: Depth=3
                                        ;         Child Loop BB6_1746 Depth 4
                                        ;         Child Loop BB6_1774 Depth 4
	;; [unrolled: 1-line block ×5, first 2 shown]
                                        ;           Child Loop BB6_1826 Depth 5
                                        ;         Child Loop BB6_1833 Depth 4
                                        ;         Child Loop BB6_1838 Depth 4
                                        ;           Child Loop BB6_1839 Depth 5
                                        ;         Child Loop BB6_1851 Depth 4
                                        ;         Child Loop BB6_1856 Depth 4
	;; [unrolled: 1-line block ×6, first 2 shown]
	s_and_saveexec_b32 s13, s0
	s_cbranch_execz .LBB6_1740
; %bb.1739:                             ;   in Loop: Header=BB6_1738 Depth=3
	s_trap 2
	ds_load_b128 v[8:11], v0
	s_wait_dscnt 0x0
	v_cmp_ne_u64_e32 vcc_lo, 0, v[10:11]
	v_ashrrev_i32_e32 v15, 31, v14
	v_add_nc_u64_e32 v[116:117], v[10:11], v[112:113]
	v_add_nc_u64_e32 v[8:9], v[8:9], v[112:113]
	s_delay_alu instid0(VALU_DEP_3) | instskip(NEXT) | instid1(VALU_DEP_1)
	v_lshlrev_b64_e32 v[114:115], 1, v[14:15]
	v_add_nc_u64_e32 v[116:117], v[116:117], v[114:115]
	s_delay_alu instid0(VALU_DEP_3) | instskip(NEXT) | instid1(VALU_DEP_2)
	v_add_nc_u64_e32 v[8:9], v[8:9], v[114:115]
	v_dual_cndmask_b32 v11, 0, v117 :: v_dual_cndmask_b32 v10, 0, v116
	ds_store_b64 v0, v[8:9]
	ds_store_b64 v0, v[10:11]
.LBB6_1740:                             ;   in Loop: Header=BB6_1738 Depth=3
	s_or_b32 exec_lo, exec_lo, s13
	v_sub_nc_u32_e32 v2, v46, v14
	v_and_b32_e32 v8, 12, v30
	s_mov_b32 s14, exec_lo
	s_delay_alu instid0(VALU_DEP_2) | instskip(NEXT) | instid1(VALU_DEP_2)
	v_min_i32_e32 v12, v12, v2
	v_cmpx_ne_u32_e32 0, v8
	s_cbranch_execz .LBB6_1766
; %bb.1741:                             ;   in Loop: Header=BB6_1738 Depth=3
	v_and_b32_e32 v2, 8, v30
	v_add_nc_u64_e32 v[8:9], 2, v[98:99]
	s_mov_b32 s15, exec_lo
	s_wait_loadcnt_dscnt 0x1
	s_delay_alu instid0(VALU_DEP_2) | instskip(NEXT) | instid1(VALU_DEP_1)
	v_add_nc_u64_e32 v[10:11], v[34:35], v[2:3]
	v_cmpx_lt_u64_e64 v[10:11], v[8:9]
	s_cbranch_execz .LBB6_1753
; %bb.1742:                             ;   in Loop: Header=BB6_1738 Depth=3
	v_and_b32_e32 v10, 64, v30
	s_mov_b32 s40, 0
	s_mov_b32 s73, 0
                                        ; implicit-def: $sgpr41
                                        ; implicit-def: $sgpr63
                                        ; implicit-def: $sgpr72
	s_delay_alu instid0(VALU_DEP_1)
	v_cmp_eq_u32_e32 vcc_lo, 0, v10
	s_branch .LBB6_1746
.LBB6_1743:                             ;   in Loop: Header=BB6_1746 Depth=4
	s_wait_loadcnt_dscnt 0x0
	v_add_nc_u64_e32 v[114:115], v[34:35], v[2:3]
	s_or_b32 s76, s76, exec_lo
	s_delay_alu instid0(VALU_DEP_1)
	v_cmp_ge_u64_e64 s13, v[114:115], v[8:9]
	s_or_not1_b32 s75, s13, exec_lo
.LBB6_1744:                             ;   in Loop: Header=BB6_1746 Depth=4
	s_or_b32 exec_lo, exec_lo, s78
	s_delay_alu instid0(SALU_CYCLE_1)
	s_and_not1_b32 s13, s72, exec_lo
	s_and_b32 s72, s76, exec_lo
	s_and_not1_b32 s63, s63, exec_lo
	s_and_b32 s75, s75, exec_lo
	s_or_b32 s72, s13, s72
	s_or_b32 s63, s63, s75
.LBB6_1745:                             ;   in Loop: Header=BB6_1746 Depth=4
	s_or_b32 exec_lo, exec_lo, s74
	s_delay_alu instid0(SALU_CYCLE_1) | instskip(NEXT) | instid1(SALU_CYCLE_1)
	s_and_b32 s13, exec_lo, s63
	s_or_b32 s40, s13, s40
	s_and_not1_b32 s13, s41, exec_lo
	s_and_b32 s41, s72, exec_lo
	s_delay_alu instid0(SALU_CYCLE_1)
	s_or_b32 s41, s13, s41
	s_and_not1_b32 exec_lo, exec_lo, s40
	s_cbranch_execz .LBB6_1750
.LBB6_1746:                             ;   Parent Loop BB6_47 Depth=1
                                        ;     Parent Loop BB6_1735 Depth=2
                                        ;       Parent Loop BB6_1738 Depth=3
                                        ; =>      This Inner Loop Header: Depth=4
	s_sleep 1
	s_wait_loadcnt_dscnt 0x0
	flat_load_b64 v[34:35], v[22:23] scope:SCOPE_SYS
	s_or_b32 s72, s72, exec_lo
	s_or_b32 s63, s63, exec_lo
                                        ; implicit-def: $vgpr10
	s_wait_xcnt 0x0
	s_and_saveexec_b32 s74, vcc_lo
	s_cbranch_execz .LBB6_1745
; %bb.1747:                             ;   in Loop: Header=BB6_1746 Depth=4
	s_cmp_lt_i32 s73, 0x270f
	s_mov_b32 s75, -1
	s_cselect_b32 s77, -1, 0
	s_cmp_gt_i32 s73, 0x270e
	s_cbranch_scc0 .LBB6_1749
; %bb.1748:                             ;   in Loop: Header=BB6_1746 Depth=4
	s_trap 2
	ds_load_b64 v[10:11], v0
	s_and_not1_b32 s73, s77, exec_lo
	s_mov_b32 s76, 0
	s_wait_storecnt 0x0
	s_wait_loadcnt_dscnt 0x0
	flat_load_b32 v10, v[10:11] scope:SCOPE_SYS
	s_wait_loadcnt_dscnt 0x0
	global_inv scope:SCOPE_SYS
	v_cmp_eq_u32_e64 s13, 0, v10
	s_and_b32 s13, s13, exec_lo
	s_delay_alu instid0(SALU_CYCLE_1)
	s_or_b32 s77, s73, s13
	s_mov_b32 s73, 0
	s_and_saveexec_b32 s78, s77
	s_cbranch_execz .LBB6_1744
	s_branch .LBB6_1743
.LBB6_1749:                             ;   in Loop: Header=BB6_1746 Depth=4
	s_add_co_i32 s73, s73, 1
	s_mov_b32 s76, -1
                                        ; implicit-def: $vgpr10
	s_and_saveexec_b32 s78, s77
	s_cbranch_execz .LBB6_1744
	s_branch .LBB6_1743
.LBB6_1750:                             ;   in Loop: Header=BB6_1738 Depth=3
	s_or_b32 exec_lo, exec_lo, s40
	s_xor_b32 s13, s41, -1
	s_delay_alu instid0(SALU_CYCLE_1) | instskip(NEXT) | instid1(SALU_CYCLE_1)
	s_and_saveexec_b32 s40, s13
	s_xor_b32 s13, exec_lo, s40
	s_cbranch_execz .LBB6_1752
; %bb.1751:                             ;   in Loop: Header=BB6_1738 Depth=3
	v_or_b32_e32 v30, 64, v30
	s_wait_storecnt 0x0
	s_wait_loadcnt_dscnt 0x0
	ds_store_b32 v0, v10
	s_trap 2
.LBB6_1752:                             ;   in Loop: Header=BB6_1738 Depth=3
	s_or_b32 exec_lo, exec_lo, s13
.LBB6_1753:                             ;   in Loop: Header=BB6_1738 Depth=3
	s_delay_alu instid0(SALU_CYCLE_1) | instskip(SKIP_2) | instid1(VALU_DEP_1)
	s_or_b32 exec_lo, exec_lo, s15
	v_and_b32_e32 v10, 0x108, v30
	;;#ASMSTART
	s_wakeup
	;;#ASMEND
	v_cmp_ne_u32_e32 vcc_lo, 0x108, v10
                                        ; implicit-def: $vgpr10_vgpr11
	s_and_saveexec_b32 s13, vcc_lo
	s_delay_alu instid0(SALU_CYCLE_1)
	s_xor_b32 s13, exec_lo, s13
; %bb.1754:                             ;   in Loop: Header=BB6_1738 Depth=3
	v_dual_mov_b32 v11, v3 :: v_dual_bitop2_b32 v10, 7, v98 bitop3:0x40
                                        ; implicit-def: $vgpr98_vgpr99
; %bb.1755:                             ;   in Loop: Header=BB6_1738 Depth=3
	s_and_not1_saveexec_b32 s13, s13
	s_cbranch_execz .LBB6_1757
; %bb.1756:                             ;   in Loop: Header=BB6_1738 Depth=3
	v_dual_ashrrev_i32 v13, 31, v12 :: v_dual_bitop2_b32 v10, 7, v98 bitop3:0x40
	v_mov_b32_e32 v11, v3
	s_delay_alu instid0(VALU_DEP_2) | instskip(NEXT) | instid1(VALU_DEP_3)
	v_mad_nc_u64_u32 v[98:99], v10, 24, v[6:7]
	v_lshlrev_b64_e32 v[114:115], 1, v[12:13]
	flat_store_b64 v[98:99], v[114:115] offset:8
.LBB6_1757:                             ;   in Loop: Header=BB6_1738 Depth=3
	s_wait_xcnt 0x0
	s_or_b32 exec_lo, exec_lo, s13
	v_and_b32_e32 v13, 0x100, v30
	s_mov_b32 s13, -1
	s_mov_b32 s15, exec_lo
                                        ; implicit-def: $vgpr98_vgpr99
	s_delay_alu instid0(VALU_DEP_1)
	v_cmpx_ne_u32_e32 0, v13
	s_cbranch_execz .LBB6_1761
; %bb.1758:                             ;   in Loop: Header=BB6_1738 Depth=3
	v_mad_nc_u64_u32 v[114:115], v10, 24, v[6:7]
	s_mov_b32 s40, exec_lo
                                        ; implicit-def: $vgpr98_vgpr99
	s_delay_alu instid0(VALU_DEP_1)
	v_mad_u32 v115, v11, 24, v115
	flat_load_b32 v13, v[114:115]
	s_wait_loadcnt_dscnt 0x0
	v_cmp_ne_u32_e32 vcc_lo, 1, v13
	s_wait_xcnt 0x0
	v_cmpx_eq_u32_e32 1, v13
	s_cbranch_execz .LBB6_1760
; %bb.1759:                             ;   in Loop: Header=BB6_1738 Depth=3
	flat_load_b32 v98, v[114:115] offset:4 scope:SCOPE_SYS
	s_wait_loadcnt_dscnt 0x0
	v_ashrrev_i32_e32 v99, 31, v98
	s_delay_alu instid0(VALU_DEP_1)
	v_lshrrev_b64 v[98:99], 1, v[98:99]
.LBB6_1760:                             ;   in Loop: Header=BB6_1738 Depth=3
	s_wait_xcnt 0x0
	s_or_b32 exec_lo, exec_lo, s40
	s_delay_alu instid0(SALU_CYCLE_1)
	s_or_not1_b32 s13, vcc_lo, exec_lo
.LBB6_1761:                             ;   in Loop: Header=BB6_1738 Depth=3
	s_or_b32 exec_lo, exec_lo, s15
	s_and_saveexec_b32 s15, s13
; %bb.1762:                             ;   in Loop: Header=BB6_1738 Depth=3
	v_mul_u64_e32 v[98:99], v[10:11], v[24:25]
; %bb.1763:                             ;   in Loop: Header=BB6_1738 Depth=3
	s_or_b32 exec_lo, exec_lo, s15
	v_cmp_eq_u32_e32 vcc_lo, 0, v2
	v_and_b32_e32 v13, 0x2000, v30
	s_delay_alu instid0(VALU_DEP_3) | instskip(SKIP_2) | instid1(VALU_DEP_1)
	v_lshl_add_u64 v[10:11], v[98:99], 1, v[26:27]
	s_mov_b32 s13, exec_lo
	v_cndmask_b32_e32 v2, 0xd0, v73, vcc_lo
	v_add_nc_u32_e32 v2, v0, v2
	ds_store_b64 v2, v[10:11] offset:584
	v_cmpx_ne_u32_e32 0, v13
	s_cbranch_execz .LBB6_1765
; %bb.1764:                             ;   in Loop: Header=BB6_1738 Depth=3
	ds_load_b64 v[10:11], v0 offset:872
	s_wait_dscnt 0x0
	v_add_nc_u64_e32 v[10:11], 1, v[10:11]
	ds_store_b64 v0, v[10:11] offset:872
.LBB6_1765:                             ;   in Loop: Header=BB6_1738 Depth=3
	s_or_b32 exec_lo, exec_lo, s13
	v_mov_b64_e32 v[98:99], v[8:9]
.LBB6_1766:                             ;   in Loop: Header=BB6_1738 Depth=3
	s_or_b32 exec_lo, exec_lo, s14
	s_and_saveexec_b32 s13, s2
	s_cbranch_execz .LBB6_1785
; %bb.1767:                             ;   in Loop: Header=BB6_1738 Depth=3
	s_and_saveexec_b32 s14, s3
	s_delay_alu instid0(SALU_CYCLE_1)
	s_xor_b32 s14, exec_lo, s14
	s_cbranch_execz .LBB6_1782
; %bb.1768:                             ;   in Loop: Header=BB6_1738 Depth=3
	s_and_saveexec_b32 s15, s6
	s_cbranch_execz .LBB6_1781
; %bb.1769:                             ;   in Loop: Header=BB6_1738 Depth=3
	s_mov_b32 s41, exec_lo
	s_mov_b32 s40, exec_lo
	v_mbcnt_lo_u32_b32 v2, s41, 0
	global_wb scope:SCOPE_DEV
	s_wait_storecnt 0x0
	s_wait_loadcnt_dscnt 0x0
	global_inv scope:SCOPE_DEV
	v_cmpx_eq_u32_e32 0, v2
	s_cbranch_execz .LBB6_1771
; %bb.1770:                             ;   in Loop: Header=BB6_1738 Depth=3
	s_bcnt1_i32_b32 s41, s41
	s_delay_alu instid0(SALU_CYCLE_1)
	v_mov_b32_e32 v2, s41
	s_wait_loadcnt 0x0
	ds_add_u64 v0, v[2:3]
	s_trap 2
.LBB6_1771:                             ;   in Loop: Header=BB6_1738 Depth=3
	s_or_b32 exec_lo, exec_lo, s40
	s_trap 2
	ds_load_b64 v[8:9], v0
	s_wait_dscnt 0x0
	v_add_nc_u64_e32 v[32:33], v[32:33], v[36:37]
	s_mov_b32 s40, exec_lo
	s_delay_alu instid0(VALU_DEP_1)
	v_cmpx_lt_u64_e64 v[8:9], v[32:33]
	s_cbranch_execz .LBB6_1780
; %bb.1772:                             ;   in Loop: Header=BB6_1738 Depth=3
	s_mov_b32 s41, 0
	s_mov_b32 s73, 0
                                        ; implicit-def: $sgpr63
                                        ; implicit-def: $sgpr72
	s_branch .LBB6_1774
.LBB6_1773:                             ;   in Loop: Header=BB6_1774 Depth=4
	s_or_b32 exec_lo, exec_lo, s75
	s_delay_alu instid0(SALU_CYCLE_1) | instskip(NEXT) | instid1(SALU_CYCLE_1)
	s_and_b32 s74, exec_lo, s76
	s_or_b32 s41, s74, s41
	s_and_not1_b32 s63, s63, exec_lo
	s_and_b32 s74, s72, exec_lo
	s_delay_alu instid0(SALU_CYCLE_1)
	s_or_b32 s63, s63, s74
	s_and_not1_b32 exec_lo, exec_lo, s41
	s_cbranch_execz .LBB6_1778
.LBB6_1774:                             ;   Parent Loop BB6_47 Depth=1
                                        ;     Parent Loop BB6_1735 Depth=2
                                        ;       Parent Loop BB6_1738 Depth=3
                                        ; =>      This Inner Loop Header: Depth=4
	s_add_co_i32 s73, s73, 1
	s_delay_alu instid0(SALU_CYCLE_1) | instskip(SKIP_1) | instid1(SALU_CYCLE_1)
	s_cmp_lg_u32 s73, 0x2710
	s_cselect_b32 s74, -1, 0
	s_and_b32 vcc_lo, exec_lo, s74
	s_cbranch_vccz .LBB6_1776
; %bb.1775:                             ;   in Loop: Header=BB6_1774 Depth=4
	s_mov_b32 s76, -1
	s_or_b32 s72, s72, exec_lo
	s_and_saveexec_b32 s75, s74
	s_cbranch_execz .LBB6_1773
	s_branch .LBB6_1777
.LBB6_1776:                             ;   in Loop: Header=BB6_1774 Depth=4
	s_trap 2
	ds_load_b64 v[8:9], v0
	s_and_not1_b32 s74, s74, exec_lo
	s_mov_b32 s73, 0
	s_wait_loadcnt_dscnt 0x0
	flat_load_b32 v2, v[8:9] scope:SCOPE_SYS
	s_wait_loadcnt_dscnt 0x0
	global_inv scope:SCOPE_SYS
	v_cmp_eq_u32_e32 vcc_lo, 0, v2
	s_and_b32 s75, vcc_lo, exec_lo
	s_delay_alu instid0(SALU_CYCLE_1)
	s_or_b32 s74, s74, s75
	s_mov_b32 s76, -1
	s_or_b32 s72, s72, exec_lo
	s_and_saveexec_b32 s75, s74
	s_cbranch_execz .LBB6_1773
.LBB6_1777:                             ;   in Loop: Header=BB6_1774 Depth=4
	s_sleep 1
	s_trap 2
	ds_load_b64 v[8:9], v0
	s_wait_dscnt 0x0
	s_and_not1_b32 s72, s72, exec_lo
	v_cmp_ge_u64_e32 vcc_lo, v[8:9], v[32:33]
	s_or_not1_b32 s76, vcc_lo, exec_lo
	s_branch .LBB6_1773
.LBB6_1778:                             ;   in Loop: Header=BB6_1738 Depth=3
	s_or_b32 exec_lo, exec_lo, s41
	s_and_saveexec_b32 s41, s63
	s_delay_alu instid0(SALU_CYCLE_1)
	s_xor_b32 s41, exec_lo, s41
	s_cbranch_execz .LBB6_1780
; %bb.1779:                             ;   in Loop: Header=BB6_1738 Depth=3
	ds_store_b32 v0, v63
	s_trap 2
.LBB6_1780:                             ;   in Loop: Header=BB6_1738 Depth=3
	s_or_b32 exec_lo, exec_lo, s40
	;;#ASMSTART
	s_wakeup
	;;#ASMEND
.LBB6_1781:                             ;   in Loop: Header=BB6_1738 Depth=3
	s_or_b32 exec_lo, exec_lo, s15
.LBB6_1782:                             ;   in Loop: Header=BB6_1738 Depth=3
	s_and_not1_saveexec_b32 s14, s14
	s_cbranch_execz .LBB6_1784
; %bb.1783:                             ;   in Loop: Header=BB6_1738 Depth=3
	global_wb scope:SCOPE_DEV
	s_wait_storecnt 0x0
	s_wait_loadcnt_dscnt 0x0
	global_inv scope:SCOPE_DEV
	s_barrier_signal -1
	s_barrier_wait -1
.LBB6_1784:                             ;   in Loop: Header=BB6_1738 Depth=3
	s_or_b32 exec_lo, exec_lo, s14
.LBB6_1785:                             ;   in Loop: Header=BB6_1738 Depth=3
	s_delay_alu instid0(SALU_CYCLE_1) | instskip(SKIP_4) | instid1(VALU_DEP_1)
	s_or_b32 exec_lo, exec_lo, s13
	s_trap 2
	ds_load_b32 v8, v0
	v_and_b32_e32 v2, 0x4000, v30
	s_xor_b32 s13, s1, -1
	v_cmp_ne_u32_e32 vcc_lo, 0, v2
	s_and_b32 s14, s13, vcc_lo
	s_delay_alu instid0(SALU_CYCLE_1)
	s_and_saveexec_b32 s13, s14
	s_cbranch_execz .LBB6_1804
; %bb.1786:                             ;   in Loop: Header=BB6_1738 Depth=3
	s_and_saveexec_b32 s14, s3
	s_delay_alu instid0(SALU_CYCLE_1)
	s_xor_b32 s14, exec_lo, s14
	s_cbranch_execz .LBB6_1801
; %bb.1787:                             ;   in Loop: Header=BB6_1738 Depth=3
	s_and_saveexec_b32 s15, s6
	s_cbranch_execz .LBB6_1800
; %bb.1788:                             ;   in Loop: Header=BB6_1738 Depth=3
	s_mov_b32 s41, exec_lo
	s_mov_b32 s40, exec_lo
	v_mbcnt_lo_u32_b32 v2, s41, 0
	global_wb scope:SCOPE_DEV
	s_wait_storecnt 0x0
	s_wait_loadcnt_dscnt 0x0
	global_inv scope:SCOPE_DEV
	v_cmpx_eq_u32_e32 0, v2
	s_cbranch_execz .LBB6_1790
; %bb.1789:                             ;   in Loop: Header=BB6_1738 Depth=3
	s_bcnt1_i32_b32 s41, s41
	s_delay_alu instid0(SALU_CYCLE_1)
	v_mov_b32_e32 v2, s41
	s_wait_loadcnt 0x0
	ds_add_u64 v0, v[2:3]
	s_trap 2
.LBB6_1790:                             ;   in Loop: Header=BB6_1738 Depth=3
	s_or_b32 exec_lo, exec_lo, s40
	s_trap 2
	ds_load_b64 v[10:11], v0
	s_wait_dscnt 0x0
	v_add_nc_u64_e32 v[32:33], v[32:33], v[36:37]
	s_mov_b32 s40, exec_lo
	s_delay_alu instid0(VALU_DEP_1)
	v_cmpx_lt_u64_e64 v[10:11], v[32:33]
	s_cbranch_execz .LBB6_1799
; %bb.1791:                             ;   in Loop: Header=BB6_1738 Depth=3
	s_mov_b32 s41, 0
	s_mov_b32 s73, 0
                                        ; implicit-def: $sgpr63
                                        ; implicit-def: $sgpr72
	s_branch .LBB6_1793
.LBB6_1792:                             ;   in Loop: Header=BB6_1793 Depth=4
	s_or_b32 exec_lo, exec_lo, s75
	s_delay_alu instid0(SALU_CYCLE_1) | instskip(NEXT) | instid1(SALU_CYCLE_1)
	s_and_b32 s74, exec_lo, s76
	s_or_b32 s41, s74, s41
	s_and_not1_b32 s63, s63, exec_lo
	s_and_b32 s74, s72, exec_lo
	s_delay_alu instid0(SALU_CYCLE_1)
	s_or_b32 s63, s63, s74
	s_and_not1_b32 exec_lo, exec_lo, s41
	s_cbranch_execz .LBB6_1797
.LBB6_1793:                             ;   Parent Loop BB6_47 Depth=1
                                        ;     Parent Loop BB6_1735 Depth=2
                                        ;       Parent Loop BB6_1738 Depth=3
                                        ; =>      This Inner Loop Header: Depth=4
	s_add_co_i32 s73, s73, 1
	s_delay_alu instid0(SALU_CYCLE_1) | instskip(SKIP_1) | instid1(SALU_CYCLE_1)
	s_cmp_lg_u32 s73, 0x2710
	s_cselect_b32 s74, -1, 0
	s_and_b32 vcc_lo, exec_lo, s74
	s_cbranch_vccz .LBB6_1795
; %bb.1794:                             ;   in Loop: Header=BB6_1793 Depth=4
	s_mov_b32 s76, -1
	s_or_b32 s72, s72, exec_lo
	s_and_saveexec_b32 s75, s74
	s_cbranch_execz .LBB6_1792
	s_branch .LBB6_1796
.LBB6_1795:                             ;   in Loop: Header=BB6_1793 Depth=4
	s_trap 2
	ds_load_b64 v[10:11], v0
	s_and_not1_b32 s74, s74, exec_lo
	s_mov_b32 s73, 0
	s_wait_loadcnt_dscnt 0x0
	flat_load_b32 v2, v[10:11] scope:SCOPE_SYS
	s_wait_loadcnt_dscnt 0x0
	global_inv scope:SCOPE_SYS
	v_cmp_eq_u32_e32 vcc_lo, 0, v2
	s_and_b32 s75, vcc_lo, exec_lo
	s_delay_alu instid0(SALU_CYCLE_1)
	s_or_b32 s74, s74, s75
	s_mov_b32 s76, -1
	s_or_b32 s72, s72, exec_lo
	s_and_saveexec_b32 s75, s74
	s_cbranch_execz .LBB6_1792
.LBB6_1796:                             ;   in Loop: Header=BB6_1793 Depth=4
	s_sleep 1
	s_trap 2
	ds_load_b64 v[10:11], v0
	s_wait_dscnt 0x0
	s_and_not1_b32 s72, s72, exec_lo
	v_cmp_ge_u64_e32 vcc_lo, v[10:11], v[32:33]
	s_or_not1_b32 s76, vcc_lo, exec_lo
	s_branch .LBB6_1792
.LBB6_1797:                             ;   in Loop: Header=BB6_1738 Depth=3
	s_or_b32 exec_lo, exec_lo, s41
	s_and_saveexec_b32 s41, s63
	s_delay_alu instid0(SALU_CYCLE_1)
	s_xor_b32 s41, exec_lo, s41
	s_cbranch_execz .LBB6_1799
; %bb.1798:                             ;   in Loop: Header=BB6_1738 Depth=3
	ds_store_b32 v0, v63
	s_trap 2
.LBB6_1799:                             ;   in Loop: Header=BB6_1738 Depth=3
	s_or_b32 exec_lo, exec_lo, s40
	;;#ASMSTART
	s_wakeup
	;;#ASMEND
.LBB6_1800:                             ;   in Loop: Header=BB6_1738 Depth=3
	s_or_b32 exec_lo, exec_lo, s15
.LBB6_1801:                             ;   in Loop: Header=BB6_1738 Depth=3
	s_and_not1_saveexec_b32 s14, s14
	s_cbranch_execz .LBB6_1803
; %bb.1802:                             ;   in Loop: Header=BB6_1738 Depth=3
	global_wb scope:SCOPE_DEV
	s_wait_storecnt 0x0
	s_wait_loadcnt_dscnt 0x0
	global_inv scope:SCOPE_DEV
	s_barrier_signal -1
	s_barrier_wait -1
.LBB6_1803:                             ;   in Loop: Header=BB6_1738 Depth=3
	s_or_b32 exec_lo, exec_lo, s14
.LBB6_1804:                             ;   in Loop: Header=BB6_1738 Depth=3
	s_delay_alu instid0(SALU_CYCLE_1)
	s_or_b32 exec_lo, exec_lo, s13
	s_trap 2
	ds_load_b64 v[114:115], v0
	s_wait_dscnt 0x0
	v_cmp_eq_u64_e32 vcc_lo, 0, v[114:115]
	s_cbranch_vccnz .LBB6_1813
; %bb.1805:                             ;   in Loop: Header=BB6_1738 Depth=3
	s_trap 2
	ds_load_b64 v[116:117], v0
	s_wait_dscnt 0x0
	v_cmp_eq_u64_e32 vcc_lo, 0, v[116:117]
	s_cbranch_vccnz .LBB6_1813
; %bb.1806:                             ;   in Loop: Header=BB6_1738 Depth=3
	s_trap 2
	ds_load_b64 v[118:119], v0
	v_cmp_eq_u32_e32 vcc_lo, 0, v8
	s_mov_b32 s13, -1
	v_cndmask_b32_e32 v2, 0, v12, vcc_lo
	s_delay_alu instid0(VALU_DEP_1)
	v_lshlrev_b32_e32 v13, 1, v2
	s_wait_dscnt 0x0
	v_cmp_ne_u64_e32 vcc_lo, 0, v[118:119]
	s_cbranch_vccz .LBB6_1842
; %bb.1807:                             ;   in Loop: Header=BB6_1738 Depth=3
	s_and_saveexec_b32 s14, s10
	s_cbranch_execz .LBB6_1809
; %bb.1808:                             ;   in Loop: Header=BB6_1738 Depth=3
	ds_load_b32 v8, v0 offset:720
	s_wait_dscnt 0x0
	v_and_b32_e32 v8, 15, v8
	s_delay_alu instid0(VALU_DEP_1)
	v_cmp_eq_u32_e32 vcc_lo, 0, v8
	s_or_not1_b32 s13, vcc_lo, exec_lo
.LBB6_1809:                             ;   in Loop: Header=BB6_1738 Depth=3
	s_or_b32 exec_lo, exec_lo, s14
	s_and_saveexec_b32 s14, s11
	s_cbranch_execz .LBB6_1811
; %bb.1810:                             ;   in Loop: Header=BB6_1738 Depth=3
	ds_load_b32 v8, v0 offset:784
	s_wait_dscnt 0x0
	v_and_b32_e32 v8, 15, v8
	s_delay_alu instid0(VALU_DEP_1) | instskip(SKIP_3) | instid1(SALU_CYCLE_1)
	v_cmp_eq_u32_e32 vcc_lo, 0, v8
	s_and_b32 s15, s13, vcc_lo
	s_and_not1_b32 s13, s13, exec_lo
	s_and_b32 s15, s15, exec_lo
	s_or_b32 s13, s13, s15
.LBB6_1811:                             ;   in Loop: Header=BB6_1738 Depth=3
	s_or_b32 exec_lo, exec_lo, s14
	s_xor_b32 s13, s13, -1
	v_dual_mov_b32 v15, 0 :: v_dual_mov_b32 v42, v13
	v_cndmask_b32_e64 v8, 0, 1, s13
	v_mov_b32_e32 v43, v0
	s_mov_b32 s13, -1
	s_delay_alu instid0(VALU_DEP_2)
	v_cmp_ne_u32_e32 vcc_lo, 0, v8
	s_cbranch_vccz .LBB6_1818
; %bb.1812:                             ;   in Loop: Header=BB6_1738 Depth=3
	s_and_saveexec_b32 s15, s13
	s_cbranch_execnz .LBB6_1831
	s_branch .LBB6_1841
.LBB6_1813:                             ;   in Loop: Header=BB6_1738 Depth=3
	s_mov_b32 s13, 0
	s_and_saveexec_b32 s14, s2
	s_cbranch_execnz .LBB6_1870
.LBB6_1814:                             ;   in Loop: Header=BB6_1738 Depth=3
	s_or_b32 exec_lo, exec_lo, s14
                                        ; implicit-def: $vgpr2
	s_and_saveexec_b32 s14, s12
	s_delay_alu instid0(SALU_CYCLE_1)
	s_xor_b32 s14, exec_lo, s14
	s_cbranch_execz .LBB6_1888
.LBB6_1815:                             ;   in Loop: Header=BB6_1738 Depth=3
	v_and_b32_e32 v2, 16, v30
	s_delay_alu instid0(VALU_DEP_1) | instskip(SKIP_2) | instid1(SALU_CYCLE_1)
	v_cmp_ne_u32_e32 vcc_lo, 0, v2
	v_and_b32_e32 v2, 16, v30
	s_and_b32 s15, vcc_lo, s13
	s_and_saveexec_b32 s13, s15
	s_cbranch_execz .LBB6_1817
; %bb.1816:                             ;   in Loop: Header=BB6_1738 Depth=3
	v_mov_b32_e32 v2, 1
	global_wb scope:SCOPE_SYS
	s_wait_storecnt 0x0
	s_wait_loadcnt_dscnt 0x0
	global_inv scope:SCOPE_SYS
.LBB6_1817:                             ;   in Loop: Header=BB6_1738 Depth=3
	s_or_b32 exec_lo, exec_lo, s13
	s_and_not1_saveexec_b32 s13, s14
	s_cbranch_execz .LBB6_1907
	s_branch .LBB6_1889
.LBB6_1818:                             ;   in Loop: Header=BB6_1738 Depth=3
	v_ashrrev_i32_e32 v8, 31, v13
	s_mov_b32 s13, exec_lo
	s_delay_alu instid0(VALU_DEP_1) | instskip(NEXT) | instid1(VALU_DEP_1)
	v_lshrrev_b32_e32 v8, 22, v8
	v_add_nc_u32_e32 v8, v13, v8
	s_delay_alu instid0(VALU_DEP_1) | instskip(NEXT) | instid1(VALU_DEP_1)
	v_ashrrev_i32_e32 v15, 10, v8
	v_sub_nc_u32_e32 v44, v15, v62
	s_delay_alu instid0(VALU_DEP_1)
	v_cmpx_lt_i32_e32 0, v44
	s_cbranch_execz .LBB6_1822
; %bb.1819:                             ;   in Loop: Header=BB6_1738 Depth=3
	v_add_nc_u64_e32 v[8:9], v[114:115], v[66:67]
	v_add_nc_u64_e32 v[10:11], v[116:117], v[66:67]
	;; [unrolled: 1-line block ×3, first 2 shown]
	s_mov_b32 s14, 0
.LBB6_1820:                             ;   Parent Loop BB6_47 Depth=1
                                        ;     Parent Loop BB6_1735 Depth=2
                                        ;       Parent Loop BB6_1738 Depth=3
                                        ; =>      This Inner Loop Header: Depth=4
	s_clause 0x1
	global_load_b128 v[56:59], v[8:9], off th:TH_LOAD_NT
	global_load_b128 v[74:77], v[8:9], off offset:512 th:TH_LOAD_NT
	v_sub_nc_u32_e32 v44, v44, v36
	s_wait_xcnt 0x0
	v_add_nc_u64_e32 v[8:9], v[8:9], v[68:69]
	s_wait_loadcnt 0x1
	global_store_b128 v[10:11], v[56:59], off th:TH_STORE_NT
	s_wait_loadcnt 0x0
	global_store_b128 v[10:11], v[74:77], off offset:512 th:TH_STORE_NT
	s_clause 0x1
	global_store_b128 v[40:41], v[56:59], off th:TH_STORE_NT
	global_store_b128 v[40:41], v[74:77], off offset:512 th:TH_STORE_NT
	v_cmp_gt_i32_e32 vcc_lo, 1, v44
	s_wait_xcnt 0x2
	v_add_nc_u64_e32 v[10:11], v[10:11], v[68:69]
	s_wait_xcnt 0x0
	v_add_nc_u64_e32 v[40:41], v[40:41], v[68:69]
	s_or_b32 s14, vcc_lo, s14
	s_delay_alu instid0(SALU_CYCLE_1)
	s_and_not1_b32 exec_lo, exec_lo, s14
	s_cbranch_execnz .LBB6_1820
; %bb.1821:                             ;   in Loop: Header=BB6_1738 Depth=3
	s_or_b32 exec_lo, exec_lo, s14
.LBB6_1822:                             ;   in Loop: Header=BB6_1738 Depth=3
	s_delay_alu instid0(SALU_CYCLE_1) | instskip(SKIP_3) | instid1(VALU_DEP_1)
	s_or_b32 exec_lo, exec_lo, s13
	v_dual_lshlrev_b32 v47, 10, v15 :: v_dual_mov_b32 v15, 0
	s_mov_b32 s13, 0
	s_mov_b32 s63, exec_lo
                                        ; implicit-def: $vgpr42
                                        ; implicit-def: $vgpr43
	v_cmpx_ne_u32_e64 v13, v47
	s_cbranch_execz .LBB6_1830
; %bb.1823:                             ;   in Loop: Header=BB6_1738 Depth=3
	v_dual_lshlrev_b32 v8, 5, v44 :: v_dual_sub_nc_u32 v10, v13, v47
	s_mov_b32 s72, exec_lo
	s_delay_alu instid0(VALU_DEP_1) | instskip(NEXT) | instid1(VALU_DEP_1)
	v_dual_sub_nc_u32 v8, v61, v8 :: v_dual_ashrrev_i32 v11, 31, v10
	v_dual_ashrrev_i32 v9, 31, v8 :: v_dual_lshrrev_b32 v11, 23, v11
	s_delay_alu instid0(VALU_DEP_1) | instskip(NEXT) | instid1(VALU_DEP_1)
	v_lshrrev_b32_e32 v9, 27, v9
	v_dual_add_nc_u32 v9, v8, v9 :: v_dual_add_nc_u32 v11, v10, v11
	s_delay_alu instid0(VALU_DEP_1) | instskip(NEXT) | instid1(VALU_DEP_1)
	v_and_b32_e32 v15, 0xffffffe0, v9
	v_dual_ashrrev_i32 v9, 5, v9 :: v_dual_sub_nc_u32 v56, v8, v15
	s_delay_alu instid0(VALU_DEP_3) | instskip(SKIP_1) | instid1(VALU_DEP_2)
	v_and_b32_e32 v15, 0xfffffe00, v11
	v_ashrrev_i32_e32 v11, 9, v11
	v_dual_sub_nc_u32 v57, v10, v15 :: v_dual_lshlrev_b32 v8, 4, v56
	s_delay_alu instid0(VALU_DEP_1) | instskip(NEXT) | instid1(VALU_DEP_2)
	v_cmp_lt_i32_e64 s13, 15, v57
	v_lshl_add_u32 v8, v9, 9, v8
	s_delay_alu instid0(VALU_DEP_2) | instskip(NEXT) | instid1(VALU_DEP_1)
	v_add_co_ci_u32_e64 v11, null, 0, v11, s13
	v_dual_sub_nc_u32 v59, v10, v8 :: v_dual_sub_nc_u32 v58, v11, v9
	s_delay_alu instid0(VALU_DEP_1)
	v_cmpx_lt_i32_e32 15, v59
	s_cbranch_execz .LBB6_1829
; %bb.1824:                             ;   in Loop: Header=BB6_1738 Depth=3
	v_add_nc_u32_e32 v8, v8, v47
	s_mov_b32 s73, 0
	s_delay_alu instid0(VALU_DEP_1) | instskip(NEXT) | instid1(VALU_DEP_1)
	v_ashrrev_i32_e32 v9, 31, v8
	v_add_nc_u64_e32 v[40:41], v[8:9], v[114:115]
	v_add_nc_u64_e32 v[42:43], v[8:9], v[116:117]
	;; [unrolled: 1-line block ×3, first 2 shown]
.LBB6_1825:                             ;   Parent Loop BB6_47 Depth=1
                                        ;     Parent Loop BB6_1735 Depth=2
                                        ;       Parent Loop BB6_1738 Depth=3
                                        ; =>      This Loop Header: Depth=4
                                        ;           Child Loop BB6_1826 Depth 5
	global_load_b128 v[8:11], v[40:41], off th:TH_LOAD_NT
	s_mov_b64 s[40:41], 0
	s_mov_b32 s74, -1
.LBB6_1826:                             ;   Parent Loop BB6_47 Depth=1
                                        ;     Parent Loop BB6_1735 Depth=2
                                        ;       Parent Loop BB6_1738 Depth=3
                                        ;         Parent Loop BB6_1825 Depth=4
                                        ; =>        This Inner Loop Header: Depth=5
	s_cmp_eq_u32 s40, 1
	s_cselect_b32 vcc_lo, -1, 0
	s_cmp_eq_u32 s40, 0
	s_wait_xcnt 0x0
	v_dual_cndmask_b32 v75, v43, v45 :: v_dual_cndmask_b32 v74, v42, v44
	s_cselect_b32 s14, -1, 0
	s_and_b32 s15, exec_lo, s74
	s_mov_b64 s[40:41], 1
	s_mov_b32 s74, 0
	v_add_nc_u64_e32 v[76:77], 0x200, v[74:75]
	s_wait_loadcnt 0x0
	global_store_b128 v[74:75], v[8:11], off th:TH_STORE_NT
	v_dual_cndmask_b32 v45, v45, v77 :: v_dual_cndmask_b32 v44, v44, v76
	v_dual_cndmask_b32 v43, v43, v77, s14 :: v_dual_cndmask_b32 v42, v42, v76, s14
	s_mov_b32 vcc_lo, s15
	s_cbranch_vccnz .LBB6_1826
; %bb.1827:                             ;   in Loop: Header=BB6_1825 Depth=4
	v_dual_sub_nc_u32 v59, v59, v54 :: v_dual_sub_nc_u32 v58, v58, v36
	s_delay_alu instid0(VALU_DEP_2)
	v_add_nc_u64_e32 v[42:43], v[42:43], v[80:81]
	v_add_nc_u64_e32 v[44:45], v[44:45], v[80:81]
	s_wait_xcnt 0x1
	v_add_nc_u64_e32 v[40:41], v[84:85], v[40:41]
	v_cmp_gt_i32_e32 vcc_lo, 16, v59
	s_or_b32 s73, vcc_lo, s73
	s_wait_xcnt 0x0
	s_and_not1_b32 exec_lo, exec_lo, s73
	s_cbranch_execnz .LBB6_1825
; %bb.1828:                             ;   in Loop: Header=BB6_1738 Depth=3
	s_or_b32 exec_lo, exec_lo, s73
.LBB6_1829:                             ;   in Loop: Header=BB6_1738 Depth=3
	s_delay_alu instid0(SALU_CYCLE_1) | instskip(NEXT) | instid1(VALU_DEP_2)
	s_or_b32 exec_lo, exec_lo, s72
	v_cmp_lt_i32_e32 vcc_lo, 0, v58
	v_dual_cndmask_b32 v10, 0, v36, vcc_lo :: v_dual_bitop2_b32 v8, 14, v13 bitop3:0x40
	s_delay_alu instid0(VALU_DEP_1) | instskip(NEXT) | instid1(VALU_DEP_1)
	v_dual_sub_nc_u32 v9, v57, v8 :: v_dual_cndmask_b32 v42, v57, v8, s13
	v_dual_cndmask_b32 v8, 0, v9, s13 :: v_dual_sub_nc_u32 v9, v10, v58
	s_delay_alu instid0(VALU_DEP_2) | instskip(NEXT) | instid1(VALU_DEP_2)
	v_cmp_ne_u32_e32 vcc_lo, 0, v42
	v_add3_u32 v15, v15, v47, v8
	s_delay_alu instid0(VALU_DEP_3)
	v_lshl_add_u32 v43, v9, 5, v56
	s_and_b32 s13, vcc_lo, exec_lo
.LBB6_1830:                             ;   in Loop: Header=BB6_1738 Depth=3
	s_or_b32 exec_lo, exec_lo, s63
	s_and_saveexec_b32 s15, s13
	s_cbranch_execz .LBB6_1841
.LBB6_1831:                             ;   in Loop: Header=BB6_1738 Depth=3
	v_dual_ashrrev_i32 v8, 31, v43 :: v_dual_ashrrev_i32 v9, 31, v42
	s_mov_b32 s13, exec_lo
	s_delay_alu instid0(VALU_DEP_1) | instskip(NEXT) | instid1(VALU_DEP_1)
	v_dual_lshrrev_b32 v8, 27, v8 :: v_dual_lshrrev_b32 v9, 23, v9
	v_dual_add_nc_u32 v8, v43, v8 :: v_dual_add_nc_u32 v9, v42, v9
	s_delay_alu instid0(VALU_DEP_1) | instskip(NEXT) | instid1(VALU_DEP_1)
	v_dual_ashrrev_i32 v44, 5, v8 :: v_dual_ashrrev_i32 v47, 9, v9
	v_sub_nc_u32_e32 v45, v47, v44
	s_delay_alu instid0(VALU_DEP_1)
	v_cmpx_lt_i32_e32 0, v45
	s_cbranch_execz .LBB6_1835
; %bb.1832:                             ;   in Loop: Header=BB6_1738 Depth=3
	v_and_b32_e32 v8, 0x7fffffe0, v8
	v_lshlrev_b32_e32 v9, 9, v44
	v_add_nc_u64_e32 v[56:57], 0x1c0, v[114:115]
	s_mov_b32 s14, 0
	s_delay_alu instid0(VALU_DEP_3) | instskip(NEXT) | instid1(VALU_DEP_1)
	v_sub_nc_u32_e32 v8, v43, v8
	v_lshlrev_b32_e32 v8, 1, v8
	s_delay_alu instid0(VALU_DEP_1) | instskip(NEXT) | instid1(VALU_DEP_1)
	v_add3_u32 v40, v8, v15, v9
	v_ashrrev_i32_e32 v41, 31, v40
	s_delay_alu instid0(VALU_DEP_1)
	v_add_nc_u64_e32 v[8:9], v[40:41], v[116:117]
	v_add_nc_u64_e32 v[10:11], v[40:41], v[118:119]
	;; [unrolled: 1-line block ×3, first 2 shown]
.LBB6_1833:                             ;   Parent Loop BB6_47 Depth=1
                                        ;     Parent Loop BB6_1735 Depth=2
                                        ;       Parent Loop BB6_1738 Depth=3
                                        ; =>      This Inner Loop Header: Depth=4
	s_clause 0x7
	flat_load_u16 v56, v[40:41] offset:-448 th:TH_LOAD_NT
	flat_load_u16 v57, v[40:41] offset:-384 th:TH_LOAD_NT
	;; [unrolled: 1-line block ×7, first 2 shown]
	flat_load_u16 v77, v[40:41] th:TH_LOAD_NT
	v_sub_nc_u32_e32 v45, v45, v36
	s_wait_xcnt 0x0
	v_add_nc_u64_e32 v[40:41], v[40:41], v[54:55]
	s_wait_loadcnt_dscnt 0x707
	flat_store_b16 v[8:9], v56 th:TH_STORE_NT
	s_wait_loadcnt_dscnt 0x607
	flat_store_b16 v[8:9], v57 offset:64 th:TH_STORE_NT
	s_wait_loadcnt_dscnt 0x507
	flat_store_b16 v[8:9], v58 offset:128 th:TH_STORE_NT
	s_wait_loadcnt_dscnt 0x407
	flat_store_b16 v[8:9], v59 offset:192 th:TH_STORE_NT
	s_wait_loadcnt_dscnt 0x307
	flat_store_b16 v[8:9], v74 offset:256 th:TH_STORE_NT
	s_wait_loadcnt_dscnt 0x207
	flat_store_b16 v[8:9], v75 offset:320 th:TH_STORE_NT
	s_wait_loadcnt_dscnt 0x107
	flat_store_b16 v[8:9], v76 offset:384 th:TH_STORE_NT
	s_wait_loadcnt_dscnt 0x7
	flat_store_b16 v[8:9], v77 offset:448 th:TH_STORE_NT
	s_clause 0x7
	flat_store_b16 v[10:11], v56 th:TH_STORE_NT
	flat_store_b16 v[10:11], v57 offset:64 th:TH_STORE_NT
	flat_store_b16 v[10:11], v58 offset:128 th:TH_STORE_NT
	;; [unrolled: 1-line block ×7, first 2 shown]
	v_cmp_gt_i32_e32 vcc_lo, 1, v45
	s_wait_xcnt 0x8
	v_add_nc_u64_e32 v[8:9], v[8:9], v[54:55]
	s_wait_xcnt 0x0
	v_add_nc_u64_e32 v[10:11], v[10:11], v[54:55]
	s_or_b32 s14, vcc_lo, s14
	s_delay_alu instid0(SALU_CYCLE_1)
	s_and_not1_b32 exec_lo, exec_lo, s14
	s_cbranch_execnz .LBB6_1833
; %bb.1834:                             ;   in Loop: Header=BB6_1738 Depth=3
	s_or_b32 exec_lo, exec_lo, s14
.LBB6_1835:                             ;   in Loop: Header=BB6_1738 Depth=3
	s_delay_alu instid0(SALU_CYCLE_1) | instskip(SKIP_1) | instid1(VALU_DEP_1)
	s_or_b32 exec_lo, exec_lo, s13
	v_lshlrev_b32_e32 v8, 9, v47
	v_cmp_ne_u32_e32 vcc_lo, v42, v8
	s_and_b32 exec_lo, exec_lo, vcc_lo
	s_cbranch_execz .LBB6_1841
; %bb.1836:                             ;   in Loop: Header=BB6_1738 Depth=3
	v_dual_lshlrev_b32 v9, 5, v44 :: v_dual_lshlrev_b32 v10, 5, v45
	s_delay_alu instid0(VALU_DEP_1) | instskip(NEXT) | instid1(VALU_DEP_1)
	v_sub_nc_u32_e32 v9, v43, v9
	v_sub_nc_u32_e32 v9, v9, v10
	s_delay_alu instid0(VALU_DEP_1) | instskip(NEXT) | instid1(VALU_DEP_1)
	v_ashrrev_i32_e32 v10, 31, v9
	v_lshrrev_b32_e32 v10, 27, v10
	s_delay_alu instid0(VALU_DEP_1) | instskip(NEXT) | instid1(VALU_DEP_1)
	v_add_nc_u32_e32 v10, v9, v10
	v_and_b32_e32 v11, 0x7fffffe0, v10
	s_delay_alu instid0(VALU_DEP_1) | instskip(NEXT) | instid1(VALU_DEP_1)
	v_dual_lshlrev_b32 v10, 1, v10 :: v_dual_sub_nc_u32 v9, v9, v11
	v_and_b32_e32 v10, 0xffffffc0, v10
	s_delay_alu instid0(VALU_DEP_2) | instskip(NEXT) | instid1(VALU_DEP_1)
	v_lshlrev_b32_e32 v9, 1, v9
	v_add3_u32 v8, v10, v9, v8
	s_delay_alu instid0(VALU_DEP_1) | instskip(NEXT) | instid1(VALU_DEP_1)
	v_sub_nc_u32_e32 v40, v42, v8
	v_cmp_lt_i32_e32 vcc_lo, 1, v40
	s_and_b32 exec_lo, exec_lo, vcc_lo
	s_cbranch_execz .LBB6_1841
; %bb.1837:                             ;   in Loop: Header=BB6_1738 Depth=3
	v_add_nc_u32_e32 v42, v8, v15
	s_mov_b32 s63, 0
	s_delay_alu instid0(VALU_DEP_1) | instskip(NEXT) | instid1(VALU_DEP_1)
	v_ashrrev_i32_e32 v43, 31, v42
	v_add_nc_u64_e32 v[8:9], v[42:43], v[114:115]
	v_add_nc_u64_e32 v[10:11], v[42:43], v[116:117]
	;; [unrolled: 1-line block ×3, first 2 shown]
.LBB6_1838:                             ;   Parent Loop BB6_47 Depth=1
                                        ;     Parent Loop BB6_1735 Depth=2
                                        ;       Parent Loop BB6_1738 Depth=3
                                        ; =>      This Loop Header: Depth=4
                                        ;           Child Loop BB6_1839 Depth 5
	flat_load_u16 v15, v[8:9] th:TH_LOAD_NT
	s_mov_b64 s[40:41], 0
	s_mov_b32 s72, -1
.LBB6_1839:                             ;   Parent Loop BB6_47 Depth=1
                                        ;     Parent Loop BB6_1735 Depth=2
                                        ;       Parent Loop BB6_1738 Depth=3
                                        ;         Parent Loop BB6_1838 Depth=4
                                        ; =>        This Inner Loop Header: Depth=5
	s_cmp_eq_u32 s40, 1
	s_cselect_b32 vcc_lo, -1, 0
	s_cmp_eq_u32 s40, 0
	s_wait_xcnt 0x0
	v_dual_cndmask_b32 v43, v11, v119 :: v_dual_cndmask_b32 v42, v10, v118
	s_cselect_b32 s13, -1, 0
	s_and_b32 s14, exec_lo, s72
	s_mov_b64 s[40:41], 1
	s_mov_b32 s72, 0
	v_add_nc_u64_e32 v[44:45], 64, v[42:43]
	s_wait_loadcnt_dscnt 0x0
	flat_store_b16 v[42:43], v15 th:TH_STORE_NT
	v_dual_cndmask_b32 v119, v119, v45 :: v_dual_cndmask_b32 v118, v118, v44
	v_dual_cndmask_b32 v11, v11, v45, s13 :: v_dual_cndmask_b32 v10, v10, v44, s13
	s_mov_b32 vcc_lo, s14
	s_cbranch_vccnz .LBB6_1839
; %bb.1840:                             ;   in Loop: Header=BB6_1838 Depth=4
	v_sub_nc_u32_e32 v40, v40, v64
	s_delay_alu instid0(VALU_DEP_2)
	v_add_nc_u64_e32 v[10:11], v[10:11], v[82:83]
	v_add_nc_u64_e32 v[118:119], v[118:119], v[82:83]
	s_wait_xcnt 0x1
	v_add_nc_u64_e32 v[8:9], v[86:87], v[8:9]
	v_cmp_gt_i32_e32 vcc_lo, 2, v40
	s_or_b32 s63, vcc_lo, s63
	s_wait_xcnt 0x0
	s_and_not1_b32 exec_lo, exec_lo, s63
	s_cbranch_execnz .LBB6_1838
.LBB6_1841:                             ;   in Loop: Header=BB6_1738 Depth=3
	s_or_b32 exec_lo, exec_lo, s15
	s_mov_b32 s13, 0
.LBB6_1842:                             ;   in Loop: Header=BB6_1738 Depth=3
	s_delay_alu instid0(SALU_CYCLE_1)
	s_and_b32 vcc_lo, exec_lo, s13
	s_cbranch_vccz .LBB6_1869
; %bb.1843:                             ;   in Loop: Header=BB6_1738 Depth=3
	s_mov_b32 s13, -1
	s_and_saveexec_b32 s14, s10
	s_cbranch_execz .LBB6_1845
; %bb.1844:                             ;   in Loop: Header=BB6_1738 Depth=3
	ds_load_b32 v8, v0 offset:720
	s_wait_dscnt 0x0
	v_and_b32_e32 v8, 15, v8
	s_delay_alu instid0(VALU_DEP_1)
	v_cmp_eq_u32_e32 vcc_lo, 0, v8
	s_or_not1_b32 s13, vcc_lo, exec_lo
.LBB6_1845:                             ;   in Loop: Header=BB6_1738 Depth=3
	s_or_b32 exec_lo, exec_lo, s14
	s_and_saveexec_b32 s14, s7
	s_cbranch_execz .LBB6_1847
; %bb.1846:                             ;   in Loop: Header=BB6_1738 Depth=3
	ds_load_b32 v8, v0 offset:784
	s_wait_dscnt 0x0
	v_and_b32_e32 v8, 15, v8
	s_delay_alu instid0(VALU_DEP_1) | instskip(SKIP_3) | instid1(SALU_CYCLE_1)
	v_cmp_eq_u32_e32 vcc_lo, 0, v8
	s_and_b32 s15, s13, vcc_lo
	s_and_not1_b32 s13, s13, exec_lo
	s_and_b32 s15, s15, exec_lo
	s_or_b32 s13, s13, s15
.LBB6_1847:                             ;   in Loop: Header=BB6_1738 Depth=3
	s_or_b32 exec_lo, exec_lo, s14
	s_xor_b32 s13, s13, -1
	v_mov_b32_e32 v15, 0
	v_cndmask_b32_e64 v8, 0, 1, s13
	s_mov_b32 s15, -1
	s_delay_alu instid0(VALU_DEP_1)
	v_cmp_ne_u32_e32 vcc_lo, 0, v8
	s_cbranch_vccz .LBB6_1849
; %bb.1848:                             ;   in Loop: Header=BB6_1738 Depth=3
	v_mov_b32_e32 v40, v0
	s_and_saveexec_b32 s13, s15
	s_cbranch_execnz .LBB6_1860
	s_branch .LBB6_1868
.LBB6_1849:                             ;   in Loop: Header=BB6_1738 Depth=3
	v_ashrrev_i32_e32 v8, 31, v13
	s_mov_b32 s13, exec_lo
	s_delay_alu instid0(VALU_DEP_1) | instskip(NEXT) | instid1(VALU_DEP_1)
	v_lshrrev_b32_e32 v8, 21, v8
	v_add_nc_u32_e32 v8, v13, v8
	s_delay_alu instid0(VALU_DEP_1) | instskip(NEXT) | instid1(VALU_DEP_1)
	v_ashrrev_i32_e32 v15, 11, v8
	v_sub_nc_u32_e32 v118, v15, v62
	s_delay_alu instid0(VALU_DEP_1)
	v_cmpx_lt_i32_e32 0, v118
	s_cbranch_execz .LBB6_1853
; %bb.1850:                             ;   in Loop: Header=BB6_1738 Depth=3
	v_mov_b64_e32 v[8:9], v[116:117]
	v_mov_b64_e32 v[10:11], v[114:115]
	s_mov_b32 s14, 0
.LBB6_1851:                             ;   Parent Loop BB6_47 Depth=1
                                        ;     Parent Loop BB6_1735 Depth=2
                                        ;       Parent Loop BB6_1738 Depth=3
                                        ; =>      This Inner Loop Header: Depth=4
	s_delay_alu instid0(VALU_DEP_1)
	v_add_nc_u64_e32 v[44:45], v[70:71], v[10:11]
	v_sub_nc_u32_e32 v118, v118, v36
	v_add_nc_u64_e32 v[10:11], v[10:11], v[52:53]
	s_clause 0x3
	global_load_b128 v[40:43], v[44:45], off th:TH_LOAD_NT
	global_load_b128 v[56:59], v[44:45], off offset:512 th:TH_LOAD_NT
	global_load_b128 v[74:77], v[44:45], off offset:1024 th:TH_LOAD_NT
	;; [unrolled: 1-line block ×3, first 2 shown]
	s_wait_xcnt 0x0
	v_add_nc_u64_e32 v[44:45], v[70:71], v[8:9]
	v_cmp_gt_i32_e32 vcc_lo, 1, v118
	v_add_nc_u64_e32 v[8:9], v[8:9], v[52:53]
	s_wait_loadcnt 0x3
	global_store_b128 v[44:45], v[40:43], off th:TH_STORE_NT
	s_wait_loadcnt 0x2
	global_store_b128 v[44:45], v[56:59], off offset:512 th:TH_STORE_NT
	s_wait_loadcnt 0x1
	global_store_b128 v[44:45], v[74:77], off offset:1024 th:TH_STORE_NT
	;; [unrolled: 2-line block ×3, first 2 shown]
	s_or_b32 s14, vcc_lo, s14
	s_wait_xcnt 0x0
	s_and_not1_b32 exec_lo, exec_lo, s14
	s_cbranch_execnz .LBB6_1851
; %bb.1852:                             ;   in Loop: Header=BB6_1738 Depth=3
	s_or_b32 exec_lo, exec_lo, s14
.LBB6_1853:                             ;   in Loop: Header=BB6_1738 Depth=3
	s_delay_alu instid0(SALU_CYCLE_1) | instskip(SKIP_3) | instid1(VALU_DEP_1)
	s_or_b32 exec_lo, exec_lo, s13
	v_dual_mov_b32 v15, 0 :: v_dual_lshlrev_b32 v10, 11, v15
	s_mov_b32 s15, 0
	s_mov_b32 s14, exec_lo
                                        ; implicit-def: $vgpr40
	v_cmpx_ne_u32_e64 v13, v10
	s_cbranch_execz .LBB6_1859
; %bb.1854:                             ;   in Loop: Header=BB6_1738 Depth=3
	v_lshlrev_b32_e32 v8, 5, v118
	v_sub_nc_u32_e32 v119, v13, v10
	s_mov_b32 s15, exec_lo
	s_delay_alu instid0(VALU_DEP_1) | instskip(NEXT) | instid1(VALU_DEP_1)
	v_dual_sub_nc_u32 v8, v61, v8 :: v_dual_ashrrev_i32 v11, 31, v119
	v_dual_ashrrev_i32 v9, 31, v8 :: v_dual_lshrrev_b32 v11, 23, v11
	s_delay_alu instid0(VALU_DEP_1) | instskip(NEXT) | instid1(VALU_DEP_1)
	v_lshrrev_b32_e32 v9, 27, v9
	v_dual_add_nc_u32 v9, v8, v9 :: v_dual_add_nc_u32 v40, v119, v11
	s_delay_alu instid0(VALU_DEP_1) | instskip(NEXT) | instid1(VALU_DEP_1)
	v_and_b32_e32 v15, 0xffffffe0, v9
	v_dual_ashrrev_i32 v9, 5, v9 :: v_dual_sub_nc_u32 v11, v8, v15
	s_delay_alu instid0(VALU_DEP_3) | instskip(NEXT) | instid1(VALU_DEP_1)
	v_and_b32_e32 v15, 0xfffffe00, v40
	v_dual_ashrrev_i32 v40, 9, v40 :: v_dual_sub_nc_u32 v118, v119, v15
	s_delay_alu instid0(VALU_DEP_3) | instskip(NEXT) | instid1(VALU_DEP_2)
	v_lshlrev_b32_e32 v8, 4, v11
	v_cmp_lt_i32_e32 vcc_lo, 15, v118
	s_delay_alu instid0(VALU_DEP_2) | instskip(NEXT) | instid1(VALU_DEP_4)
	v_lshl_add_u32 v8, v9, 9, v8
	v_add_co_ci_u32_e64 v41, null, 0, v40, vcc_lo
	s_delay_alu instid0(VALU_DEP_1) | instskip(NEXT) | instid1(VALU_DEP_1)
	v_dual_sub_nc_u32 v40, v119, v8 :: v_dual_sub_nc_u32 v119, v41, v9
	v_cmpx_lt_i32_e32 15, v40
	s_cbranch_execz .LBB6_1858
; %bb.1855:                             ;   in Loop: Header=BB6_1738 Depth=3
	v_add_nc_u32_e32 v8, v8, v10
	s_mov_b32 s40, 0
	s_delay_alu instid0(VALU_DEP_1)
	v_ashrrev_i32_e32 v9, 31, v8
.LBB6_1856:                             ;   Parent Loop BB6_47 Depth=1
                                        ;     Parent Loop BB6_1735 Depth=2
                                        ;       Parent Loop BB6_1738 Depth=3
                                        ; =>      This Inner Loop Header: Depth=4
	s_delay_alu instid0(VALU_DEP_1) | instskip(SKIP_3) | instid1(VALU_DEP_3)
	v_add_nc_u64_e32 v[42:43], v[114:115], v[8:9]
	v_dual_sub_nc_u32 v40, v40, v54 :: v_dual_sub_nc_u32 v119, v119, v36
	v_add_nc_u64_e32 v[56:57], v[116:117], v[8:9]
	v_add_nc_u64_e32 v[8:9], v[8:9], v[54:55]
	v_cmp_gt_i32_e64 s13, 16, v40
	global_load_b128 v[42:45], v[42:43], off th:TH_LOAD_NT
	s_or_b32 s40, s13, s40
	s_wait_loadcnt 0x0
	global_store_b128 v[56:57], v[42:45], off th:TH_STORE_NT
	s_wait_xcnt 0x0
	s_and_not1_b32 exec_lo, exec_lo, s40
	s_cbranch_execnz .LBB6_1856
; %bb.1857:                             ;   in Loop: Header=BB6_1738 Depth=3
	s_or_b32 exec_lo, exec_lo, s40
.LBB6_1858:                             ;   in Loop: Header=BB6_1738 Depth=3
	s_delay_alu instid0(SALU_CYCLE_1) | instskip(NEXT) | instid1(VALU_DEP_2)
	s_or_b32 exec_lo, exec_lo, s15
	v_cmp_lt_i32_e64 s13, 0, v119
	s_delay_alu instid0(VALU_DEP_1) | instskip(NEXT) | instid1(VALU_DEP_1)
	v_dual_cndmask_b32 v40, 0, v36, s13 :: v_dual_bitop2_b32 v8, 14, v13 bitop3:0x40
	v_dual_sub_nc_u32 v9, v118, v8 :: v_dual_cndmask_b32 v13, v118, v8, vcc_lo
	s_delay_alu instid0(VALU_DEP_1) | instskip(NEXT) | instid1(VALU_DEP_2)
	v_dual_cndmask_b32 v8, 0, v9 :: v_dual_sub_nc_u32 v9, v40, v119
	v_cmp_ne_u32_e32 vcc_lo, 0, v13
	s_delay_alu instid0(VALU_DEP_2) | instskip(NEXT) | instid1(VALU_DEP_3)
	v_add3_u32 v15, v15, v10, v8
	v_lshl_add_u32 v40, v9, 5, v11
	s_and_b32 s15, vcc_lo, exec_lo
.LBB6_1859:                             ;   in Loop: Header=BB6_1738 Depth=3
	s_or_b32 exec_lo, exec_lo, s14
	s_and_saveexec_b32 s13, s15
	s_cbranch_execz .LBB6_1868
.LBB6_1860:                             ;   in Loop: Header=BB6_1738 Depth=3
	s_delay_alu instid0(VALU_DEP_1) | instskip(SKIP_1) | instid1(VALU_DEP_1)
	v_dual_ashrrev_i32 v8, 31, v40 :: v_dual_ashrrev_i32 v9, 31, v13
	s_mov_b32 s14, exec_lo
	v_dual_lshrrev_b32 v8, 27, v8 :: v_dual_lshrrev_b32 v9, 23, v9
	s_delay_alu instid0(VALU_DEP_1) | instskip(NEXT) | instid1(VALU_DEP_1)
	v_dual_add_nc_u32 v8, v40, v8 :: v_dual_add_nc_u32 v9, v13, v9
	v_dual_ashrrev_i32 v41, 5, v8 :: v_dual_ashrrev_i32 v43, 9, v9
	s_delay_alu instid0(VALU_DEP_1) | instskip(NEXT) | instid1(VALU_DEP_1)
	v_sub_nc_u32_e32 v42, v43, v41
	v_cmpx_lt_i32_e32 0, v42
	s_cbranch_execz .LBB6_1864
; %bb.1861:                             ;   in Loop: Header=BB6_1738 Depth=3
	v_and_b32_e32 v8, 0x7fffffe0, v8
	v_mov_b64_e32 v[10:11], v[116:117]
	v_mov_b64_e32 v[118:119], v[114:115]
	s_mov_b32 s15, 0
	s_delay_alu instid0(VALU_DEP_3) | instskip(NEXT) | instid1(VALU_DEP_1)
	v_dual_lshlrev_b32 v9, 9, v41 :: v_dual_sub_nc_u32 v8, v40, v8
	v_lshlrev_b32_e32 v8, 1, v8
	s_delay_alu instid0(VALU_DEP_1) | instskip(NEXT) | instid1(VALU_DEP_1)
	v_add3_u32 v8, v8, v15, v9
	v_ashrrev_i32_e32 v9, 31, v8
.LBB6_1862:                             ;   Parent Loop BB6_47 Depth=1
                                        ;     Parent Loop BB6_1735 Depth=2
                                        ;       Parent Loop BB6_1738 Depth=3
                                        ; =>      This Inner Loop Header: Depth=4
	s_delay_alu instid0(VALU_DEP_1)
	v_add_nc_u64_e32 v[44:45], v[8:9], v[118:119]
	v_sub_nc_u32_e32 v42, v42, v36
	v_add_nc_u64_e32 v[118:119], v[118:119], v[54:55]
	s_clause 0x7
	flat_load_u16 v47, v[44:45] th:TH_LOAD_NT
	flat_load_u16 v56, v[44:45] offset:64 th:TH_LOAD_NT
	flat_load_u16 v57, v[44:45] offset:128 th:TH_LOAD_NT
	;; [unrolled: 1-line block ×7, first 2 shown]
	s_wait_xcnt 0x0
	v_add_nc_u64_e32 v[44:45], v[8:9], v[10:11]
	v_add_nc_u64_e32 v[10:11], v[10:11], v[54:55]
	v_cmp_gt_i32_e32 vcc_lo, 1, v42
	s_wait_loadcnt_dscnt 0x707
	flat_store_b16 v[44:45], v47 th:TH_STORE_NT
	s_wait_loadcnt_dscnt 0x607
	flat_store_b16 v[44:45], v56 offset:64 th:TH_STORE_NT
	s_wait_loadcnt_dscnt 0x507
	flat_store_b16 v[44:45], v57 offset:128 th:TH_STORE_NT
	;; [unrolled: 2-line block ×7, first 2 shown]
	s_or_b32 s15, vcc_lo, s15
	s_wait_xcnt 0x0
	s_and_not1_b32 exec_lo, exec_lo, s15
	s_cbranch_execnz .LBB6_1862
; %bb.1863:                             ;   in Loop: Header=BB6_1738 Depth=3
	s_or_b32 exec_lo, exec_lo, s15
.LBB6_1864:                             ;   in Loop: Header=BB6_1738 Depth=3
	s_delay_alu instid0(SALU_CYCLE_1) | instskip(SKIP_1) | instid1(VALU_DEP_1)
	s_or_b32 exec_lo, exec_lo, s14
	v_lshlrev_b32_e32 v8, 9, v43
	v_cmp_ne_u32_e32 vcc_lo, v13, v8
	s_and_b32 exec_lo, exec_lo, vcc_lo
	s_cbranch_execz .LBB6_1868
; %bb.1865:                             ;   in Loop: Header=BB6_1738 Depth=3
	v_dual_lshlrev_b32 v9, 5, v41 :: v_dual_lshlrev_b32 v10, 5, v42
	s_delay_alu instid0(VALU_DEP_1) | instskip(NEXT) | instid1(VALU_DEP_1)
	v_sub_nc_u32_e32 v9, v40, v9
	v_sub_nc_u32_e32 v9, v9, v10
	s_delay_alu instid0(VALU_DEP_1) | instskip(NEXT) | instid1(VALU_DEP_1)
	v_ashrrev_i32_e32 v10, 31, v9
	v_lshrrev_b32_e32 v10, 27, v10
	s_delay_alu instid0(VALU_DEP_1) | instskip(NEXT) | instid1(VALU_DEP_1)
	v_add_nc_u32_e32 v10, v9, v10
	v_and_b32_e32 v11, 0x7fffffe0, v10
	s_delay_alu instid0(VALU_DEP_1) | instskip(NEXT) | instid1(VALU_DEP_1)
	v_dual_lshlrev_b32 v10, 1, v10 :: v_dual_sub_nc_u32 v9, v9, v11
	v_and_b32_e32 v10, 0xffffffc0, v10
	s_delay_alu instid0(VALU_DEP_2) | instskip(NEXT) | instid1(VALU_DEP_1)
	v_lshlrev_b32_e32 v9, 1, v9
	v_add3_u32 v8, v10, v9, v8
	s_delay_alu instid0(VALU_DEP_1) | instskip(NEXT) | instid1(VALU_DEP_1)
	v_sub_nc_u32_e32 v10, v13, v8
	v_cmp_lt_i32_e32 vcc_lo, 1, v10
	s_and_b32 exec_lo, exec_lo, vcc_lo
	s_cbranch_execz .LBB6_1868
; %bb.1866:                             ;   in Loop: Header=BB6_1738 Depth=3
	v_add_nc_u32_e32 v8, v8, v15
	s_mov_b32 s14, 0
	s_delay_alu instid0(VALU_DEP_1)
	v_ashrrev_i32_e32 v9, 31, v8
.LBB6_1867:                             ;   Parent Loop BB6_47 Depth=1
                                        ;     Parent Loop BB6_1735 Depth=2
                                        ;       Parent Loop BB6_1738 Depth=3
                                        ; =>      This Inner Loop Header: Depth=4
	s_delay_alu instid0(VALU_DEP_1) | instskip(SKIP_1) | instid1(VALU_DEP_1)
	v_add_nc_u64_e32 v[118:119], v[114:115], v[8:9]
	v_sub_nc_u32_e32 v10, v10, v64
	v_cmp_gt_i32_e32 vcc_lo, 2, v10
	flat_load_u16 v11, v[118:119] th:TH_LOAD_NT
	s_wait_xcnt 0x0
	v_add_nc_u64_e32 v[118:119], v[116:117], v[8:9]
	v_add_nc_u64_e32 v[8:9], v[8:9], v[64:65]
	s_or_b32 s14, vcc_lo, s14
	s_wait_loadcnt_dscnt 0x0
	flat_store_b16 v[118:119], v11 th:TH_STORE_NT
	s_wait_xcnt 0x0
	s_and_not1_b32 exec_lo, exec_lo, s14
	s_cbranch_execnz .LBB6_1867
.LBB6_1868:                             ;   in Loop: Header=BB6_1738 Depth=3
	s_or_b32 exec_lo, exec_lo, s13
.LBB6_1869:                             ;   in Loop: Header=BB6_1738 Depth=3
	v_cmp_lt_i32_e64 s13, 0, v2
	s_and_saveexec_b32 s14, s2
	s_cbranch_execz .LBB6_1814
.LBB6_1870:                             ;   in Loop: Header=BB6_1738 Depth=3
	s_and_saveexec_b32 s15, s3
	s_delay_alu instid0(SALU_CYCLE_1)
	s_xor_b32 s15, exec_lo, s15
	s_cbranch_execz .LBB6_1885
; %bb.1871:                             ;   in Loop: Header=BB6_1738 Depth=3
	s_and_saveexec_b32 s40, s6
	s_cbranch_execz .LBB6_1884
; %bb.1872:                             ;   in Loop: Header=BB6_1738 Depth=3
	s_mov_b32 s63, exec_lo
	s_mov_b32 s41, exec_lo
	v_mbcnt_lo_u32_b32 v2, s63, 0
	global_wb scope:SCOPE_DEV
	s_wait_storecnt 0x0
	s_wait_loadcnt_dscnt 0x0
	global_inv scope:SCOPE_DEV
	v_cmpx_eq_u32_e32 0, v2
	s_cbranch_execz .LBB6_1874
; %bb.1873:                             ;   in Loop: Header=BB6_1738 Depth=3
	s_bcnt1_i32_b32 s63, s63
	s_delay_alu instid0(SALU_CYCLE_1)
	v_mov_b32_e32 v2, s63
	s_wait_loadcnt 0x0
	ds_add_u64 v0, v[2:3]
	s_trap 2
.LBB6_1874:                             ;   in Loop: Header=BB6_1738 Depth=3
	s_or_b32 exec_lo, exec_lo, s41
	s_trap 2
	ds_load_b64 v[8:9], v0
	s_wait_dscnt 0x0
	v_add_nc_u64_e32 v[32:33], v[32:33], v[36:37]
	s_mov_b32 s41, exec_lo
	s_delay_alu instid0(VALU_DEP_1)
	v_cmpx_lt_u64_e64 v[8:9], v[32:33]
	s_cbranch_execz .LBB6_1883
; %bb.1875:                             ;   in Loop: Header=BB6_1738 Depth=3
	s_mov_b32 s63, 0
	s_mov_b32 s74, 0
                                        ; implicit-def: $sgpr72
                                        ; implicit-def: $sgpr73
	s_branch .LBB6_1877
.LBB6_1876:                             ;   in Loop: Header=BB6_1877 Depth=4
	s_or_b32 exec_lo, exec_lo, s76
	s_delay_alu instid0(SALU_CYCLE_1) | instskip(NEXT) | instid1(SALU_CYCLE_1)
	s_and_b32 s75, exec_lo, s77
	s_or_b32 s63, s75, s63
	s_and_not1_b32 s72, s72, exec_lo
	s_and_b32 s75, s73, exec_lo
	s_delay_alu instid0(SALU_CYCLE_1)
	s_or_b32 s72, s72, s75
	s_and_not1_b32 exec_lo, exec_lo, s63
	s_cbranch_execz .LBB6_1881
.LBB6_1877:                             ;   Parent Loop BB6_47 Depth=1
                                        ;     Parent Loop BB6_1735 Depth=2
                                        ;       Parent Loop BB6_1738 Depth=3
                                        ; =>      This Inner Loop Header: Depth=4
	s_add_co_i32 s74, s74, 1
	s_delay_alu instid0(SALU_CYCLE_1) | instskip(SKIP_1) | instid1(SALU_CYCLE_1)
	s_cmp_lg_u32 s74, 0x2710
	s_cselect_b32 s75, -1, 0
	s_and_b32 vcc_lo, exec_lo, s75
	s_cbranch_vccz .LBB6_1879
; %bb.1878:                             ;   in Loop: Header=BB6_1877 Depth=4
	s_mov_b32 s77, -1
	s_or_b32 s73, s73, exec_lo
	s_and_saveexec_b32 s76, s75
	s_cbranch_execz .LBB6_1876
	s_branch .LBB6_1880
.LBB6_1879:                             ;   in Loop: Header=BB6_1877 Depth=4
	s_trap 2
	ds_load_b64 v[8:9], v0
	s_and_not1_b32 s75, s75, exec_lo
	s_mov_b32 s74, 0
	s_wait_loadcnt_dscnt 0x0
	flat_load_b32 v2, v[8:9] scope:SCOPE_SYS
	s_wait_loadcnt_dscnt 0x0
	global_inv scope:SCOPE_SYS
	v_cmp_eq_u32_e32 vcc_lo, 0, v2
	s_and_b32 s76, vcc_lo, exec_lo
	s_delay_alu instid0(SALU_CYCLE_1)
	s_or_b32 s75, s75, s76
	s_mov_b32 s77, -1
	s_or_b32 s73, s73, exec_lo
	s_and_saveexec_b32 s76, s75
	s_cbranch_execz .LBB6_1876
.LBB6_1880:                             ;   in Loop: Header=BB6_1877 Depth=4
	s_sleep 1
	s_trap 2
	ds_load_b64 v[8:9], v0
	s_wait_dscnt 0x0
	s_and_not1_b32 s73, s73, exec_lo
	v_cmp_ge_u64_e32 vcc_lo, v[8:9], v[32:33]
	s_or_not1_b32 s77, vcc_lo, exec_lo
	s_branch .LBB6_1876
.LBB6_1881:                             ;   in Loop: Header=BB6_1738 Depth=3
	s_or_b32 exec_lo, exec_lo, s63
	s_and_saveexec_b32 s63, s72
	s_delay_alu instid0(SALU_CYCLE_1)
	s_xor_b32 s63, exec_lo, s63
	s_cbranch_execz .LBB6_1883
; %bb.1882:                             ;   in Loop: Header=BB6_1738 Depth=3
	ds_store_b32 v0, v63
	s_trap 2
.LBB6_1883:                             ;   in Loop: Header=BB6_1738 Depth=3
	s_or_b32 exec_lo, exec_lo, s41
	;;#ASMSTART
	s_wakeup
	;;#ASMEND
.LBB6_1884:                             ;   in Loop: Header=BB6_1738 Depth=3
	s_or_b32 exec_lo, exec_lo, s40
.LBB6_1885:                             ;   in Loop: Header=BB6_1738 Depth=3
	s_and_not1_saveexec_b32 s15, s15
	s_cbranch_execz .LBB6_1887
; %bb.1886:                             ;   in Loop: Header=BB6_1738 Depth=3
	global_wb scope:SCOPE_DEV
	s_wait_storecnt 0x0
	s_wait_loadcnt_dscnt 0x0
	global_inv scope:SCOPE_DEV
	s_barrier_signal -1
	s_barrier_wait -1
.LBB6_1887:                             ;   in Loop: Header=BB6_1738 Depth=3
	s_or_b32 exec_lo, exec_lo, s15
	s_delay_alu instid0(SALU_CYCLE_1) | instskip(SKIP_1) | instid1(SALU_CYCLE_1)
	s_or_b32 exec_lo, exec_lo, s14
                                        ; implicit-def: $vgpr2
	s_and_saveexec_b32 s14, s12
	s_xor_b32 s14, exec_lo, s14
	s_cbranch_execnz .LBB6_1815
.LBB6_1888:                             ;   in Loop: Header=BB6_1738 Depth=3
	s_and_not1_saveexec_b32 s13, s14
	s_cbranch_execz .LBB6_1907
.LBB6_1889:                             ;   in Loop: Header=BB6_1738 Depth=3
	s_and_saveexec_b32 s14, s3
	s_delay_alu instid0(SALU_CYCLE_1)
	s_xor_b32 s14, exec_lo, s14
	s_cbranch_execz .LBB6_1904
; %bb.1890:                             ;   in Loop: Header=BB6_1738 Depth=3
	s_and_saveexec_b32 s15, s6
	s_cbranch_execz .LBB6_1903
; %bb.1891:                             ;   in Loop: Header=BB6_1738 Depth=3
	s_mov_b32 s41, exec_lo
	s_mov_b32 s40, exec_lo
	v_mbcnt_lo_u32_b32 v2, s41, 0
	;;#ASMSTART
	s_waitcnt lgkmcnt(0) vmcnt(0)
	;;#ASMEND
	s_delay_alu instid0(VALU_DEP_1)
	v_cmpx_eq_u32_e32 0, v2
	s_cbranch_execz .LBB6_1893
; %bb.1892:                             ;   in Loop: Header=BB6_1738 Depth=3
	s_bcnt1_i32_b32 s41, s41
	s_delay_alu instid0(SALU_CYCLE_1)
	v_mov_b32_e32 v2, s41
	s_wait_storecnt 0x0
	s_wait_loadcnt_dscnt 0x0
	ds_add_u64 v0, v[2:3]
	s_trap 2
.LBB6_1893:                             ;   in Loop: Header=BB6_1738 Depth=3
	s_or_b32 exec_lo, exec_lo, s40
	s_trap 2
	ds_load_b64 v[8:9], v0
	s_wait_dscnt 0x0
	v_add_nc_u64_e32 v[32:33], v[32:33], v[36:37]
	s_mov_b32 s40, exec_lo
	s_delay_alu instid0(VALU_DEP_1)
	v_cmpx_lt_u64_e64 v[8:9], v[32:33]
	s_cbranch_execz .LBB6_1902
; %bb.1894:                             ;   in Loop: Header=BB6_1738 Depth=3
	s_mov_b32 s41, 0
	s_mov_b32 s73, 0
                                        ; implicit-def: $sgpr63
                                        ; implicit-def: $sgpr72
	s_branch .LBB6_1896
.LBB6_1895:                             ;   in Loop: Header=BB6_1896 Depth=4
	s_or_b32 exec_lo, exec_lo, s75
	s_delay_alu instid0(SALU_CYCLE_1) | instskip(NEXT) | instid1(SALU_CYCLE_1)
	s_and_b32 s74, exec_lo, s76
	s_or_b32 s41, s74, s41
	s_and_not1_b32 s63, s63, exec_lo
	s_and_b32 s74, s72, exec_lo
	s_delay_alu instid0(SALU_CYCLE_1)
	s_or_b32 s63, s63, s74
	s_and_not1_b32 exec_lo, exec_lo, s41
	s_cbranch_execz .LBB6_1900
.LBB6_1896:                             ;   Parent Loop BB6_47 Depth=1
                                        ;     Parent Loop BB6_1735 Depth=2
                                        ;       Parent Loop BB6_1738 Depth=3
                                        ; =>      This Inner Loop Header: Depth=4
	s_add_co_i32 s73, s73, 1
	s_delay_alu instid0(SALU_CYCLE_1) | instskip(SKIP_1) | instid1(SALU_CYCLE_1)
	s_cmp_lg_u32 s73, 0x2710
	s_cselect_b32 s74, -1, 0
	s_and_b32 vcc_lo, exec_lo, s74
	s_cbranch_vccz .LBB6_1898
; %bb.1897:                             ;   in Loop: Header=BB6_1896 Depth=4
	s_mov_b32 s76, -1
	s_or_b32 s72, s72, exec_lo
	s_and_saveexec_b32 s75, s74
	s_cbranch_execz .LBB6_1895
	s_branch .LBB6_1899
.LBB6_1898:                             ;   in Loop: Header=BB6_1896 Depth=4
	s_trap 2
	ds_load_b64 v[8:9], v0
	s_and_not1_b32 s74, s74, exec_lo
	s_mov_b32 s73, 0
	s_wait_storecnt 0x0
	s_wait_loadcnt_dscnt 0x0
	flat_load_b32 v2, v[8:9] scope:SCOPE_SYS
	s_wait_loadcnt_dscnt 0x0
	global_inv scope:SCOPE_SYS
	v_cmp_eq_u32_e32 vcc_lo, 0, v2
	s_and_b32 s75, vcc_lo, exec_lo
	s_delay_alu instid0(SALU_CYCLE_1)
	s_or_b32 s74, s74, s75
	s_mov_b32 s76, -1
	s_or_b32 s72, s72, exec_lo
	s_and_saveexec_b32 s75, s74
	s_cbranch_execz .LBB6_1895
.LBB6_1899:                             ;   in Loop: Header=BB6_1896 Depth=4
	s_sleep 1
	s_trap 2
	ds_load_b64 v[8:9], v0
	s_wait_dscnt 0x0
	s_and_not1_b32 s72, s72, exec_lo
	v_cmp_ge_u64_e32 vcc_lo, v[8:9], v[32:33]
	s_or_not1_b32 s76, vcc_lo, exec_lo
	s_branch .LBB6_1895
.LBB6_1900:                             ;   in Loop: Header=BB6_1738 Depth=3
	s_or_b32 exec_lo, exec_lo, s41
	s_and_saveexec_b32 s41, s63
	s_delay_alu instid0(SALU_CYCLE_1)
	s_xor_b32 s41, exec_lo, s41
	s_cbranch_execz .LBB6_1902
; %bb.1901:                             ;   in Loop: Header=BB6_1738 Depth=3
	ds_store_b32 v0, v63
	s_trap 2
.LBB6_1902:                             ;   in Loop: Header=BB6_1738 Depth=3
	s_or_b32 exec_lo, exec_lo, s40
	;;#ASMSTART
	s_wakeup
	;;#ASMEND
.LBB6_1903:                             ;   in Loop: Header=BB6_1738 Depth=3
	s_or_b32 exec_lo, exec_lo, s15
.LBB6_1904:                             ;   in Loop: Header=BB6_1738 Depth=3
	s_and_not1_saveexec_b32 s14, s14
	s_cbranch_execz .LBB6_1906
; %bb.1905:                             ;   in Loop: Header=BB6_1738 Depth=3
	;;#ASMSTART
	s_waitcnt lgkmcnt(0) vmcnt(0)
	;;#ASMEND
	s_barrier_signal -1
	s_barrier_wait -1
.LBB6_1906:                             ;   in Loop: Header=BB6_1738 Depth=3
	s_or_b32 exec_lo, exec_lo, s14
	v_and_b32_e32 v2, 16, v30
.LBB6_1907:                             ;   in Loop: Header=BB6_1738 Depth=3
	s_or_b32 exec_lo, exec_lo, s13
	s_delay_alu instid0(VALU_DEP_1) | instskip(SKIP_1) | instid1(SALU_CYCLE_1)
	v_cmp_ne_u32_e32 vcc_lo, 0, v2
	s_xor_b32 s13, s4, -1
	s_and_b32 s14, vcc_lo, s13
	s_delay_alu instid0(SALU_CYCLE_1)
	s_and_saveexec_b32 s13, s14
	s_cbranch_execz .LBB6_1909
; %bb.1908:                             ;   in Loop: Header=BB6_1738 Depth=3
	global_wb scope:SCOPE_SYS
	s_wait_storecnt 0x0
	s_wait_loadcnt_dscnt 0x0
	flat_store_b32 v[28:29], v63 scope:SCOPE_SYS
.LBB6_1909:                             ;   in Loop: Header=BB6_1738 Depth=3
	s_wait_xcnt 0x0
	s_or_b32 exec_lo, exec_lo, s13
	v_and_b32_e32 v2, 48, v30
	s_mov_b32 s13, exec_lo
	s_delay_alu instid0(VALU_DEP_1)
	v_cmpx_ne_u32_e32 0, v2
	s_cbranch_execz .LBB6_1737
; %bb.1910:                             ;   in Loop: Header=BB6_1738 Depth=3
	v_add_nc_u64_e32 v[98:99], 2, v[98:99]
	global_wb scope:SCOPE_SYS
	s_wait_storecnt 0x0
	s_wait_loadcnt_dscnt 0x0
	flat_store_b64 v[22:23], v[98:99] scope:SCOPE_SYS
	s_branch .LBB6_1737
.LBB6_1911:                             ;   in Loop: Header=BB6_1735 Depth=2
	s_or_b32 exec_lo, exec_lo, s60
.LBB6_1912:                             ;   in Loop: Header=BB6_1735 Depth=2
	s_delay_alu instid0(SALU_CYCLE_1) | instskip(NEXT) | instid1(SALU_CYCLE_1)
	s_or_b32 exec_lo, exec_lo, s27
	s_mov_b32 s14, exec_lo
	v_cmpx_gt_i32_e32 2, v2
	s_cbranch_execz .LBB6_1988
; %bb.1913:                             ;   in Loop: Header=BB6_1735 Depth=2
	v_cmp_eq_u32_e64 s27, 0, v2
	s_mov_b32 s15, 0
	s_branch .LBB6_1915
.LBB6_1914:                             ;   in Loop: Header=BB6_1915 Depth=3
	s_wait_xcnt 0x0
	s_or_b32 exec_lo, exec_lo, s13
	v_add_nc_u32_e32 v14, v12, v14
	s_mov_b32 s27, 0
	s_and_not1_b32 exec_lo, exec_lo, s15
	s_cbranch_execz .LBB6_1987
.LBB6_1915:                             ;   Parent Loop BB6_47 Depth=1
                                        ;     Parent Loop BB6_1735 Depth=2
                                        ; =>    This Loop Header: Depth=3
                                        ;         Child Loop BB6_1921 Depth 4
                                        ;         Child Loop BB6_1949 Depth 4
	;; [unrolled: 1-line block ×3, first 2 shown]
	s_delay_alu instid0(VALU_DEP_1) | instskip(SKIP_2) | instid1(VALU_DEP_2)
	v_sub_nc_u32_e32 v2, v46, v14
	v_and_b32_e32 v8, 12, v30
	s_mov_b32 s40, exec_lo
	v_min_i32_e32 v12, v12, v2
	s_delay_alu instid0(VALU_DEP_2)
	v_cmpx_ne_u32_e32 0, v8
	s_cbranch_execz .LBB6_1941
; %bb.1916:                             ;   in Loop: Header=BB6_1915 Depth=3
	v_and_b32_e32 v2, 8, v30
	v_add_nc_u64_e32 v[8:9], 2, v[98:99]
	s_mov_b32 s41, exec_lo
	s_wait_loadcnt_dscnt 0x1
	s_delay_alu instid0(VALU_DEP_2) | instskip(NEXT) | instid1(VALU_DEP_1)
	v_add_nc_u64_e32 v[10:11], v[34:35], v[2:3]
	v_cmpx_lt_u64_e64 v[10:11], v[8:9]
	s_cbranch_execz .LBB6_1928
; %bb.1917:                             ;   in Loop: Header=BB6_1915 Depth=3
	v_and_b32_e32 v10, 64, v30
	s_mov_b32 s60, 0
	s_mov_b32 s72, 0
                                        ; implicit-def: $sgpr61
                                        ; implicit-def: $sgpr62
                                        ; implicit-def: $sgpr63
	s_delay_alu instid0(VALU_DEP_1)
	v_cmp_eq_u32_e32 vcc_lo, 0, v10
	s_branch .LBB6_1921
.LBB6_1918:                             ;   in Loop: Header=BB6_1921 Depth=4
	s_wait_loadcnt_dscnt 0x0
	v_add_nc_u64_e32 v[112:113], v[34:35], v[2:3]
	s_or_b32 s75, s75, exec_lo
	s_delay_alu instid0(VALU_DEP_1)
	v_cmp_ge_u64_e64 s13, v[112:113], v[8:9]
	s_or_not1_b32 s74, s13, exec_lo
.LBB6_1919:                             ;   in Loop: Header=BB6_1921 Depth=4
	s_or_b32 exec_lo, exec_lo, s77
	s_delay_alu instid0(SALU_CYCLE_1)
	s_and_not1_b32 s13, s63, exec_lo
	s_and_b32 s63, s75, exec_lo
	s_and_not1_b32 s62, s62, exec_lo
	s_and_b32 s74, s74, exec_lo
	s_or_b32 s63, s13, s63
	s_or_b32 s62, s62, s74
.LBB6_1920:                             ;   in Loop: Header=BB6_1921 Depth=4
	s_or_b32 exec_lo, exec_lo, s73
	s_delay_alu instid0(SALU_CYCLE_1) | instskip(NEXT) | instid1(SALU_CYCLE_1)
	s_and_b32 s13, exec_lo, s62
	s_or_b32 s60, s13, s60
	s_and_not1_b32 s13, s61, exec_lo
	s_and_b32 s61, s63, exec_lo
	s_delay_alu instid0(SALU_CYCLE_1)
	s_or_b32 s61, s13, s61
	s_and_not1_b32 exec_lo, exec_lo, s60
	s_cbranch_execz .LBB6_1925
.LBB6_1921:                             ;   Parent Loop BB6_47 Depth=1
                                        ;     Parent Loop BB6_1735 Depth=2
                                        ;       Parent Loop BB6_1915 Depth=3
                                        ; =>      This Inner Loop Header: Depth=4
	s_sleep 1
	s_wait_loadcnt_dscnt 0x0
	flat_load_b64 v[34:35], v[22:23] scope:SCOPE_SYS
	s_or_b32 s63, s63, exec_lo
	s_or_b32 s62, s62, exec_lo
                                        ; implicit-def: $vgpr10
	s_wait_xcnt 0x0
	s_and_saveexec_b32 s73, vcc_lo
	s_cbranch_execz .LBB6_1920
; %bb.1922:                             ;   in Loop: Header=BB6_1921 Depth=4
	s_cmp_lt_i32 s72, 0x270f
	s_mov_b32 s74, -1
	s_cselect_b32 s76, -1, 0
	s_cmp_gt_i32 s72, 0x270e
	s_cbranch_scc0 .LBB6_1924
; %bb.1923:                             ;   in Loop: Header=BB6_1921 Depth=4
	s_trap 2
	ds_load_b64 v[10:11], v0
	s_and_not1_b32 s72, s76, exec_lo
	s_mov_b32 s75, 0
	s_wait_storecnt 0x0
	s_wait_loadcnt_dscnt 0x0
	flat_load_b32 v10, v[10:11] scope:SCOPE_SYS
	s_wait_loadcnt_dscnt 0x0
	global_inv scope:SCOPE_SYS
	v_cmp_eq_u32_e64 s13, 0, v10
	s_and_b32 s13, s13, exec_lo
	s_delay_alu instid0(SALU_CYCLE_1)
	s_or_b32 s76, s72, s13
	s_mov_b32 s72, 0
	s_and_saveexec_b32 s77, s76
	s_cbranch_execz .LBB6_1919
	s_branch .LBB6_1918
.LBB6_1924:                             ;   in Loop: Header=BB6_1921 Depth=4
	s_add_co_i32 s72, s72, 1
	s_mov_b32 s75, -1
                                        ; implicit-def: $vgpr10
	s_and_saveexec_b32 s77, s76
	s_cbranch_execz .LBB6_1919
	s_branch .LBB6_1918
.LBB6_1925:                             ;   in Loop: Header=BB6_1915 Depth=3
	s_or_b32 exec_lo, exec_lo, s60
	s_xor_b32 s13, s61, -1
	s_delay_alu instid0(SALU_CYCLE_1) | instskip(NEXT) | instid1(SALU_CYCLE_1)
	s_and_saveexec_b32 s60, s13
	s_xor_b32 s13, exec_lo, s60
	s_cbranch_execz .LBB6_1927
; %bb.1926:                             ;   in Loop: Header=BB6_1915 Depth=3
	v_or_b32_e32 v30, 64, v30
	s_wait_storecnt 0x0
	s_wait_loadcnt_dscnt 0x0
	ds_store_b32 v0, v10
	s_trap 2
.LBB6_1927:                             ;   in Loop: Header=BB6_1915 Depth=3
	s_or_b32 exec_lo, exec_lo, s13
.LBB6_1928:                             ;   in Loop: Header=BB6_1915 Depth=3
	s_delay_alu instid0(SALU_CYCLE_1) | instskip(SKIP_2) | instid1(VALU_DEP_1)
	s_or_b32 exec_lo, exec_lo, s41
	v_and_b32_e32 v10, 0x108, v30
	;;#ASMSTART
	s_wakeup
	;;#ASMEND
	v_cmp_ne_u32_e32 vcc_lo, 0x108, v10
                                        ; implicit-def: $vgpr10_vgpr11
	s_and_saveexec_b32 s13, vcc_lo
	s_delay_alu instid0(SALU_CYCLE_1)
	s_xor_b32 s13, exec_lo, s13
; %bb.1929:                             ;   in Loop: Header=BB6_1915 Depth=3
	v_dual_mov_b32 v11, v3 :: v_dual_bitop2_b32 v10, 7, v98 bitop3:0x40
                                        ; implicit-def: $vgpr98_vgpr99
; %bb.1930:                             ;   in Loop: Header=BB6_1915 Depth=3
	s_and_not1_saveexec_b32 s13, s13
	s_cbranch_execz .LBB6_1932
; %bb.1931:                             ;   in Loop: Header=BB6_1915 Depth=3
	v_dual_ashrrev_i32 v13, 31, v12 :: v_dual_bitop2_b32 v10, 7, v98 bitop3:0x40
	v_mov_b32_e32 v11, v3
	s_delay_alu instid0(VALU_DEP_2) | instskip(NEXT) | instid1(VALU_DEP_3)
	v_mad_nc_u64_u32 v[98:99], v10, 24, v[6:7]
	v_lshlrev_b64_e32 v[112:113], 1, v[12:13]
	flat_store_b64 v[98:99], v[112:113] offset:8
.LBB6_1932:                             ;   in Loop: Header=BB6_1915 Depth=3
	s_wait_xcnt 0x0
	s_or_b32 exec_lo, exec_lo, s13
	v_and_b32_e32 v13, 0x100, v30
	s_mov_b32 s13, -1
	s_mov_b32 s41, exec_lo
                                        ; implicit-def: $vgpr98_vgpr99
	s_delay_alu instid0(VALU_DEP_1)
	v_cmpx_ne_u32_e32 0, v13
	s_cbranch_execz .LBB6_1936
; %bb.1933:                             ;   in Loop: Header=BB6_1915 Depth=3
	v_mad_nc_u64_u32 v[112:113], v10, 24, v[6:7]
	s_mov_b32 s60, exec_lo
                                        ; implicit-def: $vgpr98_vgpr99
	s_delay_alu instid0(VALU_DEP_1)
	v_mad_u32 v113, v11, 24, v113
	flat_load_b32 v13, v[112:113]
	s_wait_loadcnt_dscnt 0x0
	v_cmp_ne_u32_e32 vcc_lo, 1, v13
	s_wait_xcnt 0x0
	v_cmpx_eq_u32_e32 1, v13
	s_cbranch_execz .LBB6_1935
; %bb.1934:                             ;   in Loop: Header=BB6_1915 Depth=3
	flat_load_b32 v98, v[112:113] offset:4 scope:SCOPE_SYS
	s_wait_loadcnt_dscnt 0x0
	v_ashrrev_i32_e32 v99, 31, v98
	s_delay_alu instid0(VALU_DEP_1)
	v_lshrrev_b64 v[98:99], 1, v[98:99]
.LBB6_1935:                             ;   in Loop: Header=BB6_1915 Depth=3
	s_wait_xcnt 0x0
	s_or_b32 exec_lo, exec_lo, s60
	s_delay_alu instid0(SALU_CYCLE_1)
	s_or_not1_b32 s13, vcc_lo, exec_lo
.LBB6_1936:                             ;   in Loop: Header=BB6_1915 Depth=3
	s_or_b32 exec_lo, exec_lo, s41
	s_and_saveexec_b32 s41, s13
; %bb.1937:                             ;   in Loop: Header=BB6_1915 Depth=3
	v_mul_u64_e32 v[98:99], v[10:11], v[24:25]
; %bb.1938:                             ;   in Loop: Header=BB6_1915 Depth=3
	s_or_b32 exec_lo, exec_lo, s41
	v_cmp_eq_u32_e32 vcc_lo, 0, v2
	v_and_b32_e32 v13, 0x2000, v30
	s_delay_alu instid0(VALU_DEP_3) | instskip(SKIP_2) | instid1(VALU_DEP_1)
	v_lshl_add_u64 v[10:11], v[98:99], 1, v[26:27]
	s_mov_b32 s13, exec_lo
	v_cndmask_b32_e32 v2, 0xd0, v73, vcc_lo
	v_add_nc_u32_e32 v2, v0, v2
	ds_store_b64 v2, v[10:11] offset:584
	v_cmpx_ne_u32_e32 0, v13
	s_cbranch_execz .LBB6_1940
; %bb.1939:                             ;   in Loop: Header=BB6_1915 Depth=3
	ds_load_b64 v[10:11], v0 offset:872
	s_wait_dscnt 0x0
	v_add_nc_u64_e32 v[10:11], 1, v[10:11]
	ds_store_b64 v0, v[10:11] offset:872
.LBB6_1940:                             ;   in Loop: Header=BB6_1915 Depth=3
	s_or_b32 exec_lo, exec_lo, s13
	v_mov_b64_e32 v[98:99], v[8:9]
.LBB6_1941:                             ;   in Loop: Header=BB6_1915 Depth=3
	s_or_b32 exec_lo, exec_lo, s40
	s_xor_b32 s13, s27, -1
	s_delay_alu instid0(SALU_CYCLE_1) | instskip(NEXT) | instid1(SALU_CYCLE_1)
	s_and_b32 s13, exec_lo, s13
	s_or_b32 s15, s13, s15
	s_and_saveexec_b32 s13, s2
	s_cbranch_execz .LBB6_1960
; %bb.1942:                             ;   in Loop: Header=BB6_1915 Depth=3
	s_and_saveexec_b32 s27, s3
	s_delay_alu instid0(SALU_CYCLE_1)
	s_xor_b32 s27, exec_lo, s27
	s_cbranch_execz .LBB6_1957
; %bb.1943:                             ;   in Loop: Header=BB6_1915 Depth=3
	s_and_saveexec_b32 s40, s6
	s_cbranch_execz .LBB6_1956
; %bb.1944:                             ;   in Loop: Header=BB6_1915 Depth=3
	s_mov_b32 s60, exec_lo
	s_mov_b32 s41, exec_lo
	v_mbcnt_lo_u32_b32 v2, s60, 0
	global_wb scope:SCOPE_DEV
	s_wait_storecnt 0x0
	s_wait_loadcnt_dscnt 0x0
	global_inv scope:SCOPE_DEV
	v_cmpx_eq_u32_e32 0, v2
	s_cbranch_execz .LBB6_1946
; %bb.1945:                             ;   in Loop: Header=BB6_1915 Depth=3
	s_bcnt1_i32_b32 s60, s60
	s_delay_alu instid0(SALU_CYCLE_1)
	v_mov_b32_e32 v2, s60
	s_wait_loadcnt 0x0
	ds_add_u64 v0, v[2:3]
	s_trap 2
.LBB6_1946:                             ;   in Loop: Header=BB6_1915 Depth=3
	s_or_b32 exec_lo, exec_lo, s41
	s_trap 2
	ds_load_b64 v[8:9], v0
	s_wait_dscnt 0x0
	v_add_nc_u64_e32 v[32:33], v[32:33], v[36:37]
	s_mov_b32 s41, exec_lo
	s_delay_alu instid0(VALU_DEP_1)
	v_cmpx_lt_u64_e64 v[8:9], v[32:33]
	s_cbranch_execz .LBB6_1955
; %bb.1947:                             ;   in Loop: Header=BB6_1915 Depth=3
	s_mov_b32 s60, 0
	s_mov_b32 s63, 0
                                        ; implicit-def: $sgpr61
                                        ; implicit-def: $sgpr62
	s_branch .LBB6_1949
.LBB6_1948:                             ;   in Loop: Header=BB6_1949 Depth=4
	s_or_b32 exec_lo, exec_lo, s73
	s_delay_alu instid0(SALU_CYCLE_1) | instskip(NEXT) | instid1(SALU_CYCLE_1)
	s_and_b32 s72, exec_lo, s74
	s_or_b32 s60, s72, s60
	s_and_not1_b32 s61, s61, exec_lo
	s_and_b32 s72, s62, exec_lo
	s_delay_alu instid0(SALU_CYCLE_1)
	s_or_b32 s61, s61, s72
	s_and_not1_b32 exec_lo, exec_lo, s60
	s_cbranch_execz .LBB6_1953
.LBB6_1949:                             ;   Parent Loop BB6_47 Depth=1
                                        ;     Parent Loop BB6_1735 Depth=2
                                        ;       Parent Loop BB6_1915 Depth=3
                                        ; =>      This Inner Loop Header: Depth=4
	s_add_co_i32 s63, s63, 1
	s_delay_alu instid0(SALU_CYCLE_1) | instskip(SKIP_1) | instid1(SALU_CYCLE_1)
	s_cmp_lg_u32 s63, 0x2710
	s_cselect_b32 s72, -1, 0
	s_and_b32 vcc_lo, exec_lo, s72
	s_cbranch_vccz .LBB6_1951
; %bb.1950:                             ;   in Loop: Header=BB6_1949 Depth=4
	s_mov_b32 s74, -1
	s_or_b32 s62, s62, exec_lo
	s_and_saveexec_b32 s73, s72
	s_cbranch_execz .LBB6_1948
	s_branch .LBB6_1952
.LBB6_1951:                             ;   in Loop: Header=BB6_1949 Depth=4
	s_trap 2
	ds_load_b64 v[8:9], v0
	s_and_not1_b32 s72, s72, exec_lo
	s_mov_b32 s63, 0
	s_wait_loadcnt_dscnt 0x0
	flat_load_b32 v2, v[8:9] scope:SCOPE_SYS
	s_wait_loadcnt_dscnt 0x0
	global_inv scope:SCOPE_SYS
	v_cmp_eq_u32_e32 vcc_lo, 0, v2
	s_and_b32 s73, vcc_lo, exec_lo
	s_delay_alu instid0(SALU_CYCLE_1)
	s_or_b32 s72, s72, s73
	s_mov_b32 s74, -1
	s_or_b32 s62, s62, exec_lo
	s_and_saveexec_b32 s73, s72
	s_cbranch_execz .LBB6_1948
.LBB6_1952:                             ;   in Loop: Header=BB6_1949 Depth=4
	s_sleep 1
	s_trap 2
	ds_load_b64 v[8:9], v0
	s_wait_dscnt 0x0
	s_and_not1_b32 s62, s62, exec_lo
	v_cmp_ge_u64_e32 vcc_lo, v[8:9], v[32:33]
	s_or_not1_b32 s74, vcc_lo, exec_lo
	s_branch .LBB6_1948
.LBB6_1953:                             ;   in Loop: Header=BB6_1915 Depth=3
	s_or_b32 exec_lo, exec_lo, s60
	s_and_saveexec_b32 s60, s61
	s_delay_alu instid0(SALU_CYCLE_1)
	s_xor_b32 s60, exec_lo, s60
	s_cbranch_execz .LBB6_1955
; %bb.1954:                             ;   in Loop: Header=BB6_1915 Depth=3
	ds_store_b32 v0, v63
	s_trap 2
.LBB6_1955:                             ;   in Loop: Header=BB6_1915 Depth=3
	s_or_b32 exec_lo, exec_lo, s41
	;;#ASMSTART
	s_wakeup
	;;#ASMEND
.LBB6_1956:                             ;   in Loop: Header=BB6_1915 Depth=3
	s_or_b32 exec_lo, exec_lo, s40
.LBB6_1957:                             ;   in Loop: Header=BB6_1915 Depth=3
	s_and_not1_saveexec_b32 s27, s27
	s_cbranch_execz .LBB6_1959
; %bb.1958:                             ;   in Loop: Header=BB6_1915 Depth=3
	global_wb scope:SCOPE_DEV
	s_wait_storecnt 0x0
	s_wait_loadcnt_dscnt 0x0
	global_inv scope:SCOPE_DEV
	s_barrier_signal -1
	s_barrier_wait -1
.LBB6_1959:                             ;   in Loop: Header=BB6_1915 Depth=3
	s_or_b32 exec_lo, exec_lo, s27
.LBB6_1960:                             ;   in Loop: Header=BB6_1915 Depth=3
	s_delay_alu instid0(SALU_CYCLE_1) | instskip(SKIP_1) | instid1(SALU_CYCLE_1)
	s_or_b32 exec_lo, exec_lo, s13
                                        ; implicit-def: $vgpr2
	s_and_saveexec_b32 s13, s12
	s_xor_b32 s27, exec_lo, s13
	s_cbranch_execz .LBB6_1964
; %bb.1961:                             ;   in Loop: Header=BB6_1915 Depth=3
	s_trap 2
	ds_load_b32 v2, v0
	v_cmp_lt_i32_e32 vcc_lo, 0, v12
	s_wait_dscnt 0x0
	v_readfirstlane_b32 s13, v2
	v_and_b32_e32 v2, 16, v30
	s_cmp_eq_u32 s13, 0
	s_delay_alu instid0(VALU_DEP_1) | instskip(SKIP_3) | instid1(SALU_CYCLE_1)
	v_cmp_ne_u32_e64 s13, 0, v2
	s_cselect_b32 s40, -1, 0
	v_and_b32_e32 v2, 16, v30
	s_and_b32 s40, vcc_lo, s40
	s_and_b32 s40, s13, s40
	s_delay_alu instid0(SALU_CYCLE_1)
	s_and_saveexec_b32 s13, s40
	s_cbranch_execz .LBB6_1963
; %bb.1962:                             ;   in Loop: Header=BB6_1915 Depth=3
	v_mov_b32_e32 v2, 1
	global_wb scope:SCOPE_SYS
	s_wait_loadcnt 0x0
	s_wait_storecnt 0x0
	global_inv scope:SCOPE_SYS
.LBB6_1963:                             ;   in Loop: Header=BB6_1915 Depth=3
	s_or_b32 exec_lo, exec_lo, s13
	s_and_not1_saveexec_b32 s13, s27
	s_cbranch_execz .LBB6_1983
	s_branch .LBB6_1965
.LBB6_1964:                             ;   in Loop: Header=BB6_1915 Depth=3
	s_and_not1_saveexec_b32 s13, s27
	s_cbranch_execz .LBB6_1983
.LBB6_1965:                             ;   in Loop: Header=BB6_1915 Depth=3
	s_and_saveexec_b32 s27, s3
	s_delay_alu instid0(SALU_CYCLE_1)
	s_xor_b32 s27, exec_lo, s27
	s_cbranch_execz .LBB6_1980
; %bb.1966:                             ;   in Loop: Header=BB6_1915 Depth=3
	s_and_saveexec_b32 s40, s6
	s_cbranch_execz .LBB6_1979
; %bb.1967:                             ;   in Loop: Header=BB6_1915 Depth=3
	s_mov_b32 s60, exec_lo
	s_mov_b32 s41, exec_lo
	v_mbcnt_lo_u32_b32 v2, s60, 0
	;;#ASMSTART
	s_waitcnt lgkmcnt(0) vmcnt(0)
	;;#ASMEND
	s_delay_alu instid0(VALU_DEP_1)
	v_cmpx_eq_u32_e32 0, v2
	s_cbranch_execz .LBB6_1969
; %bb.1968:                             ;   in Loop: Header=BB6_1915 Depth=3
	s_bcnt1_i32_b32 s60, s60
	s_delay_alu instid0(SALU_CYCLE_1)
	v_mov_b32_e32 v2, s60
	s_wait_storecnt 0x0
	s_wait_loadcnt_dscnt 0x0
	ds_add_u64 v0, v[2:3]
	s_trap 2
.LBB6_1969:                             ;   in Loop: Header=BB6_1915 Depth=3
	s_or_b32 exec_lo, exec_lo, s41
	s_trap 2
	ds_load_b64 v[8:9], v0
	s_wait_dscnt 0x0
	v_add_nc_u64_e32 v[32:33], v[32:33], v[36:37]
	s_mov_b32 s41, exec_lo
	s_delay_alu instid0(VALU_DEP_1)
	v_cmpx_lt_u64_e64 v[8:9], v[32:33]
	s_cbranch_execz .LBB6_1978
; %bb.1970:                             ;   in Loop: Header=BB6_1915 Depth=3
	s_mov_b32 s60, 0
	s_mov_b32 s63, 0
                                        ; implicit-def: $sgpr61
                                        ; implicit-def: $sgpr62
	s_branch .LBB6_1972
.LBB6_1971:                             ;   in Loop: Header=BB6_1972 Depth=4
	s_or_b32 exec_lo, exec_lo, s73
	s_delay_alu instid0(SALU_CYCLE_1) | instskip(NEXT) | instid1(SALU_CYCLE_1)
	s_and_b32 s72, exec_lo, s74
	s_or_b32 s60, s72, s60
	s_and_not1_b32 s61, s61, exec_lo
	s_and_b32 s72, s62, exec_lo
	s_delay_alu instid0(SALU_CYCLE_1)
	s_or_b32 s61, s61, s72
	s_and_not1_b32 exec_lo, exec_lo, s60
	s_cbranch_execz .LBB6_1976
.LBB6_1972:                             ;   Parent Loop BB6_47 Depth=1
                                        ;     Parent Loop BB6_1735 Depth=2
                                        ;       Parent Loop BB6_1915 Depth=3
                                        ; =>      This Inner Loop Header: Depth=4
	s_add_co_i32 s63, s63, 1
	s_delay_alu instid0(SALU_CYCLE_1) | instskip(SKIP_1) | instid1(SALU_CYCLE_1)
	s_cmp_lg_u32 s63, 0x2710
	s_cselect_b32 s72, -1, 0
	s_and_b32 vcc_lo, exec_lo, s72
	s_cbranch_vccz .LBB6_1974
; %bb.1973:                             ;   in Loop: Header=BB6_1972 Depth=4
	s_mov_b32 s74, -1
	s_or_b32 s62, s62, exec_lo
	s_and_saveexec_b32 s73, s72
	s_cbranch_execz .LBB6_1971
	s_branch .LBB6_1975
.LBB6_1974:                             ;   in Loop: Header=BB6_1972 Depth=4
	s_trap 2
	ds_load_b64 v[8:9], v0
	s_and_not1_b32 s72, s72, exec_lo
	s_mov_b32 s63, 0
	s_wait_storecnt 0x0
	s_wait_loadcnt_dscnt 0x0
	flat_load_b32 v2, v[8:9] scope:SCOPE_SYS
	s_wait_loadcnt_dscnt 0x0
	global_inv scope:SCOPE_SYS
	v_cmp_eq_u32_e32 vcc_lo, 0, v2
	s_and_b32 s73, vcc_lo, exec_lo
	s_delay_alu instid0(SALU_CYCLE_1)
	s_or_b32 s72, s72, s73
	s_mov_b32 s74, -1
	s_or_b32 s62, s62, exec_lo
	s_and_saveexec_b32 s73, s72
	s_cbranch_execz .LBB6_1971
.LBB6_1975:                             ;   in Loop: Header=BB6_1972 Depth=4
	s_sleep 1
	s_trap 2
	ds_load_b64 v[8:9], v0
	s_wait_dscnt 0x0
	s_and_not1_b32 s62, s62, exec_lo
	v_cmp_ge_u64_e32 vcc_lo, v[8:9], v[32:33]
	s_or_not1_b32 s74, vcc_lo, exec_lo
	s_branch .LBB6_1971
.LBB6_1976:                             ;   in Loop: Header=BB6_1915 Depth=3
	s_or_b32 exec_lo, exec_lo, s60
	s_and_saveexec_b32 s60, s61
	s_delay_alu instid0(SALU_CYCLE_1)
	s_xor_b32 s60, exec_lo, s60
	s_cbranch_execz .LBB6_1978
; %bb.1977:                             ;   in Loop: Header=BB6_1915 Depth=3
	ds_store_b32 v0, v63
	s_trap 2
.LBB6_1978:                             ;   in Loop: Header=BB6_1915 Depth=3
	s_or_b32 exec_lo, exec_lo, s41
	;;#ASMSTART
	s_wakeup
	;;#ASMEND
.LBB6_1979:                             ;   in Loop: Header=BB6_1915 Depth=3
	s_or_b32 exec_lo, exec_lo, s40
.LBB6_1980:                             ;   in Loop: Header=BB6_1915 Depth=3
	s_and_not1_saveexec_b32 s27, s27
	s_cbranch_execz .LBB6_1982
; %bb.1981:                             ;   in Loop: Header=BB6_1915 Depth=3
	;;#ASMSTART
	s_waitcnt lgkmcnt(0) vmcnt(0)
	;;#ASMEND
	s_barrier_signal -1
	s_barrier_wait -1
.LBB6_1982:                             ;   in Loop: Header=BB6_1915 Depth=3
	s_or_b32 exec_lo, exec_lo, s27
	v_and_b32_e32 v2, 16, v30
.LBB6_1983:                             ;   in Loop: Header=BB6_1915 Depth=3
	s_or_b32 exec_lo, exec_lo, s13
	s_delay_alu instid0(VALU_DEP_1) | instskip(SKIP_1) | instid1(SALU_CYCLE_1)
	v_cmp_ne_u32_e32 vcc_lo, 0, v2
	s_xor_b32 s13, s4, -1
	s_and_b32 s27, vcc_lo, s13
	s_delay_alu instid0(SALU_CYCLE_1)
	s_and_saveexec_b32 s13, s27
	s_cbranch_execz .LBB6_1985
; %bb.1984:                             ;   in Loop: Header=BB6_1915 Depth=3
	global_wb scope:SCOPE_SYS
	s_wait_storecnt 0x0
	s_wait_loadcnt_dscnt 0x0
	flat_store_b32 v[28:29], v63 scope:SCOPE_SYS
.LBB6_1985:                             ;   in Loop: Header=BB6_1915 Depth=3
	s_wait_xcnt 0x0
	s_or_b32 exec_lo, exec_lo, s13
	v_and_b32_e32 v2, 48, v30
	s_mov_b32 s13, exec_lo
	s_delay_alu instid0(VALU_DEP_1)
	v_cmpx_ne_u32_e32 0, v2
	s_cbranch_execz .LBB6_1914
; %bb.1986:                             ;   in Loop: Header=BB6_1915 Depth=3
	v_add_nc_u64_e32 v[98:99], 2, v[98:99]
	global_wb scope:SCOPE_SYS
	s_wait_storecnt 0x0
	s_wait_loadcnt_dscnt 0x0
	flat_store_b64 v[22:23], v[98:99] scope:SCOPE_SYS
	s_branch .LBB6_1914
.LBB6_1987:                             ;   in Loop: Header=BB6_1735 Depth=2
	s_or_b32 exec_lo, exec_lo, s15
.LBB6_1988:                             ;   in Loop: Header=BB6_1735 Depth=2
	s_delay_alu instid0(SALU_CYCLE_1)
	s_or_b32 exec_lo, exec_lo, s14
	s_add_co_i32 s13, s18, 1
	s_cmp_eq_u32 s18, s56
	s_cbranch_scc1 .LBB6_1990
; %bb.1989:                             ;   in Loop: Header=BB6_1735 Depth=2
	s_mov_b32 s18, s13
	s_branch .LBB6_1735
.LBB6_1990:                             ;   in Loop: Header=BB6_47 Depth=1
	v_mul_u64_e32 v[10:11], s[28:29], v[96:97]
	s_delay_alu instid0(VALU_DEP_1) | instskip(NEXT) | instid1(VALU_DEP_1)
	v_sub_nc_u64_e32 v[8:9], v[100:101], v[10:11]
	v_min_i64 v[8:9], v[96:97], v[8:9]
	s_delay_alu instid0(VALU_DEP_1) | instskip(SKIP_1) | instid1(VALU_DEP_2)
	v_max_i32_e32 v114, 0, v8
	v_cmp_lt_i32_e32 vcc_lo, 0, v8
	v_dual_mov_b32 v8, 0 :: v_dual_add_nc_u32 v2, 31, v114
	s_and_b32 s13, s57, vcc_lo
	s_delay_alu instid0(VALU_DEP_1) | instskip(NEXT) | instid1(VALU_DEP_1)
	v_lshrrev_b32_e32 v2, 1, v2
	v_and_b32_e32 v9, 0x3ffffff0, v2
	s_delay_alu instid0(VALU_DEP_1)
	v_dual_mov_b32 v2, 0 :: v_dual_max_i32 v115, s45, v9
	s_and_saveexec_b32 s14, s13
	s_cbranch_execz .LBB6_2128
; %bb.1991:                             ;   in Loop: Header=BB6_47 Depth=1
	v_add_nc_u64_e32 v[8:9], v[10:11], v[102:103]
	s_mov_b32 s27, 1
	s_mov_b32 s18, -1
	s_mov_b32 s15, 0
	s_delay_alu instid0(VALU_DEP_1)
	v_lshlrev_b64_e32 v[10:11], 1, v[8:9]
	v_mov_b32_e32 v8, 0
	s_branch .LBB6_1993
.LBB6_1992:                             ;   in Loop: Header=BB6_1993 Depth=2
	s_wait_xcnt 0x0
	s_or_b32 exec_lo, exec_lo, s13
	v_dual_add_nc_u32 v8, v115, v8 :: v_dual_mov_b32 v2, s27
	s_xor_b32 s13, s18, -1
	s_mov_b32 s18, 0
	s_mov_b32 s27, 2
	s_delay_alu instid0(VALU_DEP_1) | instskip(SKIP_1) | instid1(SALU_CYCLE_1)
	v_cmp_ge_i32_e32 vcc_lo, v8, v114
	s_or_b32 s13, s13, vcc_lo
	s_and_b32 s13, exec_lo, s13
	s_delay_alu instid0(SALU_CYCLE_1) | instskip(NEXT) | instid1(SALU_CYCLE_1)
	s_or_b32 s15, s13, s15
	s_and_not1_b32 exec_lo, exec_lo, s15
	s_cbranch_execz .LBB6_2127
.LBB6_1993:                             ;   Parent Loop BB6_47 Depth=1
                                        ; =>  This Loop Header: Depth=2
                                        ;       Child Loop BB6_2001 Depth 3
                                        ;       Child Loop BB6_2025 Depth 3
	;; [unrolled: 1-line block ×9, first 2 shown]
	s_and_saveexec_b32 s13, s0
	s_cbranch_execz .LBB6_1995
; %bb.1994:                             ;   in Loop: Header=BB6_1993 Depth=2
	s_trap 2
	ds_load_b128 v[12:15], v0
	s_wait_dscnt 0x0
	v_cmp_ne_u64_e32 vcc_lo, 0, v[14:15]
	v_ashrrev_i32_e32 v9, 31, v8
	v_add_nc_u64_e32 v[102:103], v[14:15], v[10:11]
	v_add_nc_u64_e32 v[12:13], v[12:13], v[10:11]
	s_delay_alu instid0(VALU_DEP_3) | instskip(NEXT) | instid1(VALU_DEP_1)
	v_lshlrev_b64_e32 v[100:101], 1, v[8:9]
	v_add_nc_u64_e32 v[102:103], v[102:103], v[100:101]
	s_delay_alu instid0(VALU_DEP_3) | instskip(NEXT) | instid1(VALU_DEP_2)
	v_add_nc_u64_e32 v[12:13], v[12:13], v[100:101]
	v_dual_cndmask_b32 v15, 0, v103 :: v_dual_cndmask_b32 v14, 0, v102
	ds_store_b64 v0, v[12:13]
	ds_store_b64 v0, v[14:15]
.LBB6_1995:                             ;   in Loop: Header=BB6_1993 Depth=2
	s_or_b32 exec_lo, exec_lo, s13
	v_and_b32_e32 v2, 4, v30
	s_mov_b32 s40, exec_lo
	s_delay_alu instid0(VALU_DEP_1)
	v_cmpx_ne_u32_e32 0, v2
	s_cbranch_execz .LBB6_2017
; %bb.1996:                             ;   in Loop: Header=BB6_1993 Depth=2
	v_add_nc_u64_e32 v[12:13], 2, v[98:99]
	s_mov_b32 s41, exec_lo
	s_wait_loadcnt_dscnt 0x1
	s_delay_alu instid0(VALU_DEP_1)
	v_cmpx_lt_u64_e64 v[34:35], v[12:13]
	s_cbranch_execz .LBB6_2008
; %bb.1997:                             ;   in Loop: Header=BB6_1993 Depth=2
	v_and_b32_e32 v2, 64, v30
	s_mov_b32 s60, 0
	s_mov_b32 s72, 0
                                        ; implicit-def: $sgpr61
                                        ; implicit-def: $sgpr62
                                        ; implicit-def: $sgpr63
	s_delay_alu instid0(VALU_DEP_1)
	v_cmp_eq_u32_e32 vcc_lo, 0, v2
	s_branch .LBB6_2001
.LBB6_1998:                             ;   in Loop: Header=BB6_2001 Depth=3
	s_wait_loadcnt_dscnt 0x0
	v_cmp_ge_u64_e64 s13, v[34:35], v[12:13]
	s_or_b32 s75, s75, exec_lo
	s_or_not1_b32 s74, s13, exec_lo
.LBB6_1999:                             ;   in Loop: Header=BB6_2001 Depth=3
	s_or_b32 exec_lo, exec_lo, s77
	s_delay_alu instid0(SALU_CYCLE_1)
	s_and_not1_b32 s13, s63, exec_lo
	s_and_b32 s63, s75, exec_lo
	s_and_not1_b32 s62, s62, exec_lo
	s_and_b32 s74, s74, exec_lo
	s_or_b32 s63, s13, s63
	s_or_b32 s62, s62, s74
.LBB6_2000:                             ;   in Loop: Header=BB6_2001 Depth=3
	s_or_b32 exec_lo, exec_lo, s73
	s_delay_alu instid0(SALU_CYCLE_1) | instskip(NEXT) | instid1(SALU_CYCLE_1)
	s_and_b32 s13, exec_lo, s62
	s_or_b32 s60, s13, s60
	s_and_not1_b32 s13, s61, exec_lo
	s_and_b32 s61, s63, exec_lo
	s_delay_alu instid0(SALU_CYCLE_1)
	s_or_b32 s61, s13, s61
	s_and_not1_b32 exec_lo, exec_lo, s60
	s_cbranch_execz .LBB6_2005
.LBB6_2001:                             ;   Parent Loop BB6_47 Depth=1
                                        ;     Parent Loop BB6_1993 Depth=2
                                        ; =>    This Inner Loop Header: Depth=3
	s_sleep 1
	s_wait_loadcnt_dscnt 0x0
	flat_load_b64 v[34:35], v[22:23] scope:SCOPE_SYS
	s_or_b32 s63, s63, exec_lo
	s_or_b32 s62, s62, exec_lo
                                        ; implicit-def: $vgpr2
	s_wait_xcnt 0x0
	s_and_saveexec_b32 s73, vcc_lo
	s_cbranch_execz .LBB6_2000
; %bb.2002:                             ;   in Loop: Header=BB6_2001 Depth=3
	s_cmp_lt_i32 s72, 0x270f
	s_mov_b32 s74, -1
	s_cselect_b32 s76, -1, 0
	s_cmp_gt_i32 s72, 0x270e
	s_cbranch_scc0 .LBB6_2004
; %bb.2003:                             ;   in Loop: Header=BB6_2001 Depth=3
	s_trap 2
	ds_load_b64 v[14:15], v0
	s_and_not1_b32 s72, s76, exec_lo
	s_mov_b32 s75, 0
	s_wait_storecnt 0x0
	s_wait_loadcnt_dscnt 0x0
	flat_load_b32 v2, v[14:15] scope:SCOPE_SYS
	s_wait_loadcnt_dscnt 0x0
	global_inv scope:SCOPE_SYS
	v_cmp_eq_u32_e64 s13, 0, v2
	s_and_b32 s13, s13, exec_lo
	s_delay_alu instid0(SALU_CYCLE_1)
	s_or_b32 s76, s72, s13
	s_mov_b32 s72, 0
	s_and_saveexec_b32 s77, s76
	s_cbranch_execz .LBB6_1999
	s_branch .LBB6_1998
.LBB6_2004:                             ;   in Loop: Header=BB6_2001 Depth=3
	s_add_co_i32 s72, s72, 1
	s_mov_b32 s75, -1
                                        ; implicit-def: $vgpr2
	s_and_saveexec_b32 s77, s76
	s_cbranch_execz .LBB6_1999
	s_branch .LBB6_1998
.LBB6_2005:                             ;   in Loop: Header=BB6_1993 Depth=2
	s_or_b32 exec_lo, exec_lo, s60
	s_xor_b32 s13, s61, -1
	s_delay_alu instid0(SALU_CYCLE_1) | instskip(NEXT) | instid1(SALU_CYCLE_1)
	s_and_saveexec_b32 s60, s13
	s_xor_b32 s13, exec_lo, s60
	s_cbranch_execz .LBB6_2007
; %bb.2006:                             ;   in Loop: Header=BB6_1993 Depth=2
	v_or_b32_e32 v30, 64, v30
	s_wait_storecnt 0x0
	s_wait_loadcnt_dscnt 0x0
	ds_store_b32 v0, v2
	s_trap 2
.LBB6_2007:                             ;   in Loop: Header=BB6_1993 Depth=2
	s_or_b32 exec_lo, exec_lo, s13
.LBB6_2008:                             ;   in Loop: Header=BB6_1993 Depth=2
	s_delay_alu instid0(SALU_CYCLE_1) | instskip(SKIP_3) | instid1(VALU_DEP_1)
	s_or_b32 exec_lo, exec_lo, s41
	v_and_b32_e32 v2, 0x100, v30
	s_mov_b32 s13, -1
	;;#ASMSTART
	s_wakeup
	;;#ASMEND
                                        ; implicit-def: $vgpr14_vgpr15
	v_cmp_ne_u32_e32 vcc_lo, 0, v2
	v_and_b32_e32 v2, 7, v98
	s_and_saveexec_b32 s41, vcc_lo
	s_cbranch_execz .LBB6_2012
; %bb.2009:                             ;   in Loop: Header=BB6_1993 Depth=2
	s_delay_alu instid0(VALU_DEP_1)
	v_mad_nc_u64_u32 v[98:99], v2, 24, v[6:7]
	s_mov_b32 s60, exec_lo
                                        ; implicit-def: $vgpr14_vgpr15
	flat_load_b32 v9, v[98:99]
	s_wait_loadcnt_dscnt 0x0
	v_cmp_ne_u32_e32 vcc_lo, 1, v9
	s_wait_xcnt 0x0
	v_cmpx_eq_u32_e32 1, v9
	s_cbranch_execz .LBB6_2011
; %bb.2010:                             ;   in Loop: Header=BB6_1993 Depth=2
	flat_load_b32 v14, v[98:99] offset:4 scope:SCOPE_SYS
	s_wait_loadcnt_dscnt 0x0
	v_ashrrev_i32_e32 v15, 31, v14
	s_delay_alu instid0(VALU_DEP_1)
	v_lshrrev_b64 v[14:15], 1, v[14:15]
.LBB6_2011:                             ;   in Loop: Header=BB6_1993 Depth=2
	s_wait_xcnt 0x0
	s_or_b32 exec_lo, exec_lo, s60
	s_delay_alu instid0(SALU_CYCLE_1)
	s_or_not1_b32 s13, vcc_lo, exec_lo
.LBB6_2012:                             ;   in Loop: Header=BB6_1993 Depth=2
	s_or_b32 exec_lo, exec_lo, s41
	s_and_saveexec_b32 s41, s13
; %bb.2013:                             ;   in Loop: Header=BB6_1993 Depth=2
	v_mul_u64_e32 v[14:15], v[2:3], v[24:25]
; %bb.2014:                             ;   in Loop: Header=BB6_1993 Depth=2
	s_or_b32 exec_lo, exec_lo, s41
	v_and_b32_e32 v2, 0x2000, v30
	s_delay_alu instid0(VALU_DEP_2)
	v_lshl_add_u64 v[14:15], v[14:15], 1, v[26:27]
	s_mov_b32 s13, exec_lo
	ds_store_b64 v0, v[14:15] offset:720
	v_cmpx_ne_u32_e32 0, v2
	s_cbranch_execz .LBB6_2016
; %bb.2015:                             ;   in Loop: Header=BB6_1993 Depth=2
	ds_load_b64 v[14:15], v0 offset:872
	s_wait_dscnt 0x0
	v_add_nc_u64_e32 v[14:15], 1, v[14:15]
	ds_store_b64 v0, v[14:15] offset:872
.LBB6_2016:                             ;   in Loop: Header=BB6_1993 Depth=2
	s_or_b32 exec_lo, exec_lo, s13
	v_mov_b64_e32 v[98:99], v[12:13]
.LBB6_2017:                             ;   in Loop: Header=BB6_1993 Depth=2
	s_or_b32 exec_lo, exec_lo, s40
	s_and_saveexec_b32 s13, s2
	s_cbranch_execz .LBB6_2036
; %bb.2018:                             ;   in Loop: Header=BB6_1993 Depth=2
	s_and_saveexec_b32 s40, s3
	s_delay_alu instid0(SALU_CYCLE_1)
	s_xor_b32 s40, exec_lo, s40
	s_cbranch_execz .LBB6_2033
; %bb.2019:                             ;   in Loop: Header=BB6_1993 Depth=2
	s_and_saveexec_b32 s41, s6
	s_cbranch_execz .LBB6_2032
; %bb.2020:                             ;   in Loop: Header=BB6_1993 Depth=2
	s_mov_b32 s61, exec_lo
	s_mov_b32 s60, exec_lo
	v_mbcnt_lo_u32_b32 v2, s61, 0
	global_wb scope:SCOPE_DEV
	s_wait_storecnt 0x0
	s_wait_loadcnt_dscnt 0x0
	global_inv scope:SCOPE_DEV
	v_cmpx_eq_u32_e32 0, v2
	s_cbranch_execz .LBB6_2022
; %bb.2021:                             ;   in Loop: Header=BB6_1993 Depth=2
	s_bcnt1_i32_b32 s61, s61
	s_delay_alu instid0(SALU_CYCLE_1)
	v_mov_b32_e32 v2, s61
	s_wait_loadcnt 0x0
	ds_add_u64 v0, v[2:3]
	s_trap 2
.LBB6_2022:                             ;   in Loop: Header=BB6_1993 Depth=2
	s_or_b32 exec_lo, exec_lo, s60
	s_trap 2
	ds_load_b64 v[12:13], v0
	s_wait_dscnt 0x0
	v_add_nc_u64_e32 v[32:33], v[32:33], v[36:37]
	s_mov_b32 s60, exec_lo
	s_delay_alu instid0(VALU_DEP_1)
	v_cmpx_lt_u64_e64 v[12:13], v[32:33]
	s_cbranch_execz .LBB6_2031
; %bb.2023:                             ;   in Loop: Header=BB6_1993 Depth=2
	s_mov_b32 s61, 0
	s_mov_b32 s72, 0
                                        ; implicit-def: $sgpr62
                                        ; implicit-def: $sgpr63
	s_branch .LBB6_2025
.LBB6_2024:                             ;   in Loop: Header=BB6_2025 Depth=3
	s_or_b32 exec_lo, exec_lo, s74
	s_delay_alu instid0(SALU_CYCLE_1) | instskip(NEXT) | instid1(SALU_CYCLE_1)
	s_and_b32 s73, exec_lo, s75
	s_or_b32 s61, s73, s61
	s_and_not1_b32 s62, s62, exec_lo
	s_and_b32 s73, s63, exec_lo
	s_delay_alu instid0(SALU_CYCLE_1)
	s_or_b32 s62, s62, s73
	s_and_not1_b32 exec_lo, exec_lo, s61
	s_cbranch_execz .LBB6_2029
.LBB6_2025:                             ;   Parent Loop BB6_47 Depth=1
                                        ;     Parent Loop BB6_1993 Depth=2
                                        ; =>    This Inner Loop Header: Depth=3
	s_add_co_i32 s72, s72, 1
	s_delay_alu instid0(SALU_CYCLE_1) | instskip(SKIP_1) | instid1(SALU_CYCLE_1)
	s_cmp_lg_u32 s72, 0x2710
	s_cselect_b32 s73, -1, 0
	s_and_b32 vcc_lo, exec_lo, s73
	s_cbranch_vccz .LBB6_2027
; %bb.2026:                             ;   in Loop: Header=BB6_2025 Depth=3
	s_mov_b32 s75, -1
	s_or_b32 s63, s63, exec_lo
	s_and_saveexec_b32 s74, s73
	s_cbranch_execz .LBB6_2024
	s_branch .LBB6_2028
.LBB6_2027:                             ;   in Loop: Header=BB6_2025 Depth=3
	s_trap 2
	ds_load_b64 v[12:13], v0
	s_and_not1_b32 s73, s73, exec_lo
	s_mov_b32 s72, 0
	s_wait_loadcnt_dscnt 0x0
	flat_load_b32 v2, v[12:13] scope:SCOPE_SYS
	s_wait_loadcnt_dscnt 0x0
	global_inv scope:SCOPE_SYS
	v_cmp_eq_u32_e32 vcc_lo, 0, v2
	s_and_b32 s74, vcc_lo, exec_lo
	s_delay_alu instid0(SALU_CYCLE_1)
	s_or_b32 s73, s73, s74
	s_mov_b32 s75, -1
	s_or_b32 s63, s63, exec_lo
	s_and_saveexec_b32 s74, s73
	s_cbranch_execz .LBB6_2024
.LBB6_2028:                             ;   in Loop: Header=BB6_2025 Depth=3
	s_sleep 1
	s_trap 2
	ds_load_b64 v[12:13], v0
	s_wait_dscnt 0x0
	s_and_not1_b32 s63, s63, exec_lo
	v_cmp_ge_u64_e32 vcc_lo, v[12:13], v[32:33]
	s_or_not1_b32 s75, vcc_lo, exec_lo
	s_branch .LBB6_2024
.LBB6_2029:                             ;   in Loop: Header=BB6_1993 Depth=2
	s_or_b32 exec_lo, exec_lo, s61
	s_and_saveexec_b32 s61, s62
	s_delay_alu instid0(SALU_CYCLE_1)
	s_xor_b32 s61, exec_lo, s61
	s_cbranch_execz .LBB6_2031
; %bb.2030:                             ;   in Loop: Header=BB6_1993 Depth=2
	ds_store_b32 v0, v63
	s_trap 2
.LBB6_2031:                             ;   in Loop: Header=BB6_1993 Depth=2
	s_or_b32 exec_lo, exec_lo, s60
	;;#ASMSTART
	s_wakeup
	;;#ASMEND
.LBB6_2032:                             ;   in Loop: Header=BB6_1993 Depth=2
	s_or_b32 exec_lo, exec_lo, s41
.LBB6_2033:                             ;   in Loop: Header=BB6_1993 Depth=2
	s_and_not1_saveexec_b32 s40, s40
	s_cbranch_execz .LBB6_2035
; %bb.2034:                             ;   in Loop: Header=BB6_1993 Depth=2
	global_wb scope:SCOPE_DEV
	s_wait_storecnt 0x0
	s_wait_loadcnt_dscnt 0x0
	global_inv scope:SCOPE_DEV
	s_barrier_signal -1
	s_barrier_wait -1
.LBB6_2035:                             ;   in Loop: Header=BB6_1993 Depth=2
	s_or_b32 exec_lo, exec_lo, s40
.LBB6_2036:                             ;   in Loop: Header=BB6_1993 Depth=2
	s_delay_alu instid0(SALU_CYCLE_1) | instskip(SKIP_4) | instid1(VALU_DEP_1)
	s_or_b32 exec_lo, exec_lo, s13
	s_trap 2
	ds_load_b32 v9, v0
	v_and_b32_e32 v2, 0x4000, v30
	s_xor_b32 s13, s1, -1
	v_cmp_ne_u32_e32 vcc_lo, 0, v2
	s_and_b32 s40, s13, vcc_lo
	s_delay_alu instid0(SALU_CYCLE_1)
	s_and_saveexec_b32 s13, s40
	s_cbranch_execz .LBB6_2055
; %bb.2037:                             ;   in Loop: Header=BB6_1993 Depth=2
	s_and_saveexec_b32 s40, s3
	s_delay_alu instid0(SALU_CYCLE_1)
	s_xor_b32 s40, exec_lo, s40
	s_cbranch_execz .LBB6_2052
; %bb.2038:                             ;   in Loop: Header=BB6_1993 Depth=2
	s_and_saveexec_b32 s41, s6
	s_cbranch_execz .LBB6_2051
; %bb.2039:                             ;   in Loop: Header=BB6_1993 Depth=2
	s_mov_b32 s61, exec_lo
	s_mov_b32 s60, exec_lo
	v_mbcnt_lo_u32_b32 v2, s61, 0
	global_wb scope:SCOPE_DEV
	s_wait_storecnt 0x0
	s_wait_loadcnt_dscnt 0x0
	global_inv scope:SCOPE_DEV
	v_cmpx_eq_u32_e32 0, v2
	s_cbranch_execz .LBB6_2041
; %bb.2040:                             ;   in Loop: Header=BB6_1993 Depth=2
	s_bcnt1_i32_b32 s61, s61
	s_delay_alu instid0(SALU_CYCLE_1)
	v_mov_b32_e32 v2, s61
	s_wait_loadcnt 0x0
	ds_add_u64 v0, v[2:3]
	s_trap 2
.LBB6_2041:                             ;   in Loop: Header=BB6_1993 Depth=2
	s_or_b32 exec_lo, exec_lo, s60
	s_trap 2
	ds_load_b64 v[12:13], v0
	s_wait_dscnt 0x0
	v_add_nc_u64_e32 v[32:33], v[32:33], v[36:37]
	s_mov_b32 s60, exec_lo
	s_delay_alu instid0(VALU_DEP_1)
	v_cmpx_lt_u64_e64 v[12:13], v[32:33]
	s_cbranch_execz .LBB6_2050
; %bb.2042:                             ;   in Loop: Header=BB6_1993 Depth=2
	s_mov_b32 s61, 0
	s_mov_b32 s72, 0
                                        ; implicit-def: $sgpr62
                                        ; implicit-def: $sgpr63
	s_branch .LBB6_2044
.LBB6_2043:                             ;   in Loop: Header=BB6_2044 Depth=3
	s_or_b32 exec_lo, exec_lo, s74
	s_delay_alu instid0(SALU_CYCLE_1) | instskip(NEXT) | instid1(SALU_CYCLE_1)
	s_and_b32 s73, exec_lo, s75
	s_or_b32 s61, s73, s61
	s_and_not1_b32 s62, s62, exec_lo
	s_and_b32 s73, s63, exec_lo
	s_delay_alu instid0(SALU_CYCLE_1)
	s_or_b32 s62, s62, s73
	s_and_not1_b32 exec_lo, exec_lo, s61
	s_cbranch_execz .LBB6_2048
.LBB6_2044:                             ;   Parent Loop BB6_47 Depth=1
                                        ;     Parent Loop BB6_1993 Depth=2
                                        ; =>    This Inner Loop Header: Depth=3
	s_add_co_i32 s72, s72, 1
	s_delay_alu instid0(SALU_CYCLE_1) | instskip(SKIP_1) | instid1(SALU_CYCLE_1)
	s_cmp_lg_u32 s72, 0x2710
	s_cselect_b32 s73, -1, 0
	s_and_b32 vcc_lo, exec_lo, s73
	s_cbranch_vccz .LBB6_2046
; %bb.2045:                             ;   in Loop: Header=BB6_2044 Depth=3
	s_mov_b32 s75, -1
	s_or_b32 s63, s63, exec_lo
	s_and_saveexec_b32 s74, s73
	s_cbranch_execz .LBB6_2043
	s_branch .LBB6_2047
.LBB6_2046:                             ;   in Loop: Header=BB6_2044 Depth=3
	s_trap 2
	ds_load_b64 v[12:13], v0
	s_and_not1_b32 s73, s73, exec_lo
	s_mov_b32 s72, 0
	s_wait_loadcnt_dscnt 0x0
	flat_load_b32 v2, v[12:13] scope:SCOPE_SYS
	s_wait_loadcnt_dscnt 0x0
	global_inv scope:SCOPE_SYS
	v_cmp_eq_u32_e32 vcc_lo, 0, v2
	s_and_b32 s74, vcc_lo, exec_lo
	s_delay_alu instid0(SALU_CYCLE_1)
	s_or_b32 s73, s73, s74
	s_mov_b32 s75, -1
	s_or_b32 s63, s63, exec_lo
	s_and_saveexec_b32 s74, s73
	s_cbranch_execz .LBB6_2043
.LBB6_2047:                             ;   in Loop: Header=BB6_2044 Depth=3
	s_sleep 1
	s_trap 2
	ds_load_b64 v[12:13], v0
	s_wait_dscnt 0x0
	s_and_not1_b32 s63, s63, exec_lo
	v_cmp_ge_u64_e32 vcc_lo, v[12:13], v[32:33]
	s_or_not1_b32 s75, vcc_lo, exec_lo
	s_branch .LBB6_2043
.LBB6_2048:                             ;   in Loop: Header=BB6_1993 Depth=2
	s_or_b32 exec_lo, exec_lo, s61
	s_and_saveexec_b32 s61, s62
	s_delay_alu instid0(SALU_CYCLE_1)
	s_xor_b32 s61, exec_lo, s61
	s_cbranch_execz .LBB6_2050
; %bb.2049:                             ;   in Loop: Header=BB6_1993 Depth=2
	ds_store_b32 v0, v63
	s_trap 2
.LBB6_2050:                             ;   in Loop: Header=BB6_1993 Depth=2
	s_or_b32 exec_lo, exec_lo, s60
	;;#ASMSTART
	s_wakeup
	;;#ASMEND
.LBB6_2051:                             ;   in Loop: Header=BB6_1993 Depth=2
	s_or_b32 exec_lo, exec_lo, s41
.LBB6_2052:                             ;   in Loop: Header=BB6_1993 Depth=2
	s_and_not1_saveexec_b32 s40, s40
	s_cbranch_execz .LBB6_2054
; %bb.2053:                             ;   in Loop: Header=BB6_1993 Depth=2
	global_wb scope:SCOPE_DEV
	s_wait_storecnt 0x0
	s_wait_loadcnt_dscnt 0x0
	global_inv scope:SCOPE_DEV
	s_barrier_signal -1
	s_barrier_wait -1
.LBB6_2054:                             ;   in Loop: Header=BB6_1993 Depth=2
	s_or_b32 exec_lo, exec_lo, s40
.LBB6_2055:                             ;   in Loop: Header=BB6_1993 Depth=2
	s_delay_alu instid0(SALU_CYCLE_1) | instskip(SKIP_3) | instid1(VALU_DEP_1)
	s_or_b32 exec_lo, exec_lo, s13
	s_trap 2
	ds_load_b64 v[12:13], v0
	v_sub_nc_u32_e32 v2, v114, v8
	v_min_i32_e32 v115, v115, v2
	s_wait_dscnt 0x0
	v_cmp_eq_u64_e32 vcc_lo, 0, v[12:13]
	s_cbranch_vccnz .LBB6_2063
; %bb.2056:                             ;   in Loop: Header=BB6_1993 Depth=2
	s_trap 2
	ds_load_b64 v[14:15], v0
	s_wait_dscnt 0x0
	v_cmp_eq_u64_e32 vcc_lo, 0, v[14:15]
	s_cbranch_vccnz .LBB6_2063
; %bb.2057:                             ;   in Loop: Header=BB6_1993 Depth=2
	s_mov_b32 s13, -1
	s_and_saveexec_b32 s40, s10
	s_cbranch_execz .LBB6_2059
; %bb.2058:                             ;   in Loop: Header=BB6_1993 Depth=2
	ds_load_b32 v2, v0 offset:720
	s_wait_dscnt 0x0
	v_and_b32_e32 v2, 15, v2
	s_delay_alu instid0(VALU_DEP_1)
	v_cmp_eq_u32_e32 vcc_lo, 0, v2
	s_or_not1_b32 s13, vcc_lo, exec_lo
.LBB6_2059:                             ;   in Loop: Header=BB6_1993 Depth=2
	s_or_b32 exec_lo, exec_lo, s40
	s_and_saveexec_b32 s40, s7
	s_cbranch_execz .LBB6_2061
; %bb.2060:                             ;   in Loop: Header=BB6_1993 Depth=2
	ds_load_b32 v2, v0 offset:784
	s_wait_dscnt 0x0
	v_and_b32_e32 v2, 15, v2
	s_delay_alu instid0(VALU_DEP_1) | instskip(SKIP_3) | instid1(SALU_CYCLE_1)
	v_cmp_eq_u32_e32 vcc_lo, 0, v2
	s_and_b32 s41, s13, vcc_lo
	s_and_not1_b32 s13, s13, exec_lo
	s_and_b32 s41, s41, exec_lo
	s_or_b32 s13, s13, s41
.LBB6_2061:                             ;   in Loop: Header=BB6_1993 Depth=2
	s_or_b32 exec_lo, exec_lo, s40
	v_cmp_eq_u32_e32 vcc_lo, 0, v9
	s_xor_b32 s13, s13, -1
	s_mov_b32 s41, -1
	v_cndmask_b32_e64 v100, 0, 1, s13
	v_dual_mov_b32 v116, 0 :: v_dual_cndmask_b32 v2, 0, v115, vcc_lo
	s_delay_alu instid0(VALU_DEP_2) | instskip(NEXT) | instid1(VALU_DEP_2)
	v_cmp_ne_u32_e32 vcc_lo, 0, v100
	v_lshlrev_b32_e32 v9, 1, v2
	s_cbranch_vccz .LBB6_2068
; %bb.2062:                             ;   in Loop: Header=BB6_1993 Depth=2
	v_mov_b32_e32 v117, v0
	s_and_saveexec_b32 s13, s41
	s_cbranch_execnz .LBB6_2079
	s_branch .LBB6_2087
.LBB6_2063:                             ;   in Loop: Header=BB6_1993 Depth=2
	s_mov_b32 s13, 0
	s_and_saveexec_b32 s40, s2
	s_cbranch_execnz .LBB6_2088
.LBB6_2064:                             ;   in Loop: Header=BB6_1993 Depth=2
	s_or_b32 exec_lo, exec_lo, s40
	s_and_saveexec_b32 s40, s12
	s_delay_alu instid0(SALU_CYCLE_1)
	s_xor_b32 s40, exec_lo, s40
	s_cbranch_execz .LBB6_2106
.LBB6_2065:                             ;   in Loop: Header=BB6_1993 Depth=2
	v_and_b32_e32 v2, 16, v30
	s_delay_alu instid0(VALU_DEP_1) | instskip(SKIP_1) | instid1(SALU_CYCLE_1)
	v_cmp_ne_u32_e32 vcc_lo, 0, v2
	s_and_b32 s41, vcc_lo, s13
	s_and_saveexec_b32 s13, s41
	s_cbranch_execz .LBB6_2067
; %bb.2066:                             ;   in Loop: Header=BB6_1993 Depth=2
	global_wb scope:SCOPE_SYS
	s_wait_storecnt 0x0
	s_wait_loadcnt_dscnt 0x0
	global_inv scope:SCOPE_SYS
.LBB6_2067:                             ;   in Loop: Header=BB6_1993 Depth=2
	s_or_b32 exec_lo, exec_lo, s13
	s_and_not1_saveexec_b32 s13, s40
	s_cbranch_execz .LBB6_2125
	s_branch .LBB6_2107
.LBB6_2068:                             ;   in Loop: Header=BB6_1993 Depth=2
	s_delay_alu instid0(VALU_DEP_1) | instskip(SKIP_1) | instid1(VALU_DEP_1)
	v_ashrrev_i32_e32 v100, 31, v9
	s_mov_b32 s13, exec_lo
	v_lshrrev_b32_e32 v100, 21, v100
	s_delay_alu instid0(VALU_DEP_1) | instskip(NEXT) | instid1(VALU_DEP_1)
	v_add_nc_u32_e32 v100, v9, v100
	v_ashrrev_i32_e32 v113, 11, v100
	s_delay_alu instid0(VALU_DEP_1) | instskip(NEXT) | instid1(VALU_DEP_1)
	v_sub_nc_u32_e32 v112, v113, v62
	v_cmpx_lt_i32_e32 0, v112
	s_cbranch_execz .LBB6_2072
; %bb.2069:                             ;   in Loop: Header=BB6_1993 Depth=2
	v_mov_b64_e32 v[100:101], v[14:15]
	v_mov_b64_e32 v[102:103], v[12:13]
	s_mov_b32 s40, 0
.LBB6_2070:                             ;   Parent Loop BB6_47 Depth=1
                                        ;     Parent Loop BB6_1993 Depth=2
                                        ; =>    This Inner Loop Header: Depth=3
	s_delay_alu instid0(VALU_DEP_1) | instskip(SKIP_1) | instid1(VALU_DEP_4)
	v_add_nc_u64_e32 v[56:57], v[70:71], v[102:103]
	v_sub_nc_u32_e32 v112, v112, v36
	v_add_nc_u64_e32 v[74:75], v[70:71], v[100:101]
	v_add_nc_u64_e32 v[102:103], v[102:103], v[52:53]
	v_add_nc_u64_e32 v[100:101], v[100:101], v[52:53]
	s_clause 0x3
	global_load_b128 v[116:119], v[56:57], off th:TH_LOAD_NT
	global_load_b128 v[40:43], v[56:57], off offset:512 th:TH_LOAD_NT
	global_load_b128 v[44:47], v[56:57], off offset:1024 th:TH_LOAD_NT
	;; [unrolled: 1-line block ×3, first 2 shown]
	v_cmp_gt_i32_e32 vcc_lo, 1, v112
	s_wait_loadcnt 0x3
	global_store_b128 v[74:75], v[116:119], off th:TH_STORE_NT
	s_wait_loadcnt 0x2
	global_store_b128 v[74:75], v[40:43], off offset:512 th:TH_STORE_NT
	s_wait_loadcnt 0x1
	global_store_b128 v[74:75], v[44:47], off offset:1024 th:TH_STORE_NT
	s_wait_loadcnt 0x0
	global_store_b128 v[74:75], v[56:59], off offset:1536 th:TH_STORE_NT
	s_or_b32 s40, vcc_lo, s40
	s_wait_xcnt 0x0
	s_and_not1_b32 exec_lo, exec_lo, s40
	s_cbranch_execnz .LBB6_2070
; %bb.2071:                             ;   in Loop: Header=BB6_1993 Depth=2
	s_or_b32 exec_lo, exec_lo, s40
.LBB6_2072:                             ;   in Loop: Header=BB6_1993 Depth=2
	s_delay_alu instid0(SALU_CYCLE_1) | instskip(SKIP_3) | instid1(VALU_DEP_1)
	s_or_b32 exec_lo, exec_lo, s13
	v_dual_lshlrev_b32 v102, 11, v113 :: v_dual_mov_b32 v116, 0
	s_mov_b32 s41, 0
	s_mov_b32 s40, exec_lo
                                        ; implicit-def: $vgpr117
	v_cmpx_ne_u32_e64 v9, v102
	s_cbranch_execz .LBB6_2078
; %bb.2073:                             ;   in Loop: Header=BB6_1993 Depth=2
	v_dual_lshlrev_b32 v100, 5, v112 :: v_dual_sub_nc_u32 v116, v9, v102
	s_mov_b32 s41, exec_lo
	s_delay_alu instid0(VALU_DEP_1) | instskip(NEXT) | instid1(VALU_DEP_2)
	v_sub_nc_u32_e32 v100, v61, v100
	v_ashrrev_i32_e32 v103, 31, v116
	s_delay_alu instid0(VALU_DEP_1) | instskip(NEXT) | instid1(VALU_DEP_1)
	v_dual_ashrrev_i32 v101, 31, v100 :: v_dual_lshrrev_b32 v103, 23, v103
	v_lshrrev_b32_e32 v101, 27, v101
	s_delay_alu instid0(VALU_DEP_1) | instskip(NEXT) | instid1(VALU_DEP_3)
	v_add_nc_u32_e32 v101, v100, v101
	v_add_nc_u32_e32 v117, v116, v103
	s_delay_alu instid0(VALU_DEP_2) | instskip(NEXT) | instid1(VALU_DEP_1)
	v_and_b32_e32 v112, 0xffffffe0, v101
	v_dual_ashrrev_i32 v101, 5, v101 :: v_dual_sub_nc_u32 v103, v100, v112
	s_delay_alu instid0(VALU_DEP_3) | instskip(NEXT) | instid1(VALU_DEP_2)
	v_and_b32_e32 v112, 0xfffffe00, v117
	v_dual_ashrrev_i32 v117, 9, v117 :: v_dual_lshlrev_b32 v100, 4, v103
	s_delay_alu instid0(VALU_DEP_2) | instskip(NEXT) | instid1(VALU_DEP_2)
	v_sub_nc_u32_e32 v113, v116, v112
	v_lshl_add_u32 v100, v101, 9, v100
	s_delay_alu instid0(VALU_DEP_2) | instskip(NEXT) | instid1(VALU_DEP_4)
	v_cmp_lt_i32_e32 vcc_lo, 15, v113
	v_add_co_ci_u32_e64 v118, null, 0, v117, vcc_lo
	s_delay_alu instid0(VALU_DEP_1) | instskip(NEXT) | instid1(VALU_DEP_1)
	v_dual_sub_nc_u32 v117, v116, v100 :: v_dual_sub_nc_u32 v116, v118, v101
	v_cmpx_lt_i32_e32 15, v117
	s_cbranch_execz .LBB6_2077
; %bb.2074:                             ;   in Loop: Header=BB6_1993 Depth=2
	v_add_nc_u32_e32 v100, v100, v102
	s_mov_b32 s60, 0
	s_delay_alu instid0(VALU_DEP_1)
	v_ashrrev_i32_e32 v101, 31, v100
.LBB6_2075:                             ;   Parent Loop BB6_47 Depth=1
                                        ;     Parent Loop BB6_1993 Depth=2
                                        ; =>    This Inner Loop Header: Depth=3
	s_delay_alu instid0(VALU_DEP_1) | instskip(SKIP_1) | instid1(VALU_DEP_1)
	v_add_nc_u64_e32 v[118:119], v[12:13], v[100:101]
	v_dual_sub_nc_u32 v117, v117, v54 :: v_dual_sub_nc_u32 v116, v116, v36
	v_cmp_gt_i32_e64 s13, 16, v117
	global_load_b128 v[40:43], v[118:119], off th:TH_LOAD_NT
	s_wait_xcnt 0x0
	v_add_nc_u64_e32 v[118:119], v[14:15], v[100:101]
	v_add_nc_u64_e32 v[100:101], v[100:101], v[54:55]
	s_or_b32 s60, s13, s60
	s_wait_loadcnt 0x0
	global_store_b128 v[118:119], v[40:43], off th:TH_STORE_NT
	s_wait_xcnt 0x0
	s_and_not1_b32 exec_lo, exec_lo, s60
	s_cbranch_execnz .LBB6_2075
; %bb.2076:                             ;   in Loop: Header=BB6_1993 Depth=2
	s_or_b32 exec_lo, exec_lo, s60
.LBB6_2077:                             ;   in Loop: Header=BB6_1993 Depth=2
	s_delay_alu instid0(SALU_CYCLE_1) | instskip(NEXT) | instid1(VALU_DEP_2)
	s_or_b32 exec_lo, exec_lo, s41
	v_cmp_lt_i32_e64 s13, 0, v116
	s_delay_alu instid0(VALU_DEP_1) | instskip(NEXT) | instid1(VALU_DEP_1)
	v_dual_cndmask_b32 v101, 0, v36, s13 :: v_dual_bitop2_b32 v9, 14, v9 bitop3:0x40
	v_dual_cndmask_b32 v9, v113, v9 :: v_dual_sub_nc_u32 v100, v113, v9
	s_delay_alu instid0(VALU_DEP_2) | instskip(NEXT) | instid1(VALU_DEP_2)
	v_sub_nc_u32_e32 v101, v101, v116
	v_cndmask_b32_e32 v100, 0, v100, vcc_lo
	s_delay_alu instid0(VALU_DEP_3) | instskip(NEXT) | instid1(VALU_DEP_3)
	v_cmp_ne_u32_e32 vcc_lo, 0, v9
	v_lshl_add_u32 v117, v101, 5, v103
	s_delay_alu instid0(VALU_DEP_3)
	v_add3_u32 v116, v112, v102, v100
	s_and_b32 s41, vcc_lo, exec_lo
.LBB6_2078:                             ;   in Loop: Header=BB6_1993 Depth=2
	s_or_b32 exec_lo, exec_lo, s40
	s_and_saveexec_b32 s13, s41
	s_cbranch_execz .LBB6_2087
.LBB6_2079:                             ;   in Loop: Header=BB6_1993 Depth=2
	v_ashrrev_i32_e32 v101, 31, v9
	s_mov_b32 s40, exec_lo
	s_delay_alu instid0(VALU_DEP_1) | instskip(NEXT) | instid1(VALU_DEP_1)
	v_lshrrev_b32_e32 v101, 23, v101
	v_add_nc_u32_e32 v101, v9, v101
	s_delay_alu instid0(VALU_DEP_1) | instskip(SKIP_1) | instid1(VALU_DEP_1)
	v_ashrrev_i32_e32 v40, 9, v101
	v_ashrrev_i32_e32 v100, 31, v117
	v_lshrrev_b32_e32 v100, 27, v100
	s_delay_alu instid0(VALU_DEP_1) | instskip(NEXT) | instid1(VALU_DEP_1)
	v_add_nc_u32_e32 v100, v117, v100
	v_ashrrev_i32_e32 v118, 5, v100
	s_delay_alu instid0(VALU_DEP_1) | instskip(NEXT) | instid1(VALU_DEP_1)
	v_sub_nc_u32_e32 v119, v40, v118
	v_cmpx_lt_i32_e32 0, v119
	s_cbranch_execz .LBB6_2083
; %bb.2080:                             ;   in Loop: Header=BB6_1993 Depth=2
	v_and_b32_e32 v100, 0x7fffffe0, v100
	v_mov_b64_e32 v[102:103], v[14:15]
	v_mov_b64_e32 v[112:113], v[12:13]
	s_mov_b32 s41, 0
	s_delay_alu instid0(VALU_DEP_3) | instskip(NEXT) | instid1(VALU_DEP_1)
	v_dual_lshlrev_b32 v101, 9, v118 :: v_dual_sub_nc_u32 v100, v117, v100
	v_lshlrev_b32_e32 v100, 1, v100
	s_delay_alu instid0(VALU_DEP_1) | instskip(NEXT) | instid1(VALU_DEP_1)
	v_add3_u32 v100, v100, v116, v101
	v_ashrrev_i32_e32 v101, 31, v100
.LBB6_2081:                             ;   Parent Loop BB6_47 Depth=1
                                        ;     Parent Loop BB6_1993 Depth=2
                                        ; =>    This Inner Loop Header: Depth=3
	s_delay_alu instid0(VALU_DEP_1)
	v_add_nc_u64_e32 v[42:43], v[100:101], v[112:113]
	v_sub_nc_u32_e32 v119, v119, v36
	v_add_nc_u64_e32 v[112:113], v[112:113], v[54:55]
	s_clause 0x7
	flat_load_u16 v41, v[42:43] th:TH_LOAD_NT
	flat_load_u16 v44, v[42:43] offset:64 th:TH_LOAD_NT
	flat_load_u16 v45, v[42:43] offset:128 th:TH_LOAD_NT
	;; [unrolled: 1-line block ×7, first 2 shown]
	s_wait_xcnt 0x0
	v_add_nc_u64_e32 v[42:43], v[100:101], v[102:103]
	v_add_nc_u64_e32 v[102:103], v[102:103], v[54:55]
	v_cmp_gt_i32_e32 vcc_lo, 1, v119
	s_wait_loadcnt_dscnt 0x707
	flat_store_b16 v[42:43], v41 th:TH_STORE_NT
	s_wait_loadcnt_dscnt 0x607
	flat_store_b16 v[42:43], v44 offset:64 th:TH_STORE_NT
	s_wait_loadcnt_dscnt 0x507
	flat_store_b16 v[42:43], v45 offset:128 th:TH_STORE_NT
	;; [unrolled: 2-line block ×7, first 2 shown]
	s_or_b32 s41, vcc_lo, s41
	s_wait_xcnt 0x0
	s_and_not1_b32 exec_lo, exec_lo, s41
	s_cbranch_execnz .LBB6_2081
; %bb.2082:                             ;   in Loop: Header=BB6_1993 Depth=2
	s_or_b32 exec_lo, exec_lo, s41
.LBB6_2083:                             ;   in Loop: Header=BB6_1993 Depth=2
	s_delay_alu instid0(SALU_CYCLE_1) | instskip(SKIP_1) | instid1(VALU_DEP_1)
	s_or_b32 exec_lo, exec_lo, s40
	v_lshlrev_b32_e32 v100, 9, v40
	v_cmp_ne_u32_e32 vcc_lo, v9, v100
	s_and_b32 exec_lo, exec_lo, vcc_lo
	s_cbranch_execz .LBB6_2087
; %bb.2084:                             ;   in Loop: Header=BB6_1993 Depth=2
	v_dual_lshlrev_b32 v101, 5, v118 :: v_dual_lshlrev_b32 v102, 5, v119
	s_delay_alu instid0(VALU_DEP_1) | instskip(NEXT) | instid1(VALU_DEP_1)
	v_sub_nc_u32_e32 v101, v117, v101
	v_sub_nc_u32_e32 v101, v101, v102
	s_delay_alu instid0(VALU_DEP_1) | instskip(NEXT) | instid1(VALU_DEP_1)
	v_ashrrev_i32_e32 v102, 31, v101
	v_lshrrev_b32_e32 v102, 27, v102
	s_delay_alu instid0(VALU_DEP_1) | instskip(NEXT) | instid1(VALU_DEP_1)
	v_add_nc_u32_e32 v102, v101, v102
	v_and_b32_e32 v103, 0x7fffffe0, v102
	s_delay_alu instid0(VALU_DEP_1) | instskip(NEXT) | instid1(VALU_DEP_1)
	v_dual_lshlrev_b32 v102, 1, v102 :: v_dual_sub_nc_u32 v101, v101, v103
	v_and_b32_e32 v102, 0xffffffc0, v102
	s_delay_alu instid0(VALU_DEP_2) | instskip(NEXT) | instid1(VALU_DEP_1)
	v_lshlrev_b32_e32 v101, 1, v101
	v_add3_u32 v100, v102, v101, v100
	s_delay_alu instid0(VALU_DEP_1) | instskip(NEXT) | instid1(VALU_DEP_1)
	v_sub_nc_u32_e32 v9, v9, v100
	v_cmp_lt_i32_e32 vcc_lo, 1, v9
	s_and_b32 exec_lo, exec_lo, vcc_lo
	s_cbranch_execz .LBB6_2087
; %bb.2085:                             ;   in Loop: Header=BB6_1993 Depth=2
	v_add_nc_u32_e32 v100, v100, v116
	s_mov_b32 s40, 0
	s_delay_alu instid0(VALU_DEP_1)
	v_ashrrev_i32_e32 v101, 31, v100
.LBB6_2086:                             ;   Parent Loop BB6_47 Depth=1
                                        ;     Parent Loop BB6_1993 Depth=2
                                        ; =>    This Inner Loop Header: Depth=3
	s_delay_alu instid0(VALU_DEP_1) | instskip(SKIP_1) | instid1(VALU_DEP_1)
	v_add_nc_u64_e32 v[102:103], v[12:13], v[100:101]
	v_sub_nc_u32_e32 v9, v9, v64
	v_cmp_gt_i32_e32 vcc_lo, 2, v9
	flat_load_u16 v112, v[102:103] th:TH_LOAD_NT
	s_wait_xcnt 0x0
	v_add_nc_u64_e32 v[102:103], v[14:15], v[100:101]
	v_add_nc_u64_e32 v[100:101], v[100:101], v[64:65]
	s_or_b32 s40, vcc_lo, s40
	s_wait_loadcnt_dscnt 0x0
	flat_store_b16 v[102:103], v112 th:TH_STORE_NT
	s_wait_xcnt 0x0
	s_and_not1_b32 exec_lo, exec_lo, s40
	s_cbranch_execnz .LBB6_2086
.LBB6_2087:                             ;   in Loop: Header=BB6_1993 Depth=2
	s_or_b32 exec_lo, exec_lo, s13
	v_cmp_lt_i32_e64 s13, 0, v2
	s_and_saveexec_b32 s40, s2
	s_cbranch_execz .LBB6_2064
.LBB6_2088:                             ;   in Loop: Header=BB6_1993 Depth=2
	s_and_saveexec_b32 s41, s3
	s_delay_alu instid0(SALU_CYCLE_1)
	s_xor_b32 s41, exec_lo, s41
	s_cbranch_execz .LBB6_2103
; %bb.2089:                             ;   in Loop: Header=BB6_1993 Depth=2
	s_and_saveexec_b32 s60, s6
	s_cbranch_execz .LBB6_2102
; %bb.2090:                             ;   in Loop: Header=BB6_1993 Depth=2
	s_mov_b32 s62, exec_lo
	s_mov_b32 s61, exec_lo
	v_mbcnt_lo_u32_b32 v2, s62, 0
	global_wb scope:SCOPE_DEV
	s_wait_storecnt 0x0
	s_wait_loadcnt_dscnt 0x0
	global_inv scope:SCOPE_DEV
	v_cmpx_eq_u32_e32 0, v2
	s_cbranch_execz .LBB6_2092
; %bb.2091:                             ;   in Loop: Header=BB6_1993 Depth=2
	s_bcnt1_i32_b32 s62, s62
	s_delay_alu instid0(SALU_CYCLE_1)
	v_mov_b32_e32 v2, s62
	s_wait_loadcnt 0x0
	ds_add_u64 v0, v[2:3]
	s_trap 2
.LBB6_2092:                             ;   in Loop: Header=BB6_1993 Depth=2
	s_or_b32 exec_lo, exec_lo, s61
	s_trap 2
	ds_load_b64 v[12:13], v0
	s_wait_dscnt 0x0
	v_add_nc_u64_e32 v[32:33], v[32:33], v[36:37]
	s_mov_b32 s61, exec_lo
	s_delay_alu instid0(VALU_DEP_1)
	v_cmpx_lt_u64_e64 v[12:13], v[32:33]
	s_cbranch_execz .LBB6_2101
; %bb.2093:                             ;   in Loop: Header=BB6_1993 Depth=2
	s_mov_b32 s62, 0
	s_mov_b32 s73, 0
                                        ; implicit-def: $sgpr63
                                        ; implicit-def: $sgpr72
	s_branch .LBB6_2095
.LBB6_2094:                             ;   in Loop: Header=BB6_2095 Depth=3
	s_or_b32 exec_lo, exec_lo, s75
	s_delay_alu instid0(SALU_CYCLE_1) | instskip(NEXT) | instid1(SALU_CYCLE_1)
	s_and_b32 s74, exec_lo, s76
	s_or_b32 s62, s74, s62
	s_and_not1_b32 s63, s63, exec_lo
	s_and_b32 s74, s72, exec_lo
	s_delay_alu instid0(SALU_CYCLE_1)
	s_or_b32 s63, s63, s74
	s_and_not1_b32 exec_lo, exec_lo, s62
	s_cbranch_execz .LBB6_2099
.LBB6_2095:                             ;   Parent Loop BB6_47 Depth=1
                                        ;     Parent Loop BB6_1993 Depth=2
                                        ; =>    This Inner Loop Header: Depth=3
	s_add_co_i32 s73, s73, 1
	s_delay_alu instid0(SALU_CYCLE_1) | instskip(SKIP_1) | instid1(SALU_CYCLE_1)
	s_cmp_lg_u32 s73, 0x2710
	s_cselect_b32 s74, -1, 0
	s_and_b32 vcc_lo, exec_lo, s74
	s_cbranch_vccz .LBB6_2097
; %bb.2096:                             ;   in Loop: Header=BB6_2095 Depth=3
	s_mov_b32 s76, -1
	s_or_b32 s72, s72, exec_lo
	s_and_saveexec_b32 s75, s74
	s_cbranch_execz .LBB6_2094
	s_branch .LBB6_2098
.LBB6_2097:                             ;   in Loop: Header=BB6_2095 Depth=3
	s_trap 2
	ds_load_b64 v[12:13], v0
	s_and_not1_b32 s74, s74, exec_lo
	s_mov_b32 s73, 0
	s_wait_loadcnt_dscnt 0x0
	flat_load_b32 v2, v[12:13] scope:SCOPE_SYS
	s_wait_loadcnt_dscnt 0x0
	global_inv scope:SCOPE_SYS
	v_cmp_eq_u32_e32 vcc_lo, 0, v2
	s_and_b32 s75, vcc_lo, exec_lo
	s_delay_alu instid0(SALU_CYCLE_1)
	s_or_b32 s74, s74, s75
	s_mov_b32 s76, -1
	s_or_b32 s72, s72, exec_lo
	s_and_saveexec_b32 s75, s74
	s_cbranch_execz .LBB6_2094
.LBB6_2098:                             ;   in Loop: Header=BB6_2095 Depth=3
	s_sleep 1
	s_trap 2
	ds_load_b64 v[12:13], v0
	s_wait_dscnt 0x0
	s_and_not1_b32 s72, s72, exec_lo
	v_cmp_ge_u64_e32 vcc_lo, v[12:13], v[32:33]
	s_or_not1_b32 s76, vcc_lo, exec_lo
	s_branch .LBB6_2094
.LBB6_2099:                             ;   in Loop: Header=BB6_1993 Depth=2
	s_or_b32 exec_lo, exec_lo, s62
	s_and_saveexec_b32 s62, s63
	s_delay_alu instid0(SALU_CYCLE_1)
	s_xor_b32 s62, exec_lo, s62
	s_cbranch_execz .LBB6_2101
; %bb.2100:                             ;   in Loop: Header=BB6_1993 Depth=2
	ds_store_b32 v0, v63
	s_trap 2
.LBB6_2101:                             ;   in Loop: Header=BB6_1993 Depth=2
	s_or_b32 exec_lo, exec_lo, s61
	;;#ASMSTART
	s_wakeup
	;;#ASMEND
.LBB6_2102:                             ;   in Loop: Header=BB6_1993 Depth=2
	s_or_b32 exec_lo, exec_lo, s60
.LBB6_2103:                             ;   in Loop: Header=BB6_1993 Depth=2
	s_and_not1_saveexec_b32 s41, s41
	s_cbranch_execz .LBB6_2105
; %bb.2104:                             ;   in Loop: Header=BB6_1993 Depth=2
	global_wb scope:SCOPE_DEV
	s_wait_storecnt 0x0
	s_wait_loadcnt_dscnt 0x0
	global_inv scope:SCOPE_DEV
	s_barrier_signal -1
	s_barrier_wait -1
.LBB6_2105:                             ;   in Loop: Header=BB6_1993 Depth=2
	s_or_b32 exec_lo, exec_lo, s41
	s_delay_alu instid0(SALU_CYCLE_1) | instskip(SKIP_1) | instid1(SALU_CYCLE_1)
	s_or_b32 exec_lo, exec_lo, s40
	s_and_saveexec_b32 s40, s12
	s_xor_b32 s40, exec_lo, s40
	s_cbranch_execnz .LBB6_2065
.LBB6_2106:                             ;   in Loop: Header=BB6_1993 Depth=2
	s_and_not1_saveexec_b32 s13, s40
	s_cbranch_execz .LBB6_2125
.LBB6_2107:                             ;   in Loop: Header=BB6_1993 Depth=2
	s_and_saveexec_b32 s40, s3
	s_delay_alu instid0(SALU_CYCLE_1)
	s_xor_b32 s40, exec_lo, s40
	s_cbranch_execz .LBB6_2122
; %bb.2108:                             ;   in Loop: Header=BB6_1993 Depth=2
	s_and_saveexec_b32 s41, s6
	s_cbranch_execz .LBB6_2121
; %bb.2109:                             ;   in Loop: Header=BB6_1993 Depth=2
	s_mov_b32 s61, exec_lo
	s_mov_b32 s60, exec_lo
	v_mbcnt_lo_u32_b32 v2, s61, 0
	;;#ASMSTART
	s_waitcnt lgkmcnt(0) vmcnt(0)
	;;#ASMEND
	s_delay_alu instid0(VALU_DEP_1)
	v_cmpx_eq_u32_e32 0, v2
	s_cbranch_execz .LBB6_2111
; %bb.2110:                             ;   in Loop: Header=BB6_1993 Depth=2
	s_bcnt1_i32_b32 s61, s61
	s_delay_alu instid0(SALU_CYCLE_1)
	v_mov_b32_e32 v2, s61
	s_wait_storecnt 0x0
	s_wait_loadcnt_dscnt 0x0
	ds_add_u64 v0, v[2:3]
	s_trap 2
.LBB6_2111:                             ;   in Loop: Header=BB6_1993 Depth=2
	s_or_b32 exec_lo, exec_lo, s60
	s_trap 2
	ds_load_b64 v[12:13], v0
	s_wait_dscnt 0x0
	v_add_nc_u64_e32 v[32:33], v[32:33], v[36:37]
	s_mov_b32 s60, exec_lo
	s_delay_alu instid0(VALU_DEP_1)
	v_cmpx_lt_u64_e64 v[12:13], v[32:33]
	s_cbranch_execz .LBB6_2120
; %bb.2112:                             ;   in Loop: Header=BB6_1993 Depth=2
	s_mov_b32 s61, 0
	s_mov_b32 s72, 0
                                        ; implicit-def: $sgpr62
                                        ; implicit-def: $sgpr63
	s_branch .LBB6_2114
.LBB6_2113:                             ;   in Loop: Header=BB6_2114 Depth=3
	s_or_b32 exec_lo, exec_lo, s74
	s_delay_alu instid0(SALU_CYCLE_1) | instskip(NEXT) | instid1(SALU_CYCLE_1)
	s_and_b32 s73, exec_lo, s75
	s_or_b32 s61, s73, s61
	s_and_not1_b32 s62, s62, exec_lo
	s_and_b32 s73, s63, exec_lo
	s_delay_alu instid0(SALU_CYCLE_1)
	s_or_b32 s62, s62, s73
	s_and_not1_b32 exec_lo, exec_lo, s61
	s_cbranch_execz .LBB6_2118
.LBB6_2114:                             ;   Parent Loop BB6_47 Depth=1
                                        ;     Parent Loop BB6_1993 Depth=2
                                        ; =>    This Inner Loop Header: Depth=3
	s_add_co_i32 s72, s72, 1
	s_delay_alu instid0(SALU_CYCLE_1) | instskip(SKIP_1) | instid1(SALU_CYCLE_1)
	s_cmp_lg_u32 s72, 0x2710
	s_cselect_b32 s73, -1, 0
	s_and_b32 vcc_lo, exec_lo, s73
	s_cbranch_vccz .LBB6_2116
; %bb.2115:                             ;   in Loop: Header=BB6_2114 Depth=3
	s_mov_b32 s75, -1
	s_or_b32 s63, s63, exec_lo
	s_and_saveexec_b32 s74, s73
	s_cbranch_execz .LBB6_2113
	s_branch .LBB6_2117
.LBB6_2116:                             ;   in Loop: Header=BB6_2114 Depth=3
	s_trap 2
	ds_load_b64 v[12:13], v0
	s_and_not1_b32 s73, s73, exec_lo
	s_mov_b32 s72, 0
	s_wait_storecnt 0x0
	s_wait_loadcnt_dscnt 0x0
	flat_load_b32 v2, v[12:13] scope:SCOPE_SYS
	s_wait_loadcnt_dscnt 0x0
	global_inv scope:SCOPE_SYS
	v_cmp_eq_u32_e32 vcc_lo, 0, v2
	s_and_b32 s74, vcc_lo, exec_lo
	s_delay_alu instid0(SALU_CYCLE_1)
	s_or_b32 s73, s73, s74
	s_mov_b32 s75, -1
	s_or_b32 s63, s63, exec_lo
	s_and_saveexec_b32 s74, s73
	s_cbranch_execz .LBB6_2113
.LBB6_2117:                             ;   in Loop: Header=BB6_2114 Depth=3
	s_sleep 1
	s_trap 2
	ds_load_b64 v[12:13], v0
	s_wait_dscnt 0x0
	s_and_not1_b32 s63, s63, exec_lo
	v_cmp_ge_u64_e32 vcc_lo, v[12:13], v[32:33]
	s_or_not1_b32 s75, vcc_lo, exec_lo
	s_branch .LBB6_2113
.LBB6_2118:                             ;   in Loop: Header=BB6_1993 Depth=2
	s_or_b32 exec_lo, exec_lo, s61
	s_and_saveexec_b32 s61, s62
	s_delay_alu instid0(SALU_CYCLE_1)
	s_xor_b32 s61, exec_lo, s61
	s_cbranch_execz .LBB6_2120
; %bb.2119:                             ;   in Loop: Header=BB6_1993 Depth=2
	ds_store_b32 v0, v63
	s_trap 2
.LBB6_2120:                             ;   in Loop: Header=BB6_1993 Depth=2
	s_or_b32 exec_lo, exec_lo, s60
	;;#ASMSTART
	s_wakeup
	;;#ASMEND
.LBB6_2121:                             ;   in Loop: Header=BB6_1993 Depth=2
	s_or_b32 exec_lo, exec_lo, s41
.LBB6_2122:                             ;   in Loop: Header=BB6_1993 Depth=2
	s_and_not1_saveexec_b32 s40, s40
	s_cbranch_execz .LBB6_2124
; %bb.2123:                             ;   in Loop: Header=BB6_1993 Depth=2
	;;#ASMSTART
	s_waitcnt lgkmcnt(0) vmcnt(0)
	;;#ASMEND
	s_barrier_signal -1
	s_barrier_wait -1
.LBB6_2124:                             ;   in Loop: Header=BB6_1993 Depth=2
	s_or_b32 exec_lo, exec_lo, s40
.LBB6_2125:                             ;   in Loop: Header=BB6_1993 Depth=2
	s_delay_alu instid0(SALU_CYCLE_1) | instskip(SKIP_2) | instid1(VALU_DEP_1)
	s_or_b32 exec_lo, exec_lo, s13
	v_and_b32_e32 v2, 32, v30
	s_mov_b32 s13, exec_lo
	v_cmpx_ne_u32_e32 0, v2
	s_cbranch_execz .LBB6_1992
; %bb.2126:                             ;   in Loop: Header=BB6_1993 Depth=2
	v_add_nc_u64_e32 v[98:99], 2, v[98:99]
	global_wb scope:SCOPE_SYS
	s_wait_storecnt 0x0
	s_wait_loadcnt_dscnt 0x0
	flat_store_b64 v[22:23], v[98:99] scope:SCOPE_SYS
	s_branch .LBB6_1992
.LBB6_2127:                             ;   in Loop: Header=BB6_47 Depth=1
	s_or_b32 exec_lo, exec_lo, s15
.LBB6_2128:                             ;   in Loop: Header=BB6_47 Depth=1
	s_delay_alu instid0(SALU_CYCLE_1) | instskip(NEXT) | instid1(SALU_CYCLE_1)
	s_or_b32 exec_lo, exec_lo, s14
	s_mov_b32 s14, exec_lo
	v_cmpx_gt_i32_e32 2, v2
	s_cbranch_execz .LBB6_46
; %bb.2129:                             ;   in Loop: Header=BB6_47 Depth=1
	v_cmp_eq_u32_e64 s18, 0, v2
	s_mov_b32 s15, 0
	s_branch .LBB6_2131
.LBB6_2130:                             ;   in Loop: Header=BB6_2131 Depth=2
	s_wait_xcnt 0x0
	s_or_b32 exec_lo, exec_lo, s13
	v_add_nc_u32_e32 v8, v115, v8
	s_mov_b32 s18, 0
	s_and_not1_b32 exec_lo, exec_lo, s15
	s_cbranch_execz .LBB6_45
.LBB6_2131:                             ;   Parent Loop BB6_47 Depth=1
                                        ; =>  This Loop Header: Depth=2
                                        ;       Child Loop BB6_2137 Depth 3
                                        ;       Child Loop BB6_2161 Depth 3
	;; [unrolled: 1-line block ×3, first 2 shown]
	v_and_b32_e32 v2, 4, v30
	s_mov_b32 s27, exec_lo
	s_delay_alu instid0(VALU_DEP_1)
	v_cmpx_ne_u32_e32 0, v2
	s_cbranch_execz .LBB6_2153
; %bb.2132:                             ;   in Loop: Header=BB6_2131 Depth=2
	v_add_nc_u64_e32 v[10:11], 2, v[98:99]
	s_mov_b32 s40, exec_lo
	s_wait_loadcnt_dscnt 0x1
	s_delay_alu instid0(VALU_DEP_1)
	v_cmpx_lt_u64_e64 v[34:35], v[10:11]
	s_cbranch_execz .LBB6_2144
; %bb.2133:                             ;   in Loop: Header=BB6_2131 Depth=2
	v_and_b32_e32 v2, 64, v30
	s_mov_b32 s41, 0
	s_mov_b32 s63, 0
                                        ; implicit-def: $sgpr60
                                        ; implicit-def: $sgpr61
                                        ; implicit-def: $sgpr62
	s_delay_alu instid0(VALU_DEP_1)
	v_cmp_eq_u32_e32 vcc_lo, 0, v2
	s_branch .LBB6_2137
.LBB6_2134:                             ;   in Loop: Header=BB6_2137 Depth=3
	s_wait_loadcnt_dscnt 0x0
	v_cmp_ge_u64_e64 s13, v[34:35], v[10:11]
	s_or_b32 s74, s74, exec_lo
	s_or_not1_b32 s73, s13, exec_lo
.LBB6_2135:                             ;   in Loop: Header=BB6_2137 Depth=3
	s_or_b32 exec_lo, exec_lo, s76
	s_delay_alu instid0(SALU_CYCLE_1)
	s_and_not1_b32 s13, s62, exec_lo
	s_and_b32 s62, s74, exec_lo
	s_and_not1_b32 s61, s61, exec_lo
	s_and_b32 s73, s73, exec_lo
	s_or_b32 s62, s13, s62
	s_or_b32 s61, s61, s73
.LBB6_2136:                             ;   in Loop: Header=BB6_2137 Depth=3
	s_or_b32 exec_lo, exec_lo, s72
	s_delay_alu instid0(SALU_CYCLE_1) | instskip(NEXT) | instid1(SALU_CYCLE_1)
	s_and_b32 s13, exec_lo, s61
	s_or_b32 s41, s13, s41
	s_and_not1_b32 s13, s60, exec_lo
	s_and_b32 s60, s62, exec_lo
	s_delay_alu instid0(SALU_CYCLE_1)
	s_or_b32 s60, s13, s60
	s_and_not1_b32 exec_lo, exec_lo, s41
	s_cbranch_execz .LBB6_2141
.LBB6_2137:                             ;   Parent Loop BB6_47 Depth=1
                                        ;     Parent Loop BB6_2131 Depth=2
                                        ; =>    This Inner Loop Header: Depth=3
	s_sleep 1
	s_wait_loadcnt_dscnt 0x0
	flat_load_b64 v[34:35], v[22:23] scope:SCOPE_SYS
	s_or_b32 s62, s62, exec_lo
	s_or_b32 s61, s61, exec_lo
                                        ; implicit-def: $vgpr2
	s_wait_xcnt 0x0
	s_and_saveexec_b32 s72, vcc_lo
	s_cbranch_execz .LBB6_2136
; %bb.2138:                             ;   in Loop: Header=BB6_2137 Depth=3
	s_cmp_lt_i32 s63, 0x270f
	s_mov_b32 s73, -1
	s_cselect_b32 s75, -1, 0
	s_cmp_gt_i32 s63, 0x270e
	s_cbranch_scc0 .LBB6_2140
; %bb.2139:                             ;   in Loop: Header=BB6_2137 Depth=3
	s_trap 2
	ds_load_b64 v[12:13], v0
	s_and_not1_b32 s63, s75, exec_lo
	s_mov_b32 s74, 0
	s_wait_storecnt 0x0
	s_wait_loadcnt_dscnt 0x0
	flat_load_b32 v2, v[12:13] scope:SCOPE_SYS
	s_wait_loadcnt_dscnt 0x0
	global_inv scope:SCOPE_SYS
	v_cmp_eq_u32_e64 s13, 0, v2
	s_and_b32 s13, s13, exec_lo
	s_delay_alu instid0(SALU_CYCLE_1)
	s_or_b32 s75, s63, s13
	s_mov_b32 s63, 0
	s_and_saveexec_b32 s76, s75
	s_cbranch_execz .LBB6_2135
	s_branch .LBB6_2134
.LBB6_2140:                             ;   in Loop: Header=BB6_2137 Depth=3
	s_add_co_i32 s63, s63, 1
	s_mov_b32 s74, -1
                                        ; implicit-def: $vgpr2
	s_and_saveexec_b32 s76, s75
	s_cbranch_execz .LBB6_2135
	s_branch .LBB6_2134
.LBB6_2141:                             ;   in Loop: Header=BB6_2131 Depth=2
	s_or_b32 exec_lo, exec_lo, s41
	s_xor_b32 s13, s60, -1
	s_delay_alu instid0(SALU_CYCLE_1) | instskip(NEXT) | instid1(SALU_CYCLE_1)
	s_and_saveexec_b32 s41, s13
	s_xor_b32 s13, exec_lo, s41
	s_cbranch_execz .LBB6_2143
; %bb.2142:                             ;   in Loop: Header=BB6_2131 Depth=2
	v_or_b32_e32 v30, 64, v30
	s_wait_storecnt 0x0
	s_wait_loadcnt_dscnt 0x0
	ds_store_b32 v0, v2
	s_trap 2
.LBB6_2143:                             ;   in Loop: Header=BB6_2131 Depth=2
	s_or_b32 exec_lo, exec_lo, s13
.LBB6_2144:                             ;   in Loop: Header=BB6_2131 Depth=2
	s_delay_alu instid0(SALU_CYCLE_1) | instskip(SKIP_3) | instid1(VALU_DEP_1)
	s_or_b32 exec_lo, exec_lo, s40
	v_and_b32_e32 v2, 0x100, v30
	s_mov_b32 s13, -1
	;;#ASMSTART
	s_wakeup
	;;#ASMEND
                                        ; implicit-def: $vgpr12_vgpr13
	v_cmp_ne_u32_e32 vcc_lo, 0, v2
	v_and_b32_e32 v2, 7, v98
	s_and_saveexec_b32 s40, vcc_lo
	s_cbranch_execz .LBB6_2148
; %bb.2145:                             ;   in Loop: Header=BB6_2131 Depth=2
	s_delay_alu instid0(VALU_DEP_1)
	v_mad_nc_u64_u32 v[14:15], v2, 24, v[6:7]
	s_mov_b32 s41, exec_lo
                                        ; implicit-def: $vgpr12_vgpr13
	flat_load_b32 v9, v[14:15]
	s_wait_loadcnt_dscnt 0x0
	v_cmp_ne_u32_e32 vcc_lo, 1, v9
	s_wait_xcnt 0x0
	v_cmpx_eq_u32_e32 1, v9
	s_cbranch_execz .LBB6_2147
; %bb.2146:                             ;   in Loop: Header=BB6_2131 Depth=2
	flat_load_b32 v12, v[14:15] offset:4 scope:SCOPE_SYS
	s_wait_loadcnt_dscnt 0x0
	v_ashrrev_i32_e32 v13, 31, v12
	s_delay_alu instid0(VALU_DEP_1)
	v_lshrrev_b64 v[12:13], 1, v[12:13]
.LBB6_2147:                             ;   in Loop: Header=BB6_2131 Depth=2
	s_wait_xcnt 0x0
	s_or_b32 exec_lo, exec_lo, s41
	s_delay_alu instid0(SALU_CYCLE_1)
	s_or_not1_b32 s13, vcc_lo, exec_lo
.LBB6_2148:                             ;   in Loop: Header=BB6_2131 Depth=2
	s_or_b32 exec_lo, exec_lo, s40
	s_and_saveexec_b32 s40, s13
; %bb.2149:                             ;   in Loop: Header=BB6_2131 Depth=2
	v_mul_u64_e32 v[12:13], v[2:3], v[24:25]
; %bb.2150:                             ;   in Loop: Header=BB6_2131 Depth=2
	s_or_b32 exec_lo, exec_lo, s40
	v_and_b32_e32 v2, 0x2000, v30
	s_delay_alu instid0(VALU_DEP_2)
	v_lshl_add_u64 v[12:13], v[12:13], 1, v[26:27]
	s_mov_b32 s13, exec_lo
	ds_store_b64 v0, v[12:13] offset:720
	v_cmpx_ne_u32_e32 0, v2
	s_cbranch_execz .LBB6_2152
; %bb.2151:                             ;   in Loop: Header=BB6_2131 Depth=2
	ds_load_b64 v[12:13], v0 offset:872
	s_wait_dscnt 0x0
	v_add_nc_u64_e32 v[12:13], 1, v[12:13]
	ds_store_b64 v0, v[12:13] offset:872
.LBB6_2152:                             ;   in Loop: Header=BB6_2131 Depth=2
	s_or_b32 exec_lo, exec_lo, s13
	v_mov_b64_e32 v[98:99], v[10:11]
.LBB6_2153:                             ;   in Loop: Header=BB6_2131 Depth=2
	s_or_b32 exec_lo, exec_lo, s27
	s_xor_b32 s13, s18, -1
	s_delay_alu instid0(SALU_CYCLE_1) | instskip(NEXT) | instid1(SALU_CYCLE_1)
	s_and_b32 s13, exec_lo, s13
	s_or_b32 s15, s13, s15
	s_and_saveexec_b32 s13, s2
	s_cbranch_execz .LBB6_2172
; %bb.2154:                             ;   in Loop: Header=BB6_2131 Depth=2
	s_and_saveexec_b32 s18, s3
	s_delay_alu instid0(SALU_CYCLE_1)
	s_xor_b32 s18, exec_lo, s18
	s_cbranch_execz .LBB6_2169
; %bb.2155:                             ;   in Loop: Header=BB6_2131 Depth=2
	s_and_saveexec_b32 s27, s6
	s_cbranch_execz .LBB6_2168
; %bb.2156:                             ;   in Loop: Header=BB6_2131 Depth=2
	s_mov_b32 s41, exec_lo
	s_mov_b32 s40, exec_lo
	v_mbcnt_lo_u32_b32 v2, s41, 0
	global_wb scope:SCOPE_DEV
	s_wait_storecnt 0x0
	s_wait_loadcnt_dscnt 0x0
	global_inv scope:SCOPE_DEV
	v_cmpx_eq_u32_e32 0, v2
	s_cbranch_execz .LBB6_2158
; %bb.2157:                             ;   in Loop: Header=BB6_2131 Depth=2
	s_bcnt1_i32_b32 s41, s41
	s_delay_alu instid0(SALU_CYCLE_1)
	v_mov_b32_e32 v2, s41
	s_wait_loadcnt 0x0
	ds_add_u64 v0, v[2:3]
	s_trap 2
.LBB6_2158:                             ;   in Loop: Header=BB6_2131 Depth=2
	s_or_b32 exec_lo, exec_lo, s40
	s_trap 2
	ds_load_b64 v[10:11], v0
	s_wait_dscnt 0x0
	v_add_nc_u64_e32 v[32:33], v[32:33], v[36:37]
	s_mov_b32 s40, exec_lo
	s_delay_alu instid0(VALU_DEP_1)
	v_cmpx_lt_u64_e64 v[10:11], v[32:33]
	s_cbranch_execz .LBB6_2167
; %bb.2159:                             ;   in Loop: Header=BB6_2131 Depth=2
	s_mov_b32 s41, 0
	s_mov_b32 s62, 0
                                        ; implicit-def: $sgpr60
                                        ; implicit-def: $sgpr61
	s_branch .LBB6_2161
.LBB6_2160:                             ;   in Loop: Header=BB6_2161 Depth=3
	s_or_b32 exec_lo, exec_lo, s72
	s_delay_alu instid0(SALU_CYCLE_1) | instskip(NEXT) | instid1(SALU_CYCLE_1)
	s_and_b32 s63, exec_lo, s73
	s_or_b32 s41, s63, s41
	s_and_not1_b32 s60, s60, exec_lo
	s_and_b32 s63, s61, exec_lo
	s_delay_alu instid0(SALU_CYCLE_1)
	s_or_b32 s60, s60, s63
	s_and_not1_b32 exec_lo, exec_lo, s41
	s_cbranch_execz .LBB6_2165
.LBB6_2161:                             ;   Parent Loop BB6_47 Depth=1
                                        ;     Parent Loop BB6_2131 Depth=2
                                        ; =>    This Inner Loop Header: Depth=3
	s_add_co_i32 s62, s62, 1
	s_delay_alu instid0(SALU_CYCLE_1) | instskip(SKIP_1) | instid1(SALU_CYCLE_1)
	s_cmp_lg_u32 s62, 0x2710
	s_cselect_b32 s63, -1, 0
	s_and_b32 vcc_lo, exec_lo, s63
	s_cbranch_vccz .LBB6_2163
; %bb.2162:                             ;   in Loop: Header=BB6_2161 Depth=3
	s_mov_b32 s73, -1
	s_or_b32 s61, s61, exec_lo
	s_and_saveexec_b32 s72, s63
	s_cbranch_execz .LBB6_2160
	s_branch .LBB6_2164
.LBB6_2163:                             ;   in Loop: Header=BB6_2161 Depth=3
	s_trap 2
	ds_load_b64 v[10:11], v0
	s_and_not1_b32 s63, s63, exec_lo
	s_mov_b32 s62, 0
	s_wait_loadcnt_dscnt 0x0
	flat_load_b32 v2, v[10:11] scope:SCOPE_SYS
	s_wait_loadcnt_dscnt 0x0
	global_inv scope:SCOPE_SYS
	v_cmp_eq_u32_e32 vcc_lo, 0, v2
	s_and_b32 s72, vcc_lo, exec_lo
	s_delay_alu instid0(SALU_CYCLE_1)
	s_or_b32 s63, s63, s72
	s_mov_b32 s73, -1
	s_or_b32 s61, s61, exec_lo
	s_and_saveexec_b32 s72, s63
	s_cbranch_execz .LBB6_2160
.LBB6_2164:                             ;   in Loop: Header=BB6_2161 Depth=3
	s_sleep 1
	s_trap 2
	ds_load_b64 v[10:11], v0
	s_wait_dscnt 0x0
	s_and_not1_b32 s61, s61, exec_lo
	v_cmp_ge_u64_e32 vcc_lo, v[10:11], v[32:33]
	s_or_not1_b32 s73, vcc_lo, exec_lo
	s_branch .LBB6_2160
.LBB6_2165:                             ;   in Loop: Header=BB6_2131 Depth=2
	s_or_b32 exec_lo, exec_lo, s41
	s_and_saveexec_b32 s41, s60
	s_delay_alu instid0(SALU_CYCLE_1)
	s_xor_b32 s41, exec_lo, s41
	s_cbranch_execz .LBB6_2167
; %bb.2166:                             ;   in Loop: Header=BB6_2131 Depth=2
	ds_store_b32 v0, v63
	s_trap 2
.LBB6_2167:                             ;   in Loop: Header=BB6_2131 Depth=2
	s_or_b32 exec_lo, exec_lo, s40
	;;#ASMSTART
	s_wakeup
	;;#ASMEND
.LBB6_2168:                             ;   in Loop: Header=BB6_2131 Depth=2
	s_or_b32 exec_lo, exec_lo, s27
.LBB6_2169:                             ;   in Loop: Header=BB6_2131 Depth=2
	s_and_not1_saveexec_b32 s18, s18
	s_cbranch_execz .LBB6_2171
; %bb.2170:                             ;   in Loop: Header=BB6_2131 Depth=2
	global_wb scope:SCOPE_DEV
	s_wait_storecnt 0x0
	s_wait_loadcnt_dscnt 0x0
	global_inv scope:SCOPE_DEV
	s_barrier_signal -1
	s_barrier_wait -1
.LBB6_2171:                             ;   in Loop: Header=BB6_2131 Depth=2
	s_or_b32 exec_lo, exec_lo, s18
.LBB6_2172:                             ;   in Loop: Header=BB6_2131 Depth=2
	s_delay_alu instid0(SALU_CYCLE_1) | instskip(SKIP_1) | instid1(VALU_DEP_1)
	s_or_b32 exec_lo, exec_lo, s13
	v_sub_nc_u32_e32 v2, v114, v8
	v_min_i32_e32 v115, v115, v2
	s_and_saveexec_b32 s13, s12
	s_delay_alu instid0(SALU_CYCLE_1)
	s_xor_b32 s18, exec_lo, s13
	s_cbranch_execz .LBB6_2176
; %bb.2173:                             ;   in Loop: Header=BB6_2131 Depth=2
	s_trap 2
	ds_load_b32 v2, v0
	v_cmp_lt_i32_e32 vcc_lo, 0, v115
	s_wait_dscnt 0x0
	v_readfirstlane_b32 s13, v2
	v_and_b32_e32 v2, 16, v30
	s_cmp_eq_u32 s13, 0
	s_delay_alu instid0(VALU_DEP_1) | instskip(SKIP_1) | instid1(SALU_CYCLE_1)
	v_cmp_ne_u32_e64 s13, 0, v2
	s_cselect_b32 s27, -1, 0
	s_and_b32 s27, vcc_lo, s27
	s_delay_alu instid0(SALU_CYCLE_1) | instskip(NEXT) | instid1(SALU_CYCLE_1)
	s_and_b32 s27, s13, s27
	s_and_saveexec_b32 s13, s27
	s_cbranch_execz .LBB6_2175
; %bb.2174:                             ;   in Loop: Header=BB6_2131 Depth=2
	global_wb scope:SCOPE_SYS
	s_wait_loadcnt 0x0
	s_wait_storecnt 0x0
	global_inv scope:SCOPE_SYS
.LBB6_2175:                             ;   in Loop: Header=BB6_2131 Depth=2
	s_or_b32 exec_lo, exec_lo, s13
.LBB6_2176:                             ;   in Loop: Header=BB6_2131 Depth=2
	s_and_not1_saveexec_b32 s13, s18
	s_cbranch_execz .LBB6_2195
; %bb.2177:                             ;   in Loop: Header=BB6_2131 Depth=2
	s_and_saveexec_b32 s18, s3
	s_delay_alu instid0(SALU_CYCLE_1)
	s_xor_b32 s18, exec_lo, s18
	s_cbranch_execz .LBB6_2192
; %bb.2178:                             ;   in Loop: Header=BB6_2131 Depth=2
	s_and_saveexec_b32 s27, s6
	s_cbranch_execz .LBB6_2191
; %bb.2179:                             ;   in Loop: Header=BB6_2131 Depth=2
	s_mov_b32 s41, exec_lo
	s_mov_b32 s40, exec_lo
	v_mbcnt_lo_u32_b32 v2, s41, 0
	;;#ASMSTART
	s_waitcnt lgkmcnt(0) vmcnt(0)
	;;#ASMEND
	s_delay_alu instid0(VALU_DEP_1)
	v_cmpx_eq_u32_e32 0, v2
	s_cbranch_execz .LBB6_2181
; %bb.2180:                             ;   in Loop: Header=BB6_2131 Depth=2
	s_bcnt1_i32_b32 s41, s41
	s_delay_alu instid0(SALU_CYCLE_1)
	v_mov_b32_e32 v2, s41
	s_wait_storecnt 0x0
	s_wait_loadcnt_dscnt 0x0
	ds_add_u64 v0, v[2:3]
	s_trap 2
.LBB6_2181:                             ;   in Loop: Header=BB6_2131 Depth=2
	s_or_b32 exec_lo, exec_lo, s40
	s_trap 2
	ds_load_b64 v[10:11], v0
	s_wait_dscnt 0x0
	v_add_nc_u64_e32 v[32:33], v[32:33], v[36:37]
	s_mov_b32 s40, exec_lo
	s_delay_alu instid0(VALU_DEP_1)
	v_cmpx_lt_u64_e64 v[10:11], v[32:33]
	s_cbranch_execz .LBB6_2190
; %bb.2182:                             ;   in Loop: Header=BB6_2131 Depth=2
	s_mov_b32 s41, 0
	s_mov_b32 s62, 0
                                        ; implicit-def: $sgpr60
                                        ; implicit-def: $sgpr61
	s_branch .LBB6_2184
.LBB6_2183:                             ;   in Loop: Header=BB6_2184 Depth=3
	s_or_b32 exec_lo, exec_lo, s72
	s_delay_alu instid0(SALU_CYCLE_1) | instskip(NEXT) | instid1(SALU_CYCLE_1)
	s_and_b32 s63, exec_lo, s73
	s_or_b32 s41, s63, s41
	s_and_not1_b32 s60, s60, exec_lo
	s_and_b32 s63, s61, exec_lo
	s_delay_alu instid0(SALU_CYCLE_1)
	s_or_b32 s60, s60, s63
	s_and_not1_b32 exec_lo, exec_lo, s41
	s_cbranch_execz .LBB6_2188
.LBB6_2184:                             ;   Parent Loop BB6_47 Depth=1
                                        ;     Parent Loop BB6_2131 Depth=2
                                        ; =>    This Inner Loop Header: Depth=3
	s_add_co_i32 s62, s62, 1
	s_delay_alu instid0(SALU_CYCLE_1) | instskip(SKIP_1) | instid1(SALU_CYCLE_1)
	s_cmp_lg_u32 s62, 0x2710
	s_cselect_b32 s63, -1, 0
	s_and_b32 vcc_lo, exec_lo, s63
	s_cbranch_vccz .LBB6_2186
; %bb.2185:                             ;   in Loop: Header=BB6_2184 Depth=3
	s_mov_b32 s73, -1
	s_or_b32 s61, s61, exec_lo
	s_and_saveexec_b32 s72, s63
	s_cbranch_execz .LBB6_2183
	s_branch .LBB6_2187
.LBB6_2186:                             ;   in Loop: Header=BB6_2184 Depth=3
	s_trap 2
	ds_load_b64 v[10:11], v0
	s_and_not1_b32 s63, s63, exec_lo
	s_mov_b32 s62, 0
	s_wait_storecnt 0x0
	s_wait_loadcnt_dscnt 0x0
	flat_load_b32 v2, v[10:11] scope:SCOPE_SYS
	s_wait_loadcnt_dscnt 0x0
	global_inv scope:SCOPE_SYS
	v_cmp_eq_u32_e32 vcc_lo, 0, v2
	s_and_b32 s72, vcc_lo, exec_lo
	s_delay_alu instid0(SALU_CYCLE_1)
	s_or_b32 s63, s63, s72
	s_mov_b32 s73, -1
	s_or_b32 s61, s61, exec_lo
	s_and_saveexec_b32 s72, s63
	s_cbranch_execz .LBB6_2183
.LBB6_2187:                             ;   in Loop: Header=BB6_2184 Depth=3
	s_sleep 1
	s_trap 2
	ds_load_b64 v[10:11], v0
	s_wait_dscnt 0x0
	s_and_not1_b32 s61, s61, exec_lo
	v_cmp_ge_u64_e32 vcc_lo, v[10:11], v[32:33]
	s_or_not1_b32 s73, vcc_lo, exec_lo
	s_branch .LBB6_2183
.LBB6_2188:                             ;   in Loop: Header=BB6_2131 Depth=2
	s_or_b32 exec_lo, exec_lo, s41
	s_and_saveexec_b32 s41, s60
	s_delay_alu instid0(SALU_CYCLE_1)
	s_xor_b32 s41, exec_lo, s41
	s_cbranch_execz .LBB6_2190
; %bb.2189:                             ;   in Loop: Header=BB6_2131 Depth=2
	ds_store_b32 v0, v63
	s_trap 2
.LBB6_2190:                             ;   in Loop: Header=BB6_2131 Depth=2
	s_or_b32 exec_lo, exec_lo, s40
	;;#ASMSTART
	s_wakeup
	;;#ASMEND
.LBB6_2191:                             ;   in Loop: Header=BB6_2131 Depth=2
	s_or_b32 exec_lo, exec_lo, s27
.LBB6_2192:                             ;   in Loop: Header=BB6_2131 Depth=2
	s_and_not1_saveexec_b32 s18, s18
	s_cbranch_execz .LBB6_2194
; %bb.2193:                             ;   in Loop: Header=BB6_2131 Depth=2
	;;#ASMSTART
	s_waitcnt lgkmcnt(0) vmcnt(0)
	;;#ASMEND
	s_barrier_signal -1
	s_barrier_wait -1
.LBB6_2194:                             ;   in Loop: Header=BB6_2131 Depth=2
	s_or_b32 exec_lo, exec_lo, s18
.LBB6_2195:                             ;   in Loop: Header=BB6_2131 Depth=2
	s_delay_alu instid0(SALU_CYCLE_1) | instskip(SKIP_2) | instid1(VALU_DEP_1)
	s_or_b32 exec_lo, exec_lo, s13
	v_and_b32_e32 v2, 32, v30
	s_mov_b32 s13, exec_lo
	v_cmpx_ne_u32_e32 0, v2
	s_cbranch_execz .LBB6_2130
; %bb.2196:                             ;   in Loop: Header=BB6_2131 Depth=2
	v_add_nc_u64_e32 v[98:99], 2, v[98:99]
	global_wb scope:SCOPE_SYS
	s_wait_storecnt 0x0
	s_wait_loadcnt_dscnt 0x0
	flat_store_b64 v[22:23], v[98:99] scope:SCOPE_SYS
	s_branch .LBB6_2130
.LBB6_2197:
	s_or_b32 exec_lo, exec_lo, s59
.LBB6_2198:
	s_delay_alu instid0(SALU_CYCLE_1) | instskip(SKIP_2) | instid1(VALU_DEP_1)
	s_or_b32 exec_lo, exec_lo, s43
	v_and_b32_e32 v0, 0x800, v30
	s_mov_b32 s1, exec_lo
	v_cmpx_eq_u32_e32 0, v0
	s_cbranch_execz .LBB6_2231
; %bb.2199:
	v_and_b32_e32 v0, 48, v30
	s_mov_b32 s0, exec_lo
	s_delay_alu instid0(VALU_DEP_1)
	v_cmpx_ne_u32_e32 0, v0
	s_cbranch_execz .LBB6_2201
; %bb.2200:
	flat_store_b64 v[20:21], v[98:99] offset:104
.LBB6_2201:
	s_wait_xcnt 0x0
	s_or_b32 exec_lo, exec_lo, s0
	v_and_b32_e32 v0, 0x88, v30
	s_mov_b32 s2, exec_lo
	s_delay_alu instid0(VALU_DEP_1)
	v_cmpx_eq_u32_e32 0x88, v0
	s_cbranch_execz .LBB6_2211
; %bb.2202:
	v_add_nc_u32_e32 v0, 6, v98
	s_mov_b32 s3, 0
	s_delay_alu instid0(VALU_DEP_1) | instskip(NEXT) | instid1(VALU_DEP_1)
	v_and_b32_e32 v0, 7, v0
	v_mad_nc_u64_u32 v[2:3], v0, 24, v[6:7]
	v_and_b32_e32 v0, 64, v30
	s_delay_alu instid0(VALU_DEP_1)
	v_cmp_eq_u32_e64 s0, 0, v0
	flat_load_b64 v[4:5], v[2:3] offset:8 scope:SCOPE_SYS
	s_wait_loadcnt_dscnt 0x0
	v_cmp_ne_u64_e32 vcc_lo, -1, v[4:5]
	s_and_b32 s0, vcc_lo, s0
	s_wait_xcnt 0x0
	s_and_b32 exec_lo, exec_lo, s0
	s_cbranch_execz .LBB6_2211
; %bb.2203:
	s_mov_b32 s5, 0
                                        ; implicit-def: $sgpr0
                                        ; implicit-def: $sgpr4
	s_branch .LBB6_2206
.LBB6_2204:                             ;   in Loop: Header=BB6_2206 Depth=1
	flat_load_b64 v[4:5], v[2:3] offset:8 scope:SCOPE_SYS
	s_wait_loadcnt 0x0
	s_and_not1_b32 s4, s4, exec_lo
	s_wait_dscnt 0x0
	v_cmp_eq_u64_e32 vcc_lo, -1, v[4:5]
	s_or_not1_b32 s7, vcc_lo, exec_lo
.LBB6_2205:                             ;   in Loop: Header=BB6_2206 Depth=1
	s_wait_xcnt 0x0
	s_or_b32 exec_lo, exec_lo, s10
	s_delay_alu instid0(SALU_CYCLE_1) | instskip(NEXT) | instid1(SALU_CYCLE_1)
	s_and_b32 s6, exec_lo, s7
	s_or_b32 s3, s6, s3
	s_and_not1_b32 s0, s0, exec_lo
	s_and_b32 s6, s4, exec_lo
	s_delay_alu instid0(SALU_CYCLE_1)
	s_or_b32 s0, s0, s6
	s_and_not1_b32 exec_lo, exec_lo, s3
	s_cbranch_execz .LBB6_2209
.LBB6_2206:                             ; =>This Inner Loop Header: Depth=1
	s_cmp_lt_i32 s5, 0x270f
	s_cselect_b32 s6, -1, 0
	s_delay_alu instid0(SALU_CYCLE_1)
	s_and_b32 vcc_lo, exec_lo, s6
	s_cbranch_vccnz .LBB6_2208
; %bb.2207:                             ;   in Loop: Header=BB6_2206 Depth=1
	s_trap 2
	ds_load_b64 v[4:5], v0
	s_and_not1_b32 s6, s6, exec_lo
	s_mov_b32 s5, 0
	s_wait_storecnt_dscnt 0x0
	flat_load_b32 v0, v[4:5] scope:SCOPE_SYS
	s_wait_loadcnt_dscnt 0x0
	global_inv scope:SCOPE_SYS
	v_cmp_eq_u32_e32 vcc_lo, 0, v0
	s_and_b32 s7, vcc_lo, exec_lo
	s_delay_alu instid0(SALU_CYCLE_1)
	s_or_b32 s6, s6, s7
	s_mov_b32 s7, -1
	s_or_b32 s4, s4, exec_lo
	s_wait_xcnt 0x0
	s_and_saveexec_b32 s10, s6
	s_cbranch_execz .LBB6_2205
	s_branch .LBB6_2204
.LBB6_2208:                             ;   in Loop: Header=BB6_2206 Depth=1
	s_add_co_i32 s5, s5, 1
                                        ; implicit-def: $vgpr0
	s_mov_b32 s7, -1
	s_or_b32 s4, s4, exec_lo
	s_and_saveexec_b32 s10, s6
	s_cbranch_execz .LBB6_2205
	s_branch .LBB6_2204
.LBB6_2209:
	s_or_b32 exec_lo, exec_lo, s3
	s_and_saveexec_b32 s3, s0
	s_delay_alu instid0(SALU_CYCLE_1)
	s_xor_b32 s3, exec_lo, s3
	s_cbranch_execz .LBB6_2211
; %bb.2210:
	s_wait_loadcnt 0x0
	s_wait_storecnt 0x0
	ds_store_b32 v0, v0
	s_trap 2
.LBB6_2211:
	s_or_b32 exec_lo, exec_lo, s2
	v_and_b32_e32 v0, 0x2000, v30
	s_mov_b32 s0, exec_lo
	s_delay_alu instid0(VALU_DEP_1)
	v_cmpx_ne_u32_e32 0, v0
	s_cbranch_execz .LBB6_2213
; %bb.2212:
	s_trap 2
	ds_load_b64 v[2:3], v0
	s_wait_dscnt 0x0
	flat_store_b64 v[18:19], v[2:3] offset:16
.LBB6_2213:
	s_wait_xcnt 0x0
	s_or_b32 exec_lo, exec_lo, s0
	v_cmp_ne_u32_e32 vcc_lo, 32, v1
	s_and_b32 exec_lo, exec_lo, vcc_lo
	s_cbranch_execz .LBB6_2231
; %bb.2214:
	s_mov_b32 s0, exec_lo
	v_cmpx_ne_u32_e64 v1, v60
	s_xor_b32 s0, exec_lo, s0
	s_cbranch_execz .LBB6_2229
; %bb.2215:
	v_and_b32_e32 v0, 31, v31
	s_mov_b32 s2, exec_lo
	s_delay_alu instid0(VALU_DEP_1)
	v_cmpx_eq_u32_e32 0, v0
	s_cbranch_execz .LBB6_2228
; %bb.2216:
	s_mov_b32 s4, exec_lo
	s_mov_b32 s3, exec_lo
	v_mbcnt_lo_u32_b32 v0, s4, 0
	global_wb scope:SCOPE_DEV
	s_wait_storecnt 0x0
	s_wait_loadcnt_dscnt 0x0
	global_inv scope:SCOPE_DEV
	v_cmpx_eq_u32_e32 0, v0
	s_cbranch_execz .LBB6_2218
; %bb.2217:
	s_bcnt1_i32_b32 s4, s4
	s_delay_alu instid0(SALU_CYCLE_1)
	v_dual_mov_b32 v3, 0 :: v_dual_mov_b32 v2, s4
	s_wait_loadcnt 0x0
	ds_add_u64 v0, v[2:3]
	s_trap 2
.LBB6_2218:
	s_or_b32 exec_lo, exec_lo, s3
	s_trap 2
	ds_load_b64 v[2:3], v0
	s_wait_dscnt 0x0
	v_dual_mov_b32 v1, 0 :: v_dual_lshrrev_b32 v0, 5, v1
	s_mov_b32 s3, exec_lo
	s_delay_alu instid0(VALU_DEP_1) | instskip(NEXT) | instid1(VALU_DEP_1)
	v_add_nc_u64_e32 v[0:1], v[32:33], v[0:1]
	v_cmpx_lt_u64_e64 v[2:3], v[0:1]
	s_cbranch_execz .LBB6_2227
; %bb.2219:
	s_mov_b32 s4, 0
	s_mov_b32 s7, 0
                                        ; implicit-def: $sgpr5
                                        ; implicit-def: $sgpr6
	s_branch .LBB6_2221
.LBB6_2220:                             ;   in Loop: Header=BB6_2221 Depth=1
	s_or_b32 exec_lo, exec_lo, s11
	s_delay_alu instid0(SALU_CYCLE_1) | instskip(NEXT) | instid1(SALU_CYCLE_1)
	s_and_b32 s10, exec_lo, s12
	s_or_b32 s4, s10, s4
	s_and_not1_b32 s5, s5, exec_lo
	s_and_b32 s10, s6, exec_lo
	s_delay_alu instid0(SALU_CYCLE_1)
	s_or_b32 s5, s5, s10
	s_and_not1_b32 exec_lo, exec_lo, s4
	s_cbranch_execz .LBB6_2225
.LBB6_2221:                             ; =>This Inner Loop Header: Depth=1
	s_add_co_i32 s7, s7, 1
	s_delay_alu instid0(SALU_CYCLE_1) | instskip(SKIP_1) | instid1(SALU_CYCLE_1)
	s_cmp_lg_u32 s7, 0x2710
	s_cselect_b32 s10, -1, 0
	s_and_b32 vcc_lo, exec_lo, s10
	s_cbranch_vccz .LBB6_2223
; %bb.2222:                             ;   in Loop: Header=BB6_2221 Depth=1
	s_mov_b32 s12, -1
	s_or_b32 s6, s6, exec_lo
	s_and_saveexec_b32 s11, s10
	s_cbranch_execz .LBB6_2220
	s_branch .LBB6_2224
.LBB6_2223:                             ;   in Loop: Header=BB6_2221 Depth=1
	s_trap 2
	ds_load_b64 v[2:3], v0
	s_and_not1_b32 s10, s10, exec_lo
	s_mov_b32 s7, 0
	s_wait_loadcnt_dscnt 0x0
	flat_load_b32 v2, v[2:3] scope:SCOPE_SYS
	s_wait_loadcnt_dscnt 0x0
	global_inv scope:SCOPE_SYS
	v_cmp_eq_u32_e32 vcc_lo, 0, v2
	s_and_b32 s11, vcc_lo, exec_lo
	s_delay_alu instid0(SALU_CYCLE_1)
	s_or_b32 s10, s10, s11
	s_mov_b32 s12, -1
	s_or_b32 s6, s6, exec_lo
	s_and_saveexec_b32 s11, s10
	s_cbranch_execz .LBB6_2220
.LBB6_2224:                             ;   in Loop: Header=BB6_2221 Depth=1
	s_sleep 1
	s_trap 2
	ds_load_b64 v[2:3], v0
	s_wait_dscnt 0x0
	s_and_not1_b32 s6, s6, exec_lo
	v_cmp_ge_u64_e32 vcc_lo, v[2:3], v[0:1]
	s_or_not1_b32 s12, vcc_lo, exec_lo
	s_branch .LBB6_2220
.LBB6_2225:
	s_or_b32 exec_lo, exec_lo, s4
	s_and_saveexec_b32 s4, s5
	s_delay_alu instid0(SALU_CYCLE_1)
	s_xor_b32 s4, exec_lo, s4
	s_cbranch_execz .LBB6_2227
; %bb.2226:
	v_mov_b32_e32 v0, 1
	ds_store_b32 v0, v0
	s_trap 2
.LBB6_2227:
	s_or_b32 exec_lo, exec_lo, s3
	;;#ASMSTART
	s_wakeup
	;;#ASMEND
.LBB6_2228:
	s_or_b32 exec_lo, exec_lo, s2
.LBB6_2229:
	s_and_not1_saveexec_b32 s0, s0
	s_cbranch_execz .LBB6_2231
; %bb.2230:
	global_wb scope:SCOPE_DEV
	s_wait_storecnt 0x0
	s_wait_loadcnt_dscnt 0x0
	global_inv scope:SCOPE_DEV
	s_barrier_signal -1
	s_barrier_wait -1
.LBB6_2231:
	s_or_b32 exec_lo, exec_lo, s1
.LBB6_2232:
	s_and_not1_saveexec_b32 s21, s42
	s_cbranch_execz .LBB6_2234
; %bb.2233:
	s_get_pc_i64 s[0:1]
	s_add_nc_u64 s[0:1], s[0:1], __PRETTY_FUNCTION__._ZN10PrimitivesI12hip_bfloat1613FuncPreMulSumIS0_E12FanSymmetricILi1EELi0E11ProtoSimpleILi2ELi2ELi0ELi2ELi0ELi0EELi0ELb0ELi0ELi0ELi0EEC2EiiPKiS9_PKvPvmhhhP15ncclDevWorkCollP14ncclDevWorkP2pii@rel64+4
	s_get_pc_i64 s[2:3]
	s_add_nc_u64 s[2:3], s[2:3], __assert_fail@rel64+4
	v_dual_mov_b32 v0, s0 :: v_dual_mov_b32 v1, s1
	s_swap_pc_i64 s[30:31], s[2:3]
	; divergent unreachable
.LBB6_2234:
	s_or_b32 exec_lo, exec_lo, s21
	s_clause 0x28
	scratch_load_b32 v120, off, s33
	scratch_load_b32 v111, off, s33 offset:4
	scratch_load_b32 v110, off, s33 offset:8
	;; [unrolled: 1-line block ×40, first 2 shown]
	v_readlane_b32 s30, v121, 0
	v_readlane_b32 s31, v121, 1
	s_mov_b32 s32, s33
	s_wait_xcnt 0x0
	s_or_saveexec_b32 s0, -1
	scratch_load_b32 v121, off, s33 offset:164 ; 4-byte Folded Reload
	s_wait_xcnt 0x0
	s_mov_b32 exec_lo, s0
	s_mov_b32 s33, s79
	s_wait_loadcnt_dscnt 0x0
	s_set_pc_i64 s[30:31]
.Lfunc_end6:
	.size	_ZN12_GLOBAL__N_17runRingI12hip_bfloat1613FuncPreMulSumIS1_E11ProtoSimpleILi2ELi2ELi0ELi2ELi0ELi0EELi0ELi0ELi2ELi0EEEviiP15ncclDevWorkColl, .Lfunc_end6-_ZN12_GLOBAL__N_17runRingI12hip_bfloat1613FuncPreMulSumIS1_E11ProtoSimpleILi2ELi2ELi0ELi2ELi0ELi0EELi0ELi0ELi2ELi0EEEviiP15ncclDevWorkColl
                                        ; -- End function
	.set .L_ZN12_GLOBAL__N_17runRingI12hip_bfloat1613FuncPreMulSumIS1_E11ProtoSimpleILi2ELi2ELi0ELi2ELi0ELi0EELi0ELi0ELi2ELi0EEEviiP15ncclDevWorkColl.num_vgpr, max(122, .L__assert_fail.num_vgpr)
	.set .L_ZN12_GLOBAL__N_17runRingI12hip_bfloat1613FuncPreMulSumIS1_E11ProtoSimpleILi2ELi2ELi0ELi2ELi0ELi0EELi0ELi0ELi2ELi0EEEviiP15ncclDevWorkColl.num_agpr, max(0, .L__assert_fail.num_agpr)
	.set .L_ZN12_GLOBAL__N_17runRingI12hip_bfloat1613FuncPreMulSumIS1_E11ProtoSimpleILi2ELi2ELi0ELi2ELi0ELi0EELi0ELi0ELi2ELi0EEEviiP15ncclDevWorkColl.numbered_sgpr, max(80, .L__assert_fail.numbered_sgpr)
	.set .L_ZN12_GLOBAL__N_17runRingI12hip_bfloat1613FuncPreMulSumIS1_E11ProtoSimpleILi2ELi2ELi0ELi2ELi0ELi0EELi0ELi0ELi2ELi0EEEviiP15ncclDevWorkColl.num_named_barrier, max(0, .L__assert_fail.num_named_barrier)
	.set .L_ZN12_GLOBAL__N_17runRingI12hip_bfloat1613FuncPreMulSumIS1_E11ProtoSimpleILi2ELi2ELi0ELi2ELi0ELi0EELi0ELi0ELi2ELi0EEEviiP15ncclDevWorkColl.private_seg_size, 176+max(.L__assert_fail.private_seg_size)
	.set .L_ZN12_GLOBAL__N_17runRingI12hip_bfloat1613FuncPreMulSumIS1_E11ProtoSimpleILi2ELi2ELi0ELi2ELi0ELi0EELi0ELi0ELi2ELi0EEEviiP15ncclDevWorkColl.uses_vcc, or(1, .L__assert_fail.uses_vcc)
	.set .L_ZN12_GLOBAL__N_17runRingI12hip_bfloat1613FuncPreMulSumIS1_E11ProtoSimpleILi2ELi2ELi0ELi2ELi0ELi0EELi0ELi0ELi2ELi0EEEviiP15ncclDevWorkColl.uses_flat_scratch, or(1, .L__assert_fail.uses_flat_scratch)
	.set .L_ZN12_GLOBAL__N_17runRingI12hip_bfloat1613FuncPreMulSumIS1_E11ProtoSimpleILi2ELi2ELi0ELi2ELi0ELi0EELi0ELi0ELi2ELi0EEEviiP15ncclDevWorkColl.has_dyn_sized_stack, or(0, .L__assert_fail.has_dyn_sized_stack)
	.set .L_ZN12_GLOBAL__N_17runRingI12hip_bfloat1613FuncPreMulSumIS1_E11ProtoSimpleILi2ELi2ELi0ELi2ELi0ELi0EELi0ELi0ELi2ELi0EEEviiP15ncclDevWorkColl.has_recursion, or(1, .L__assert_fail.has_recursion)
	.set .L_ZN12_GLOBAL__N_17runRingI12hip_bfloat1613FuncPreMulSumIS1_E11ProtoSimpleILi2ELi2ELi0ELi2ELi0ELi0EELi0ELi0ELi2ELi0EEEviiP15ncclDevWorkColl.has_indirect_call, or(0, .L__assert_fail.has_indirect_call)
	.section	.AMDGPU.csdata,"",@progbits
; Function info:
; codeLenInByte = 71440
; TotalNumSgprs: 82
; NumVgprs: 122
; ScratchSize: 240
; MemoryBound: 1
	.text
	.p2align	2                               ; -- Begin function _Z54ncclDevFunc_AllReduce_RING_SIMPLE_PreMulSum_bf16_0_0_2v
	.type	_Z54ncclDevFunc_AllReduce_RING_SIMPLE_PreMulSum_bf16_0_0_2v,@function
_Z54ncclDevFunc_AllReduce_RING_SIMPLE_PreMulSum_bf16_0_0_2v: ; @_Z54ncclDevFunc_AllReduce_RING_SIMPLE_PreMulSum_bf16_0_0_2v
; %bb.0:
	s_wait_loadcnt_dscnt 0x0
	s_wait_kmcnt 0x0
	s_mov_b32 s95, s33
	s_mov_b32 s33, s32
	s_or_saveexec_b32 s0, -1
	scratch_store_b32 off, v42, s33 offset:12 ; 4-byte Folded Spill
	s_wait_xcnt 0x0
	s_mov_b32 exec_lo, s0
	s_add_co_i32 s32, s32, 32
	s_clause 0x2
	scratch_store_b32 off, v40, s33 offset:8
	; meta instruction
	scratch_store_b32 off, v41, s33 offset:4
	; meta instruction
	scratch_store_b32 off, v121, s33
	v_writelane_b32 v42, s30, 0
	v_writelane_b32 v42, s31, 1
	s_trap 2
	ds_load_b32 v0, v0
	s_wait_xcnt 0x2
	v_mov_b32_e32 v40, v31
	s_mov_b32 s90, s12
	s_mov_b64 s[88:89], s[8:9]
	s_mov_b32 s2, exec_lo
	s_wait_xcnt 0x1
	v_and_b32_e32 v41, 0x3ff, v40
	s_wait_dscnt 0x0
	s_wait_xcnt 0x0
	s_delay_alu instid0(VALU_DEP_1)
	v_cmpx_lt_i32_e64 v41, v0
	s_cbranch_execz .LBB7_5
; %bb.1:
	s_load_b32 s0, s[88:89], 0x0
	s_bfe_u32 s1, ttmp6, 0x4000c
	s_and_b32 s3, ttmp6, 15
	s_add_co_i32 s1, s1, 1
	s_getreg_b32 s4, hwreg(HW_REG_IB_STS2, 6, 4)
	s_mul_i32 s1, ttmp9, s1
	v_mov_b32_e32 v2, v41
	s_add_co_i32 s3, s3, s1
	s_cmp_eq_u32 s4, 0
                                        ; implicit-def: $vgpr3
	s_cselect_b32 s1, ttmp9, s3
	s_mov_b32 s3, 0
	s_wait_kmcnt 0x0
	s_cmp_lt_u32 s1, s0
	s_mov_b32 s1, 0
	s_cselect_b32 s0, 12, 18
	s_delay_alu instid0(SALU_CYCLE_1)
	s_add_nc_u64 s[4:5], s[88:89], s[0:1]
	s_load_u16 s0, s[4:5], 0x0
	s_trap 2
	ds_load_b32 v1, v0
	s_wait_dscnt 0x0
	s_wait_kmcnt 0x0
	v_mul_lo_u32 v1, v1, s0
	s_branch .LBB7_3
.LBB7_2:                                ;   in Loop: Header=BB7_3 Depth=1
	s_or_b32 exec_lo, exec_lo, s4
	v_dual_add_nc_u32 v2, s0, v2 :: v_dual_add_nc_u32 v3, v3, v1
	s_delay_alu instid0(VALU_DEP_1) | instskip(SKIP_1) | instid1(SALU_CYCLE_1)
	v_cmp_ge_i32_e32 vcc_lo, v2, v0
	s_or_b32 s3, vcc_lo, s3
	s_and_not1_b32 exec_lo, exec_lo, s3
	s_cbranch_execz .LBB7_5
.LBB7_3:                                ; =>This Inner Loop Header: Depth=1
	ds_load_b32 v4, v3
	s_mov_b32 s4, exec_lo
	s_wait_dscnt 0x0
	v_and_b32_e32 v4, 0x1000000, v4
	s_delay_alu instid0(VALU_DEP_1)
	v_cmpx_ne_u32_e32 0, v4
	s_cbranch_execz .LBB7_2
; %bb.4:                                ;   in Loop: Header=BB7_3 Depth=1
	ds_load_b64 v[4:5], v3 offset:104
	s_wait_dscnt 0x0
	flat_load_u16 v4, v[4:5]
	s_wait_xcnt 0x0
	v_mov_b32_e32 v5, s1
	s_wait_loadcnt_dscnt 0x0
	v_and_b32_e32 v4, 0xffff, v4
	ds_store_b64 v3, v[4:5] offset:104
	s_branch .LBB7_2
.LBB7_5:
	s_or_b32 exec_lo, exec_lo, s2
	s_wait_storecnt_dscnt 0x0
	s_barrier_signal -1
	s_barrier_wait -1
	s_trap 2
	ds_load_b32 v0, v0
	s_wait_dscnt 0x0
	v_cmp_gt_i32_e32 vcc_lo, 1, v0
	s_cbranch_vccnz .LBB7_13
; %bb.6:
	s_mov_b32 s91, 0
	s_get_pc_i64 s[92:93]
	s_add_nc_u64 s[92:93], s[92:93], _ZN12_GLOBAL__N_17runRingI12hip_bfloat1613FuncPreMulSumIS1_E11ProtoSimpleILi2ELi2ELi0ELi2ELi0ELi0EELi0ELi0ELi2ELi0EEEviiP15ncclDevWorkColl@rel64+4
	s_branch .LBB7_8
.LBB7_7:                                ;   in Loop: Header=BB7_8 Depth=1
	s_or_b32 exec_lo, exec_lo, s94
	s_trap 2
	ds_load_b32 v0, v0
	s_add_co_i32 s91, s91, 1
	s_wait_dscnt 0x0
	v_cmp_lt_i32_e32 vcc_lo, s91, v0
	s_cbranch_vccz .LBB7_13
.LBB7_8:                                ; =>This Inner Loop Header: Depth=1
	s_trap 2
	ds_load_b32 v0, v0
	s_cmp_eq_u32 s91, 0
	s_cbranch_scc1 .LBB7_11
; %bb.9:                                ;   in Loop: Header=BB7_8 Depth=1
	s_trap 2
	s_wait_dscnt 0x0
	ds_load_b32 v1, v0
	s_wait_dscnt 0x0
	v_xor_b32_e32 v1, v1, v0
	s_delay_alu instid0(VALU_DEP_1) | instskip(NEXT) | instid1(VALU_DEP_1)
	v_and_b32_e32 v1, 0xff0000, v1
	v_cmp_eq_u32_e32 vcc_lo, 0, v1
	s_cbranch_vccnz .LBB7_11
; %bb.10:                               ;   in Loop: Header=BB7_8 Depth=1
	s_barrier_signal -1
	s_barrier_wait -1
	ds_load_b32 v0, v0
.LBB7_11:                               ;   in Loop: Header=BB7_8 Depth=1
	s_wait_dscnt 0x0
	v_lshrrev_b32_e32 v0, 11, v0
	s_mov_b32 s94, exec_lo
	s_delay_alu instid0(VALU_DEP_1) | instskip(NEXT) | instid1(VALU_DEP_1)
	v_and_b32_e32 v1, 0x1fe0, v0
	v_cmpx_lt_u32_e64 v41, v1
	s_cbranch_execz .LBB7_7
; %bb.12:                               ;   in Loop: Header=BB7_8 Depth=1
	s_mov_b64 s[0:1], src_shared_base
	v_dual_mov_b32 v31, v40 :: v_dual_mov_b32 v0, v41
	v_mov_b32_e32 v3, s1
	s_mov_b64 s[8:9], s[88:89]
	s_mov_b32 s12, s90
	s_swap_pc_i64 s[30:31], s[92:93]
	s_branch .LBB7_7
.LBB7_13:
	s_clause 0x2
	scratch_load_b32 v121, off, s33
	scratch_load_b32 v41, off, s33 offset:4
	scratch_load_b32 v40, off, s33 offset:8
	v_readlane_b32 s30, v42, 0
	v_readlane_b32 s31, v42, 1
	s_mov_b32 s32, s33
	s_wait_xcnt 0x0
	s_or_saveexec_b32 s0, -1
	scratch_load_b32 v42, off, s33 offset:12 ; 4-byte Folded Reload
	s_wait_xcnt 0x0
	s_mov_b32 exec_lo, s0
	s_mov_b32 s33, s95
	s_wait_loadcnt 0x0
	s_set_pc_i64 s[30:31]
.Lfunc_end7:
	.size	_Z54ncclDevFunc_AllReduce_RING_SIMPLE_PreMulSum_bf16_0_0_2v, .Lfunc_end7-_Z54ncclDevFunc_AllReduce_RING_SIMPLE_PreMulSum_bf16_0_0_2v
                                        ; -- End function
	.set .L_Z54ncclDevFunc_AllReduce_RING_SIMPLE_PreMulSum_bf16_0_0_2v.num_vgpr, max(122, .L_ZN12_GLOBAL__N_17runRingI12hip_bfloat1613FuncPreMulSumIS1_E11ProtoSimpleILi2ELi2ELi0ELi2ELi0ELi0EELi0ELi0ELi2ELi0EEEviiP15ncclDevWorkColl.num_vgpr)
	.set .L_Z54ncclDevFunc_AllReduce_RING_SIMPLE_PreMulSum_bf16_0_0_2v.num_agpr, max(0, .L_ZN12_GLOBAL__N_17runRingI12hip_bfloat1613FuncPreMulSumIS1_E11ProtoSimpleILi2ELi2ELi0ELi2ELi0ELi0EELi0ELi0ELi2ELi0EEEviiP15ncclDevWorkColl.num_agpr)
	.set .L_Z54ncclDevFunc_AllReduce_RING_SIMPLE_PreMulSum_bf16_0_0_2v.numbered_sgpr, max(96, .L_ZN12_GLOBAL__N_17runRingI12hip_bfloat1613FuncPreMulSumIS1_E11ProtoSimpleILi2ELi2ELi0ELi2ELi0ELi0EELi0ELi0ELi2ELi0EEEviiP15ncclDevWorkColl.numbered_sgpr)
	.set .L_Z54ncclDevFunc_AllReduce_RING_SIMPLE_PreMulSum_bf16_0_0_2v.num_named_barrier, max(0, .L_ZN12_GLOBAL__N_17runRingI12hip_bfloat1613FuncPreMulSumIS1_E11ProtoSimpleILi2ELi2ELi0ELi2ELi0ELi0EELi0ELi0ELi2ELi0EEEviiP15ncclDevWorkColl.num_named_barrier)
	.set .L_Z54ncclDevFunc_AllReduce_RING_SIMPLE_PreMulSum_bf16_0_0_2v.private_seg_size, 32+max(.L_ZN12_GLOBAL__N_17runRingI12hip_bfloat1613FuncPreMulSumIS1_E11ProtoSimpleILi2ELi2ELi0ELi2ELi0ELi0EELi0ELi0ELi2ELi0EEEviiP15ncclDevWorkColl.private_seg_size)
	.set .L_Z54ncclDevFunc_AllReduce_RING_SIMPLE_PreMulSum_bf16_0_0_2v.uses_vcc, or(1, .L_ZN12_GLOBAL__N_17runRingI12hip_bfloat1613FuncPreMulSumIS1_E11ProtoSimpleILi2ELi2ELi0ELi2ELi0ELi0EELi0ELi0ELi2ELi0EEEviiP15ncclDevWorkColl.uses_vcc)
	.set .L_Z54ncclDevFunc_AllReduce_RING_SIMPLE_PreMulSum_bf16_0_0_2v.uses_flat_scratch, or(1, .L_ZN12_GLOBAL__N_17runRingI12hip_bfloat1613FuncPreMulSumIS1_E11ProtoSimpleILi2ELi2ELi0ELi2ELi0ELi0EELi0ELi0ELi2ELi0EEEviiP15ncclDevWorkColl.uses_flat_scratch)
	.set .L_Z54ncclDevFunc_AllReduce_RING_SIMPLE_PreMulSum_bf16_0_0_2v.has_dyn_sized_stack, or(0, .L_ZN12_GLOBAL__N_17runRingI12hip_bfloat1613FuncPreMulSumIS1_E11ProtoSimpleILi2ELi2ELi0ELi2ELi0ELi0EELi0ELi0ELi2ELi0EEEviiP15ncclDevWorkColl.has_dyn_sized_stack)
	.set .L_Z54ncclDevFunc_AllReduce_RING_SIMPLE_PreMulSum_bf16_0_0_2v.has_recursion, or(1, .L_ZN12_GLOBAL__N_17runRingI12hip_bfloat1613FuncPreMulSumIS1_E11ProtoSimpleILi2ELi2ELi0ELi2ELi0ELi0EELi0ELi0ELi2ELi0EEEviiP15ncclDevWorkColl.has_recursion)
	.set .L_Z54ncclDevFunc_AllReduce_RING_SIMPLE_PreMulSum_bf16_0_0_2v.has_indirect_call, or(0, .L_ZN12_GLOBAL__N_17runRingI12hip_bfloat1613FuncPreMulSumIS1_E11ProtoSimpleILi2ELi2ELi0ELi2ELi0ELi0EELi0ELi0ELi2ELi0EEEviiP15ncclDevWorkColl.has_indirect_call)
	.section	.AMDGPU.csdata,"",@progbits
; Function info:
; codeLenInByte = 756
; TotalNumSgprs: 98
; NumVgprs: 122
; ScratchSize: 272
; MemoryBound: 0
	.text
	.p2align	2                               ; -- Begin function _ZN12_GLOBAL__N_17runRingI12hip_bfloat1613FuncPreMulSumIS1_E11ProtoSimpleILi2ELi2ELi0ELi2ELi0ELi0EELi0ELi0ELi2ELi1EEEviiP15ncclDevWorkColl
	.type	_ZN12_GLOBAL__N_17runRingI12hip_bfloat1613FuncPreMulSumIS1_E11ProtoSimpleILi2ELi2ELi0ELi2ELi0ELi0EELi0ELi0ELi2ELi1EEEviiP15ncclDevWorkColl,@function
_ZN12_GLOBAL__N_17runRingI12hip_bfloat1613FuncPreMulSumIS1_E11ProtoSimpleILi2ELi2ELi0ELi2ELi0ELi0EELi0ELi0ELi2ELi1EEEviiP15ncclDevWorkColl: ; @_ZN12_GLOBAL__N_17runRingI12hip_bfloat1613FuncPreMulSumIS1_E11ProtoSimpleILi2ELi2ELi0ELi2ELi0ELi0EELi0ELi0ELi2ELi1EEEviiP15ncclDevWorkColl
; %bb.0:
	s_wait_loadcnt_dscnt 0x0
	s_wait_kmcnt 0x0
	s_mov_b32 s94, s33
	s_mov_b32 s33, s32
	s_or_saveexec_b32 s0, -1
	scratch_store_b32 off, v127, s33 offset:316 ; 4-byte Folded Spill
	s_wait_xcnt 0x0
	s_mov_b32 exec_lo, s0
	s_addk_co_i32 s32, 0x150
	s_clause 0x2e
	scratch_store_b32 off, v40, s33 offset:184
	; meta instruction
	scratch_store_b32 off, v41, s33 offset:180
	; meta instruction
	;; [unrolled: 2-line block ×46, first 2 shown]
	scratch_store_b32 off, v126, s33
	v_writelane_b32 v127, s30, 0
	v_writelane_b32 v127, s31, 1
	s_trap 2
	flat_load_b32 v4, v[2:3]
	ds_load_b32 v5, v0
	s_mov_b32 s0, exec_lo
                                        ; implicit-def: $vgpr14_vgpr15
                                        ; implicit-def: $vgpr8_vgpr9
                                        ; kill: killed $vgpr8_vgpr9
                                        ; implicit-def: $vgpr20_vgpr21
	s_wait_dscnt 0x0
	v_readfirstlane_b32 s16, v5
	s_wait_loadcnt 0x0
	v_and_b32_e32 v7, 0xff, v4
	s_wait_xcnt 0x0
	s_delay_alu instid0(VALU_DEP_1)
	v_cmpx_ne_u32_e64 v5, v7
	s_xor_b32 s0, exec_lo, s0
	s_cbranch_execz .LBB8_6
; %bb.1:
	v_bfe_u32 v6, v4, 8, 8
	v_not_b32_e32 v4, v7
	s_mov_b32 s1, exec_lo
                                        ; implicit-def: $vgpr14_vgpr15
                                        ; implicit-def: $vgpr8_vgpr9
                                        ; kill: killed $vgpr8_vgpr9
                                        ; implicit-def: $vgpr20_vgpr21
	s_delay_alu instid0(VALU_DEP_2)
	v_cmpx_ne_u32_e64 v5, v6
	s_xor_b32 s1, exec_lo, s1
	s_cbranch_execz .LBB8_3
; %bb.2:
	s_clause 0x1
	flat_load_b128 v[6:9], v[2:3] offset:72
	flat_load_b64 v[10:11], v[2:3] offset:96
	v_add_nc_u32_e32 v4, v5, v4
	s_wait_loadcnt_dscnt 0x101
	s_delay_alu instid0(VALU_DEP_1) | instskip(SKIP_3) | instid1(VALU_DEP_3)
	v_mad_nc_u64_u32 v[6:7], v8, v4, v[6:7]
	s_wait_loadcnt_dscnt 0x0
	v_lshrrev_b64 v[14:15], 13, v[10:11]
	v_mov_b64_e32 v[20:21], v[8:9]
	v_mad_u32 v5, v9, v4, v7
	v_ashrrev_i32_e32 v4, 31, v4
	s_delay_alu instid0(VALU_DEP_1)
	v_mad_u32 v7, v8, v4, v5
                                        ; implicit-def: $vgpr4
	scratch_store_b64 off, v[6:7], s33 offset:264 ; 8-byte Folded Spill
                                        ; implicit-def: $vgpr6
.LBB8_3:
	s_wait_xcnt 0x0
	s_and_not1_saveexec_b32 s1, s1
	s_cbranch_execz .LBB8_5
; %bb.4:
	s_clause 0x1
	flat_load_b128 v[8:11], v[2:3] offset:72
	flat_load_b128 v[20:23], v[2:3] offset:88
	s_wait_loadcnt_dscnt 0x0
	v_dual_add_nc_u32 v4, v6, v4 :: v_dual_lshrrev_b32 v14, 2, v23
	s_delay_alu instid0(VALU_DEP_1) | instskip(NEXT) | instid1(VALU_DEP_1)
	v_mad_nc_u64_u32 v[6:7], v10, v4, v[8:9]
	v_mad_u32 v5, v11, v4, v7
	v_ashrrev_i32_e32 v4, 31, v4
	s_delay_alu instid0(VALU_DEP_1)
	v_mad_u32 v7, v10, v4, v5
	scratch_store_b64 off, v[6:7], s33 offset:264 ; 8-byte Folded Spill
.LBB8_5:
	s_wait_xcnt 0x0
	s_or_b32 exec_lo, exec_lo, s1
.LBB8_6:
	s_and_not1_saveexec_b32 s0, s0
	s_cbranch_execz .LBB8_8
; %bb.7:
	s_clause 0x1
	flat_load_b64 v[4:5], v[2:3] offset:96
	flat_load_b64 v[20:21], v[2:3] offset:72
	s_wait_loadcnt_dscnt 0x101
	v_lshlrev_b64_e32 v[14:15], 8, v[4:5]
	v_mov_b64_e32 v[4:5], 0
	scratch_store_b64 off, v[4:5], s33 offset:264 ; 8-byte Folded Spill
.LBB8_8:
	s_wait_xcnt 0x0
	s_or_b32 exec_lo, exec_lo, s0
	s_trap 2
	ds_load_b64 v[4:5], v0
	s_mov_b32 s1, 0
	s_mov_b32 s2, exec_lo
	s_wait_dscnt 0x0
	v_cmp_ne_u32_e32 vcc_lo, -1, v4
	v_cndmask_b32_e64 v15, 0, 1, vcc_lo
	v_cmp_ne_u32_e32 vcc_lo, -1, v5
	s_delay_alu instid0(VALU_DEP_2) | instskip(NEXT) | instid1(VALU_DEP_1)
	v_add_co_ci_u32_e64 v5, null, 0, v15, vcc_lo
	v_lshlrev_b32_e32 v4, 1, v5
	s_delay_alu instid0(VALU_DEP_1)
	v_cmpx_le_u32_e64 v4, v1
	s_xor_b32 s42, exec_lo, s2
	s_cbranch_execnz .LBB8_9
; %bb.4460:
	s_add_pc_i64 .LBB8_4457-.Lpost_addpc0
.Lpost_addpc0:
.LBB8_9:
	s_clause 0x3
	flat_load_b128 v[10:13], v[2:3] offset:16
	flat_load_b64 v[16:17], v[2:3] offset:104
	flat_load_u16 v7, v[2:3] offset:8
	flat_load_b32 v6, v[2:3] offset:4
	s_trap 2
	s_load_b32 s0, s[8:9], 0x0
	s_bfe_u32 s2, ttmp6, 0x4000c
	s_and_b32 s3, ttmp6, 15
	s_add_co_i32 s2, s2, 1
	s_getreg_b32 s4, hwreg(HW_REG_IB_STS2, 6, 4)
	s_mul_i32 s2, ttmp9, s2
	v_dual_mov_b32 v4, 0 :: v_dual_mov_b32 v30, 4
	s_add_co_i32 s3, s3, s2
	s_cmp_eq_u32 s4, 0
	ds_load_b32 v8, v0
	s_cselect_b32 s2, ttmp9, s3
	s_wait_kmcnt 0x0
	s_cmp_lt_u32 s2, s0
	s_cselect_b32 s0, 12, 18
	s_delay_alu instid0(SALU_CYCLE_1)
	s_add_nc_u64 s[0:1], s[8:9], s[0:1]
	global_load_u16 v4, v4, s[0:1]
	s_wait_xcnt 0x0
	s_mov_b32 s1, exec_lo
	s_wait_dscnt 0x0
	v_readfirstlane_b32 s6, v8
	v_cmpx_ge_u32_e64 v0, v15
	s_cbranch_execz .LBB8_19
; %bb.10:
	v_cmp_ge_u32_e64 s0, v0, v5
                                        ; implicit-def: $vgpr30
	s_and_saveexec_b32 s2, s0
	s_delay_alu instid0(SALU_CYCLE_1)
	s_xor_b32 s0, exec_lo, s2
	s_cbranch_execz .LBB8_16
; %bb.11:
	v_cndmask_b32_e64 v8, 0, 1, vcc_lo
	s_mov_b32 s2, exec_lo
	s_delay_alu instid0(VALU_DEP_1) | instskip(NEXT) | instid1(VALU_DEP_1)
	v_sub_nc_u32_e32 v8, v1, v8
	v_cmpx_ge_u32_e64 v0, v8
	s_xor_b32 s2, exec_lo, s2
; %bb.12:
                                        ; implicit-def: $vgpr5
; %bb.13:
	s_delay_alu instid0(SALU_CYCLE_1)
	s_or_saveexec_b32 s2, s2
	v_mov_b32_e32 v30, 16
	s_xor_b32 exec_lo, exec_lo, s2
; %bb.14:
	v_sub_nc_u32_e32 v5, v1, v5
	s_delay_alu instid0(VALU_DEP_1)
	v_cmp_lt_i32_e32 vcc_lo, v0, v5
	v_cndmask_b32_e64 v30, 32, 0, vcc_lo
; %bb.15:
	s_or_b32 exec_lo, exec_lo, s2
.LBB8_16:
	s_and_not1_saveexec_b32 s0, s0
; %bb.17:
	v_mov_b32_e32 v30, 8
; %bb.18:
	s_or_b32 exec_lo, exec_lo, s0
.LBB8_19:
	s_delay_alu instid0(SALU_CYCLE_1) | instskip(NEXT) | instid1(VALU_DEP_1)
	s_or_b32 exec_lo, exec_lo, s1
	v_and_b32_e32 v5, 36, v30
	s_delay_alu instid0(VALU_DEP_1)
	v_cmp_ne_u32_e32 vcc_lo, 0, v5
	v_mov_b32_e32 v5, -1
	s_and_saveexec_b32 s0, vcc_lo
	s_cbranch_execz .LBB8_21
; %bb.20:
	s_trap 2
	ds_load_b32 v5, v0
.LBB8_21:
	s_or_b32 exec_lo, exec_lo, s0
	v_and_b32_e32 v8, 24, v30
	s_mov_b32 s1, exec_lo
	s_delay_alu instid0(VALU_DEP_1)
	v_cmpx_ne_u32_e32 0, v8
	s_cbranch_execz .LBB8_23
; %bb.22:
	s_trap 2
	s_wait_dscnt 0x0
	ds_load_b32 v5, v0
.LBB8_23:
	s_or_b32 exec_lo, exec_lo, s1
	s_wait_loadcnt 0x1
	v_lshrrev_b64 v[6:7], 31, v[6:7]
	v_mov_b64_e32 v[22:23], 0
                                        ; implicit-def: $vgpr66
                                        ; implicit-def: $vgpr58_vgpr59
                                        ; implicit-def: $vgpr68_vgpr69
                                        ; implicit-def: $vgpr82_vgpr83
                                        ; implicit-def: $vgpr64_vgpr65
	s_delay_alu instid0(VALU_DEP_2) | instskip(SKIP_1) | instid1(VALU_DEP_2)
	v_and_b32_e32 v8, 3, v6
	v_mov_b64_e32 v[6:7], 0
	v_and_b32_e32 v18, 0xffff, v8
                                        ; implicit-def: $vgpr8_vgpr9
                                        ; kill: killed $vgpr8_vgpr9
	s_and_saveexec_b32 s0, vcc_lo
	s_cbranch_execz .LBB8_33
; %bb.24:
	s_trap 2
	ds_load_b64 v[6:7], v0
	s_wait_dscnt 0x0
	v_readfirstlane_b32 s2, v6
	v_readfirstlane_b32 s3, v7
	flat_load_b64 v[6:7], v5, s[2:3] scale_offset
	s_wait_loadcnt_dscnt 0x0
	v_mad_nc_u64_u32 v[8:9], 0xa8, v18, v[6:7]
	flat_load_b32 v6, v[8:9] offset:640
	s_wait_loadcnt_dscnt 0x0
	v_cmp_eq_u32_e32 vcc_lo, 1, v6
                                        ; implicit-def: $vgpr6_vgpr7
                                        ; kill: killed $vgpr6_vgpr7
	s_wait_xcnt 0x0
	s_and_saveexec_b32 s1, vcc_lo
	s_cbranch_execz .LBB8_26
; %bb.25:
	flat_load_b64 v[22:23], v[8:9] offset:648
	v_or_b32_e32 v30, 0x2000, v30
	s_wait_loadcnt_dscnt 0x0
	flat_load_b64 v[6:7], v[22:23]
	s_trap 2
	scratch_store_b64 off, v[22:23], s33 offset:308 ; 8-byte Folded Spill
	s_wait_loadcnt_dscnt 0x0
	ds_store_b64 v0, v[6:7]
	flat_load_b64 v[6:7], v[22:23] offset:8
	s_wait_loadcnt_dscnt 0x0
	ds_store_b64 v0, v[6:7]
	flat_load_b64 v[6:7], v[22:23] offset:16
	s_wait_loadcnt_dscnt 0x0
	ds_store_b64 v0, v[6:7]
.LBB8_26:
	s_wait_xcnt 0x0
	s_or_b32 exec_lo, exec_lo, s1
	flat_load_b64 v[6:7], v[8:9] offset:608
	s_mov_b32 s1, exec_lo
                                        ; implicit-def: $vgpr64_vgpr65
	s_wait_loadcnt_dscnt 0x0
	v_add_nc_u64_e32 v[58:59], 3, v[6:7]
	v_and_b32_e32 v6, 32, v30
	s_delay_alu instid0(VALU_DEP_2) | instskip(SKIP_1) | instid1(VALU_DEP_2)
	v_and_b32_e32 v58, -4, v58
	s_wait_xcnt 0x0
	v_cmpx_ne_u32_e32 0, v6
	s_cbranch_execz .LBB8_28
; %bb.27:
	flat_load_b64 v[64:65], v[8:9] offset:560
	global_wb scope:SCOPE_SYS
	s_wait_storecnt 0x0
	s_wait_xcnt 0x0
	s_wait_loadcnt_dscnt 0x0
	flat_store_b64 v[64:65], v[58:59] scope:SCOPE_SYS
.LBB8_28:
	s_wait_xcnt 0x0
	s_or_b32 exec_lo, exec_lo, s1
	v_add_nc_u64_e32 v[22:23], 0x1f8, v[8:9]
	v_mov_b64_e32 v[6:7], 0
	v_and_b32_e32 v19, 4, v30
	s_mov_b32 s1, exec_lo
                                        ; implicit-def: $vgpr66
                                        ; implicit-def: $vgpr68_vgpr69
                                        ; implicit-def: $vgpr82_vgpr83
	s_delay_alu instid0(VALU_DEP_1)
	v_cmpx_ne_u32_e32 0, v19
	s_cbranch_execz .LBB8_32
; %bb.29:
	v_and_b32_e32 v6, 0x800, v30
	s_mov_b32 s2, exec_lo
	s_delay_alu instid0(VALU_DEP_1)
	v_cmpx_eq_u32_e32 0, v6
	s_cbranch_execz .LBB8_31
; %bb.30:
	s_trap 2
	ds_store_b64 v0, v[22:23]
.LBB8_31:
	s_or_b32 exec_lo, exec_lo, s2
	flat_load_b64 v[64:65], v[8:9] offset:552
	s_wait_loadcnt_dscnt 0x0
	flat_load_b64 v[82:83], v[64:65] scope:SCOPE_SYS
	s_clause 0x2
	flat_load_b32 v19, v[8:9] offset:576
	flat_load_b64 v[6:7], v[8:9] offset:600
	flat_load_b64 v[68:69], v[8:9] offset:520
	s_wait_xcnt 0x0
	v_or_b32_e32 v8, 0x100, v30
	s_wait_loadcnt_dscnt 0x101
	v_cmp_eq_u64_e32 vcc_lo, 0, v[6:7]
	s_delay_alu instid0(VALU_DEP_2)
	v_dual_ashrrev_i32 v66, 1, v19 :: v_dual_cndmask_b32 v30, v8, v30, vcc_lo
.LBB8_32:
	s_or_b32 exec_lo, exec_lo, s1
.LBB8_33:
	s_delay_alu instid0(SALU_CYCLE_1) | instskip(NEXT) | instid1(VALU_DEP_1)
	s_or_b32 exec_lo, exec_lo, s0
	v_and_b32_e32 v8, 24, v30
	s_mov_b32 s0, exec_lo
                                        ; implicit-def: $vgpr70_vgpr71
	s_delay_alu instid0(VALU_DEP_1)
	v_cmpx_ne_u32_e32 0, v8
	s_cbranch_execz .LBB8_41
; %bb.34:
	s_trap 2
	ds_load_b64 v[6:7], v0
	s_mov_b32 s1, exec_lo
                                        ; implicit-def: $vgpr70_vgpr71
	s_wait_dscnt 0x0
	v_readfirstlane_b32 s2, v6
	v_readfirstlane_b32 s3, v7
	flat_load_b64 v[6:7], v5, s[2:3] scale_offset
	s_wait_xcnt 0x0
	v_or_b32_e32 v5, 0x100, v30
	s_wait_loadcnt_dscnt 0x0
	v_mad_nc_u64_u32 v[22:23], 0xa8, v18, v[6:7]
	flat_load_b128 v[6:9], v[22:23] offset:96
	s_wait_loadcnt_dscnt 0x0
	v_cmp_eq_u64_e32 vcc_lo, 0, v[6:7]
	v_cndmask_b32_e32 v30, v5, v30, vcc_lo
	s_delay_alu instid0(VALU_DEP_1) | instskip(SKIP_1) | instid1(VALU_DEP_1)
	v_and_b32_e32 v5, 16, v30
	s_wait_xcnt 0x0
	v_cmpx_ne_u32_e32 0, v5
	s_cbranch_execz .LBB8_36
; %bb.35:
	s_clause 0x2
	flat_load_b64 v[64:65], v[22:23] offset:48
	flat_load_b64 v[70:71], v[22:23] offset:120
	;; [unrolled: 1-line block ×3, first 2 shown]
.LBB8_36:
	s_wait_xcnt 0x0
	s_or_b32 exec_lo, exec_lo, s1
	v_add_nc_u64_e32 v[58:59], 3, v[8:9]
	v_and_b32_e32 v5, 8, v30
	s_mov_b32 s1, exec_lo
	s_delay_alu instid0(VALU_DEP_2) | instskip(NEXT) | instid1(VALU_DEP_2)
	v_and_b32_e32 v58, -4, v58
	v_cmpx_ne_u32_e32 0, v5
	s_cbranch_execz .LBB8_40
; %bb.37:
	v_and_b32_e32 v5, 0x800, v30
	s_mov_b32 s2, exec_lo
	s_delay_alu instid0(VALU_DEP_1)
	v_cmpx_eq_u32_e32 0, v5
	s_cbranch_execz .LBB8_39
; %bb.38:
	s_trap 2
	ds_store_b64 v0, v[22:23]
.LBB8_39:
	s_or_b32 exec_lo, exec_lo, s2
	s_wait_loadcnt_dscnt 0x202
	flat_load_b64 v[64:65], v[22:23] offset:56
	s_wait_loadcnt_dscnt 0x0
	flat_load_b64 v[82:83], v[64:65] scope:SCOPE_SYS
	s_clause 0x1
	flat_load_b32 v5, v[22:23] offset:72
	flat_load_b64 v[68:69], v[22:23] offset:16
	s_wait_loadcnt_dscnt 0x101
	v_ashrrev_i32_e32 v66, 1, v5
.LBB8_40:
	s_wait_xcnt 0x0
	s_or_b32 exec_lo, exec_lo, s1
.LBB8_41:
	s_delay_alu instid0(SALU_CYCLE_1)
	s_or_b32 exec_lo, exec_lo, s0
	v_cmp_eq_u32_e64 s0, 0, v0
	s_and_saveexec_b32 s1, s0
	s_cbranch_execz .LBB8_43
; %bb.42:
	flat_load_b64 v[8:9], v[2:3] offset:32
	ds_store_2addr_b64 v0, v[12:13], v[10:11] offset1:1
	s_trap 2
	s_wait_loadcnt_dscnt 0x1
	ds_store_b64 v0, v[8:9]
	ds_store_b64 v0, v[16:17]
.LBB8_43:
	s_wait_xcnt 0x0
	s_or_b32 exec_lo, exec_lo, s1
	v_mov_b64_e32 v[80:81], 0
	s_wait_loadcnt 0x0
	v_and_b32_e32 v8, 0xffff, v4
	s_mov_b32 s43, exec_lo
	v_cmpx_lt_i64_e32 0, v[20:21]
	s_cbranch_execnz .LBB8_44
; %bb.4462:
	s_add_pc_i64 .LBB8_4423-.Lpost_addpc1
.Lpost_addpc1:
.LBB8_44:
	flat_load_b32 v4, v[2:3] offset:4
	s_wait_xcnt 0x0
	v_and_b32_e32 v2, 0x1fffff00, v14
	s_wait_dscnt 0x1
	v_dual_mov_b32 v3, 0 :: v_dual_bitop2_b32 v5, 31, v31 bitop3:0x40
	s_ashr_i32 s17, s16, 31
	v_dual_ashrrev_i32 v67, 31, v66 :: v_dual_lshrrev_b32 v84, 5, v1
	s_delay_alu instid0(VALU_DEP_2)
	v_mul_u64_e32 v[24:25], s[16:17], v[2:3]
	v_mov_b32_e32 v101, v3
	s_ashr_i32 s7, s6, 31
	s_add_co_i32 s44, s16, s16
	v_lshlrev_b32_e32 v123, 6, v84
	s_lshr_b32 s7, s7, 29
	s_not_b32 s12, s16
	s_add_co_i32 s13, s6, s7
	v_dual_mov_b32 v121, 0x88 :: v_dual_lshlrev_b32 v122, 9, v84
	v_subrev_nc_u32_e32 v118, 64, v123
	s_ashr_i32 s14, s13, 4
	s_cmp_gt_i32 s16, 0
	v_mov_b64_e32 v[56:57], v[2:3]
	s_cselect_b32 s12, s12, -1
	s_ashr_i32 s13, s13, 31
	v_ashrrev_i32_e32 v119, 31, v118
	v_lshl_add_u32 v102, v84, 11, 0xfffff800
	v_lshl_add_u32 v114, v84, 10, 0xfffffc00
	v_add_nc_u32_e32 v116, 0xfffffe00, v122
	s_lshr_b32 s13, s13, 28
	v_dual_lshrrev_b32 v110, 5, v0 :: v_dual_bitop2_b32 v109, 31, v0 bitop3:0x40
	s_add_co_i32 s24, s12, s44
	s_add_co_i32 s14, s14, s13
	s_ashr_i32 s25, s24, 31
	s_ashr_i32 s45, s14, 4
	v_dual_mov_b32 v113, v3 :: v_dual_ashrrev_i32 v103, 31, v102
	v_dual_ashrrev_i32 v115, 31, v114 :: v_dual_ashrrev_i32 v117, 31, v116
	s_cmp_gt_i32 s16, 2
	v_cmp_eq_u32_e64 s6, 0, v5
	v_dual_mov_b32 v85, v3 :: v_dual_lshlrev_b32 v5, 4, v109
	s_cselect_b32 s46, -1, 0
	s_add_co_i32 s13, s16, 1
	s_add_co_i32 s47, s33, 0xf0
	;; [unrolled: 1-line block ×7, first 2 shown]
	v_cmp_ge_u32_e32 vcc_lo, v0, v1
	v_mov_b64_e32 v[86:87], 0
	v_cmp_eq_u64_e64 s4, 0, v[70:71]
	v_cmp_ne_u64_e64 s5, 0, v[70:71]
	v_mov_b64_e32 v[18:19], 0
	v_mov_b64_e32 v[80:81], 0
	v_add_nc_u64_e32 v[40:41], 0x800, v[102:103]
	v_add_nc_u64_e32 v[42:43], 0x400, v[114:115]
	;; [unrolled: 1-line block ×3, first 2 shown]
	v_cmp_eq_u32_e64 s1, 32, v1
	v_cmp_ne_u32_e64 s2, 32, v1
	v_cmp_ne_u32_e64 s3, v1, v8
	v_dual_mov_b32 v111, 1 :: v_dual_mov_b32 v120, 0x90
	v_cmp_eq_u32_e64 s7, 0, v109
	v_cmp_lt_u32_e64 s10, v109, v15
	v_cmp_le_u32_e64 s11, v109, v15
	v_lshl_or_b32 v100, v110, 11, v5
	v_lshl_or_b32 v112, v110, 10, v5
	s_mov_b32 s19, 0
	s_mov_b64 s[20:21], 0xffffffff
	s_add_nc_u64 s[22:23], s[16:17], -1
	s_mov_b32 s73, 0
	s_clause 0x1
	scratch_store_b64 off, v[22:23], s33 offset:296
	scratch_store_b32 off, v8, s33 offset:304
	s_trap 2
	s_clause 0x1
	scratch_store_b128 off, v[20:23], s33 offset:272
	scratch_store_b64 off, v[24:25], s33 offset:288
	s_wait_loadcnt_dscnt 0x0
	v_and_b32_e32 v2, 1, v4
	v_add_nc_u64_e32 v[46:47], 64, v[118:119]
	s_delay_alu instid0(VALU_DEP_2)
	v_cmp_eq_u32_e64 s12, 1, v2
	s_xor_b32 s61, s12, -1
	s_cmp_ge_i32 s13, s16
	s_cselect_b32 s14, s16, 0
	s_add_co_i32 s62, s16, -2
	s_sub_co_i32 s28, s13, s14
	s_xor_b32 s63, vcc_lo, -1
	s_ashr_i32 s26, s17, 31
	s_sub_co_i32 s72, 0, s16
	s_ashr_i32 s29, s28, 31
	s_branch .LBB8_47
.LBB8_45:                               ;   in Loop: Header=BB8_47 Depth=1
	s_or_b32 exec_lo, exec_lo, s15
.LBB8_46:                               ;   in Loop: Header=BB8_47 Depth=1
	s_delay_alu instid0(SALU_CYCLE_1) | instskip(SKIP_4) | instid1(VALU_DEP_1)
	s_or_b32 exec_lo, exec_lo, s14
	scratch_load_b128 v[20:23], off, s33 offset:272 ; 16-byte Folded Reload
	s_wait_loadcnt 0x1
	v_add_nc_u64_e32 v[18:19], v[18:19], v[24:25]
	s_wait_loadcnt 0x0
	v_cmp_ge_i64_e32 vcc_lo, v[18:19], v[20:21]
	s_or_b32 s73, vcc_lo, s73
	s_wait_xcnt 0x0
	s_and_not1_b32 exec_lo, exec_lo, s73
	s_cbranch_execnz .LBB8_47
; %bb.4464:
	s_add_pc_i64 .LBB8_4422-.Lpost_addpc2
.Lpost_addpc2:
.LBB8_47:                               ; =>This Loop Header: Depth=1
                                        ;     Child Loop BB8_57 Depth 2
                                        ;       Child Loop BB8_65 Depth 3
                                        ;       Child Loop BB8_89 Depth 3
	;; [unrolled: 1-line block ×9, first 2 shown]
                                        ;     Child Loop BB8_818 Depth 2
                                        ;       Child Loop BB8_824 Depth 3
                                        ;       Child Loop BB8_848 Depth 3
	;; [unrolled: 1-line block ×3, first 2 shown]
                                        ;     Child Loop BB8_892 Depth 2
                                        ;       Child Loop BB8_895 Depth 3
                                        ;         Child Loop BB8_903 Depth 4
                                        ;         Child Loop BB8_931 Depth 4
	;; [unrolled: 1-line block ×5, first 2 shown]
                                        ;           Child Loop BB8_1376 Depth 5
                                        ;           Child Loop BB8_1445 Depth 5
                                        ;         Child Loop BB8_1586 Depth 4
                                        ;         Child Loop BB8_1789 Depth 4
                                        ;           Child Loop BB8_1790 Depth 5
                                        ;           Child Loop BB8_1803 Depth 5
                                        ;         Child Loop BB8_1830 Depth 4
                                        ;         Child Loop BB8_1849 Depth 4
                                        ;       Child Loop BB8_1868 Depth 3
                                        ;         Child Loop BB8_1874 Depth 4
                                        ;         Child Loop BB8_1902 Depth 4
	;; [unrolled: 1-line block ×3, first 2 shown]
                                        ;     Child Loop BB8_1943 Depth 2
                                        ;       Child Loop BB8_1951 Depth 3
                                        ;       Child Loop BB8_1979 Depth 3
	;; [unrolled: 1-line block ×5, first 2 shown]
                                        ;         Child Loop BB8_2422 Depth 4
                                        ;         Child Loop BB8_2489 Depth 4
	;; [unrolled: 1-line block ×4, first 2 shown]
                                        ;       Child Loop BB8_2629 Depth 3
                                        ;       Child Loop BB8_2637 Depth 3
	;; [unrolled: 1-line block ×3, first 2 shown]
                                        ;         Child Loop BB8_2843 Depth 4
                                        ;         Child Loop BB8_2854 Depth 4
	;; [unrolled: 1-line block ×4, first 2 shown]
                                        ;       Child Loop BB8_2881 Depth 3
                                        ;       Child Loop BB8_2893 Depth 3
	;; [unrolled: 1-line block ×3, first 2 shown]
                                        ;         Child Loop BB8_3292 Depth 4
                                        ;         Child Loop BB8_3361 Depth 4
                                        ;       Child Loop BB8_3502 Depth 3
                                        ;       Child Loop BB8_3705 Depth 3
                                        ;         Child Loop BB8_3706 Depth 4
                                        ;         Child Loop BB8_3719 Depth 4
                                        ;       Child Loop BB8_3746 Depth 3
                                        ;       Child Loop BB8_3769 Depth 3
                                        ;     Child Loop BB8_3788 Depth 2
                                        ;       Child Loop BB8_3794 Depth 3
                                        ;       Child Loop BB8_3822 Depth 3
	;; [unrolled: 1-line block ×3, first 2 shown]
                                        ;     Child Loop BB8_3863 Depth 2
                                        ;       Child Loop BB8_3866 Depth 3
                                        ;         Child Loop BB8_3874 Depth 4
                                        ;         Child Loop BB8_3902 Depth 4
                                        ;         Child Loop BB8_3921 Depth 4
                                        ;         Child Loop BB8_3944 Depth 4
                                        ;         Child Loop BB8_3962 Depth 4
                                        ;           Child Loop BB8_3964 Depth 5
                                        ;           Child Loop BB8_3969 Depth 5
                                        ;         Child Loop BB8_3975 Depth 4
                                        ;         Child Loop BB8_3983 Depth 4
	;; [unrolled: 1-line block ×3, first 2 shown]
                                        ;           Child Loop BB8_3995 Depth 5
                                        ;           Child Loop BB8_4000 Depth 5
                                        ;         Child Loop BB8_4004 Depth 4
                                        ;         Child Loop BB8_4016 Depth 4
	;; [unrolled: 1-line block ×7, first 2 shown]
                                        ;       Child Loop BB8_4109 Depth 3
                                        ;         Child Loop BB8_4115 Depth 4
                                        ;         Child Loop BB8_4143 Depth 4
	;; [unrolled: 1-line block ×3, first 2 shown]
                                        ;     Child Loop BB8_4187 Depth 2
                                        ;       Child Loop BB8_4195 Depth 3
                                        ;       Child Loop BB8_4219 Depth 3
	;; [unrolled: 1-line block ×9, first 2 shown]
                                        ;     Child Loop BB8_4356 Depth 2
                                        ;       Child Loop BB8_4362 Depth 3
                                        ;       Child Loop BB8_4386 Depth 3
	;; [unrolled: 1-line block ×3, first 2 shown]
	v_sub_nc_u64_e32 v[60:61], v[20:21], v[18:19]
	s_mov_b32 s40, exec_lo
	s_wait_xcnt 0x0
	s_delay_alu instid0(VALU_DEP_1)
	v_cmpx_lt_i64_e64 v[60:61], v[24:25]
	s_cbranch_execz .LBB8_53
; %bb.48:                               ;   in Loop: Header=BB8_47 Depth=1
	v_add_nc_u64_e32 v[8:9], s[22:23], v[60:61]
                                        ; implicit-def: $vgpr10_vgpr11
	s_mov_b32 s13, exec_lo
	s_delay_alu instid0(VALU_DEP_1) | instskip(NEXT) | instid1(VALU_DEP_1)
	v_dual_mov_b32 v4, v3 :: v_dual_bitop2_b32 v5, s17, v9 bitop3:0x54
	v_cmpx_ne_u64_e32 0, v[4:5]
	s_xor_b32 s41, exec_lo, s13
	s_cbranch_execz .LBB8_50
; %bb.49:                               ;   in Loop: Header=BB8_47 Depth=1
	s_mov_b32 s27, s26
	v_dual_mov_b32 v13, v3 :: v_dual_ashrrev_i32 v4, 31, v9
	s_add_nc_u64 s[14:15], s[16:17], s[26:27]
	v_mov_b32_e32 v17, v3
	s_xor_b64 s[14:15], s[14:15], s[26:27]
	s_delay_alu instid0(VALU_DEP_2) | instskip(SKIP_3) | instid1(VALU_DEP_1)
	v_mov_b32_e32 v5, v4
	s_cvt_f32_u32 s13, s14
	s_cvt_f32_u32 s18, s15
	s_sub_nc_u64 s[76:77], 0, s[14:15]
	v_add_nc_u64_e32 v[8:9], v[8:9], v[4:5]
	s_delay_alu instid0(SALU_CYCLE_1) | instskip(NEXT) | instid1(SALU_CYCLE_3)
	s_fmamk_f32 s13, s18, 0x4f800000, s13
	v_s_rcp_f32 s13, s13
	s_delay_alu instid0(VALU_DEP_1) | instskip(NEXT) | instid1(VALU_DEP_2)
	v_xor_b32_e32 v2, v8, v4
	v_xor_b32_e32 v12, v9, v4
	;; [unrolled: 1-line block ×3, first 2 shown]
	s_delay_alu instid0(TRANS32_DEP_1) | instskip(NEXT) | instid1(SALU_CYCLE_3)
	s_mul_f32 s13, s13, 0x5f7ffffc
	s_mul_f32 s18, s13, 0x2f800000
	s_delay_alu instid0(SALU_CYCLE_3) | instskip(NEXT) | instid1(SALU_CYCLE_3)
	s_trunc_f32 s18, s18
	s_fmamk_f32 s13, s18, 0xcf800000, s13
	s_cvt_u32_f32 s75, s18
	s_delay_alu instid0(SALU_CYCLE_2) | instskip(NEXT) | instid1(SALU_CYCLE_3)
	s_cvt_u32_f32 s74, s13
	s_mul_u64 s[78:79], s[76:77], s[74:75]
	s_delay_alu instid0(SALU_CYCLE_1)
	s_mul_hi_u32 s89, s74, s79
	s_mul_i32 s88, s74, s79
	s_mul_hi_u32 s18, s74, s78
	s_mul_i32 s27, s75, s78
	s_add_nc_u64 s[88:89], s[18:19], s[88:89]
	s_mul_hi_u32 s13, s75, s78
	s_mul_hi_u32 s90, s75, s79
	s_add_co_u32 s18, s88, s27
	s_add_co_ci_u32 s18, s89, s13
	s_mul_i32 s78, s75, s79
	s_add_co_ci_u32 s79, s90, 0
	s_delay_alu instid0(SALU_CYCLE_1) | instskip(NEXT) | instid1(SALU_CYCLE_1)
	s_add_nc_u64 s[78:79], s[18:19], s[78:79]
	s_add_co_u32 s74, s74, s78
	s_cselect_b32 s13, -1, 0
	s_delay_alu instid0(SALU_CYCLE_1) | instskip(SKIP_1) | instid1(SALU_CYCLE_1)
	s_cmp_lg_u32 s13, 0
	s_add_co_ci_u32 s75, s75, s79
	s_mul_u64 s[76:77], s[76:77], s[74:75]
	s_delay_alu instid0(SALU_CYCLE_1)
	s_mul_hi_u32 s79, s74, s77
	s_mul_i32 s78, s74, s77
	s_mul_hi_u32 s18, s74, s76
	s_mul_i32 s27, s75, s76
	s_add_nc_u64 s[78:79], s[18:19], s[78:79]
	s_mul_hi_u32 s13, s75, s76
	s_mul_hi_u32 s88, s75, s77
	s_add_co_u32 s18, s78, s27
	s_add_co_ci_u32 s18, s79, s13
	s_mul_i32 s76, s75, s77
	s_add_co_ci_u32 s77, s88, 0
	s_delay_alu instid0(SALU_CYCLE_1) | instskip(NEXT) | instid1(SALU_CYCLE_1)
	s_add_nc_u64 s[76:77], s[18:19], s[76:77]
	s_add_co_u32 s74, s74, s76
	s_cselect_b32 s13, -1, 0
	v_mul_hi_u32 v16, v2, s74
	s_cmp_lg_u32 s13, 0
	s_add_co_ci_u32 s18, s75, s77
	s_and_b64 s[76:77], s[74:75], s[20:21]
	v_mul_u64_e32 v[10:11], s[18:19], v[2:3]
	v_mul_u64_e32 v[8:9], s[76:77], v[12:13]
	;; [unrolled: 1-line block ×3, first 2 shown]
	s_delay_alu instid0(VALU_DEP_3) | instskip(NEXT) | instid1(VALU_DEP_1)
	v_add_nc_u64_e32 v[10:11], v[16:17], v[10:11]
	v_add_co_u32 v5, vcc_lo, v10, v8
	s_delay_alu instid0(VALU_DEP_2) | instskip(NEXT) | instid1(VALU_DEP_4)
	v_add_co_ci_u32_e32 v16, vcc_lo, v11, v9, vcc_lo
	v_add_co_ci_u32_e32 v15, vcc_lo, 0, v15, vcc_lo
	s_delay_alu instid0(VALU_DEP_1) | instskip(NEXT) | instid1(VALU_DEP_1)
	v_add_nc_u64_e32 v[8:9], v[16:17], v[14:15]
	v_mul_u64_e32 v[10:11], s[14:15], v[8:9]
	s_delay_alu instid0(VALU_DEP_1) | instskip(NEXT) | instid1(VALU_DEP_2)
	v_sub_nc_u32_e32 v5, v12, v11
	v_sub_co_u32 v2, vcc_lo, v2, v10
	s_delay_alu instid0(VALU_DEP_1) | instskip(NEXT) | instid1(VALU_DEP_3)
	v_sub_co_ci_u32_e64 v14, null, v12, v11, vcc_lo
	v_subrev_co_ci_u32_e64 v5, null, s15, v5, vcc_lo
	s_delay_alu instid0(VALU_DEP_3) | instskip(SKIP_1) | instid1(VALU_DEP_3)
	v_sub_co_u32 v10, s13, v2, s14
	v_add_nc_u64_e32 v[12:13], 1, v[8:9]
	v_subrev_co_ci_u32_e64 v5, null, 0, v5, s13
	s_delay_alu instid0(VALU_DEP_3) | instskip(SKIP_1) | instid1(VALU_DEP_3)
	v_cmp_le_u32_e32 vcc_lo, s14, v10
	v_cndmask_b32_e64 v10, 0, -1, vcc_lo
	v_cmp_le_u32_e32 vcc_lo, s15, v5
	v_cndmask_b32_e64 v11, 0, -1, vcc_lo
	;; [unrolled: 2-line block ×4, first 2 shown]
	v_cmp_eq_u32_e32 vcc_lo, s15, v5
	v_cndmask_b32_e32 v5, v11, v10, vcc_lo
	v_cmp_eq_u32_e32 vcc_lo, s15, v14
	v_add_nc_u64_e32 v[10:11], 2, v[8:9]
	v_cndmask_b32_e32 v2, v15, v2, vcc_lo
	s_delay_alu instid0(VALU_DEP_4) | instskip(NEXT) | instid1(VALU_DEP_2)
	v_cmp_ne_u32_e32 vcc_lo, 0, v5
	v_cmp_ne_u32_e64 s13, 0, v2
	s_delay_alu instid0(VALU_DEP_4) | instskip(NEXT) | instid1(VALU_DEP_1)
	v_dual_cndmask_b32 v5, v13, v11 :: v_dual_cndmask_b32 v2, v12, v10
	v_dual_cndmask_b32 v9, v9, v5, s13 :: v_dual_cndmask_b32 v2, v8, v2, s13
	s_delay_alu instid0(VALU_DEP_1) | instskip(NEXT) | instid1(VALU_DEP_2)
	v_dual_mov_b32 v5, v4 :: v_dual_bitop2_b32 v9, v9, v4 bitop3:0x14
	v_xor_b32_e32 v8, v2, v4
	s_delay_alu instid0(VALU_DEP_1)
	v_sub_nc_u64_e32 v[10:11], v[8:9], v[4:5]
                                        ; implicit-def: $vgpr8_vgpr9
.LBB8_50:                               ;   in Loop: Header=BB8_47 Depth=1
	s_and_not1_saveexec_b32 s13, s41
	s_cbranch_execz .LBB8_52
; %bb.51:                               ;   in Loop: Header=BB8_47 Depth=1
	v_cvt_f32_u32_e32 v2, s16
	s_delay_alu instid0(VALU_DEP_1) | instskip(SKIP_1) | instid1(TRANS32_DEP_1)
	v_rcp_iflag_f32_e32 v2, v2
	v_nop
	v_mul_f32_e32 v2, 0x4f7ffffe, v2
	s_delay_alu instid0(VALU_DEP_1) | instskip(NEXT) | instid1(VALU_DEP_1)
	v_cvt_u32_f32_e32 v2, v2
	v_mul_lo_u32 v4, s72, v2
	s_delay_alu instid0(VALU_DEP_1) | instskip(NEXT) | instid1(VALU_DEP_1)
	v_mul_hi_u32 v4, v2, v4
	v_add_nc_u32_e32 v2, v2, v4
	s_delay_alu instid0(VALU_DEP_1) | instskip(NEXT) | instid1(VALU_DEP_1)
	v_mul_hi_u32 v2, v8, v2
	v_mul_lo_u32 v4, v2, s16
	s_delay_alu instid0(VALU_DEP_1) | instskip(NEXT) | instid1(VALU_DEP_1)
	v_sub_nc_u32_e32 v4, v8, v4
	v_subrev_nc_u32_e32 v8, s16, v4
	v_cmp_le_u32_e32 vcc_lo, s16, v4
	s_delay_alu instid0(VALU_DEP_2) | instskip(NEXT) | instid1(VALU_DEP_1)
	v_dual_cndmask_b32 v4, v4, v8 :: v_dual_add_nc_u32 v5, 1, v2
	v_cndmask_b32_e32 v2, v2, v5, vcc_lo
	s_delay_alu instid0(VALU_DEP_2) | instskip(NEXT) | instid1(VALU_DEP_2)
	v_cmp_le_u32_e32 vcc_lo, s16, v4
	v_add_nc_u32_e32 v5, 1, v2
	s_delay_alu instid0(VALU_DEP_1) | instskip(NEXT) | instid1(VALU_DEP_1)
	v_cndmask_b32_e32 v2, v2, v5, vcc_lo
	v_mov_b64_e32 v[10:11], v[2:3]
.LBB8_52:                               ;   in Loop: Header=BB8_47 Depth=1
	s_or_b32 exec_lo, exec_lo, s13
	s_delay_alu instid0(VALU_DEP_1) | instskip(NEXT) | instid1(VALU_DEP_1)
	v_add_nc_u64_e32 v[56:57], 7, v[10:11]
	v_and_b32_e32 v56, -8, v56
.LBB8_53:                               ;   in Loop: Header=BB8_47 Depth=1
	s_or_b32 exec_lo, exec_lo, s40
	scratch_load_b64 v[8:9], off, s33 offset:264 ; 8-byte Folded Reload
	v_mul_u64_e32 v[76:77], s[24:25], v[56:57]
	scratch_store_b64 off, v[18:19], s33 offset:256 ; 8-byte Folded Spill
	v_mov_b32_e32 v74, 0
	v_sub_nc_u64_e32 v[4:5], v[60:61], v[76:77]
	s_delay_alu instid0(VALU_DEP_1) | instskip(NEXT) | instid1(VALU_DEP_1)
	v_min_i64 v[4:5], v[56:57], v[4:5]
	v_max_i32_e32 v94, 0, v4
	v_cmp_lt_i32_e32 vcc_lo, 0, v4
	s_delay_alu instid0(VALU_DEP_2) | instskip(SKIP_1) | instid1(VALU_DEP_1)
	v_add_nc_u32_e32 v2, 31, v94
	s_and_b32 s13, s63, vcc_lo
	v_lshrrev_b32_e32 v2, 1, v2
	s_delay_alu instid0(VALU_DEP_1) | instskip(NEXT) | instid1(VALU_DEP_1)
	v_and_b32_e32 v5, 0x3ffffff0, v2
	v_dual_mov_b32 v2, 0 :: v_dual_max_i32 v72, s45, v5
	s_wait_loadcnt 0x0
	v_add_nc_u64_e32 v[62:63], v[18:19], v[8:9]
	s_wait_xcnt 0x0
	s_and_saveexec_b32 s14, s13
	s_cbranch_execz .LBB8_814
; %bb.54:                               ;   in Loop: Header=BB8_47 Depth=1
	v_mov_b32_e32 v74, 0
	s_mov_b32 s27, 1
	s_mov_b32 s18, -1
	s_mov_b32 s15, 0
	s_branch .LBB8_57
.LBB8_55:                               ;   in Loop: Header=BB8_57 Depth=2
	s_wait_xcnt 0x0
	s_or_b32 exec_lo, exec_lo, s40
	v_add_nc_u64_e32 v[58:59], 2, v[58:59]
	global_wb scope:SCOPE_SYS
	s_wait_storecnt 0x0
	s_wait_loadcnt_dscnt 0x0
	flat_store_b64 v[64:65], v[58:59] scope:SCOPE_SYS
.LBB8_56:                               ;   in Loop: Header=BB8_57 Depth=2
	s_wait_xcnt 0x0
	s_or_b32 exec_lo, exec_lo, s13
	v_dual_add_nc_u32 v74, v72, v74 :: v_dual_mov_b32 v2, s27
	s_xor_b32 s13, s18, -1
	s_mov_b32 s18, 0
	s_mov_b32 s27, 2
	s_delay_alu instid0(VALU_DEP_1) | instskip(SKIP_1) | instid1(SALU_CYCLE_1)
	v_cmp_ge_i32_e32 vcc_lo, v74, v94
	s_or_b32 s13, s13, vcc_lo
	s_and_b32 s13, exec_lo, s13
	s_delay_alu instid0(SALU_CYCLE_1) | instskip(NEXT) | instid1(SALU_CYCLE_1)
	s_or_b32 s15, s13, s15
	s_and_not1_b32 exec_lo, exec_lo, s15
	s_cbranch_execz .LBB8_813
.LBB8_57:                               ;   Parent Loop BB8_47 Depth=1
                                        ; =>  This Loop Header: Depth=2
                                        ;       Child Loop BB8_65 Depth 3
                                        ;       Child Loop BB8_89 Depth 3
	;; [unrolled: 1-line block ×9, first 2 shown]
	s_and_saveexec_b32 s13, s0
	s_cbranch_execz .LBB8_59
; %bb.58:                               ;   in Loop: Header=BB8_57 Depth=2
	s_trap 2
	ds_load_b64 v[4:5], v0
	v_ashrrev_i32_e32 v75, 31, v74
	s_wait_dscnt 0x0
	v_lshl_add_u64 v[4:5], v[62:63], 1, v[4:5]
	s_delay_alu instid0(VALU_DEP_1) | instskip(NEXT) | instid1(VALU_DEP_1)
	v_lshl_add_u64 v[4:5], v[76:77], 1, v[4:5]
	v_lshl_add_u64 v[4:5], v[74:75], 1, v[4:5]
	ds_store_b64 v0, v[4:5]
	ds_store_b64 v0, v[86:87]
.LBB8_59:                               ;   in Loop: Header=BB8_57 Depth=2
	s_or_b32 exec_lo, exec_lo, s13
	v_sub_nc_u32_e32 v2, v94, v74
	v_and_b32_e32 v4, 8, v30
	s_mov_b32 s40, exec_lo
	s_delay_alu instid0(VALU_DEP_2) | instskip(NEXT) | instid1(VALU_DEP_2)
	v_min_i32_e32 v72, v72, v2
	v_cmpx_ne_u32_e32 0, v4
	s_cbranch_execz .LBB8_81
; %bb.60:                               ;   in Loop: Header=BB8_57 Depth=2
	s_wait_loadcnt_dscnt 0x1
	v_add_nc_u64_e32 v[4:5], 8, v[82:83]
	v_add_nc_u64_e32 v[8:9], 2, v[58:59]
	s_mov_b32 s41, exec_lo
	s_delay_alu instid0(VALU_DEP_1)
	v_cmpx_lt_u64_e64 v[4:5], v[8:9]
	s_cbranch_execz .LBB8_72
; %bb.61:                               ;   in Loop: Header=BB8_57 Depth=2
	v_and_b32_e32 v2, 64, v30
	s_mov_b32 s74, 0
	s_mov_b32 s78, 0
                                        ; implicit-def: $sgpr75
                                        ; implicit-def: $sgpr76
                                        ; implicit-def: $sgpr77
	s_delay_alu instid0(VALU_DEP_1)
	v_cmp_eq_u32_e32 vcc_lo, 0, v2
	s_branch .LBB8_65
.LBB8_62:                               ;   in Loop: Header=BB8_65 Depth=3
	s_wait_loadcnt_dscnt 0x0
	v_add_nc_u64_e32 v[4:5], 8, v[82:83]
	s_or_b32 s89, s89, exec_lo
	s_delay_alu instid0(VALU_DEP_1)
	v_cmp_ge_u64_e64 s13, v[4:5], v[8:9]
	s_or_not1_b32 s88, s13, exec_lo
.LBB8_63:                               ;   in Loop: Header=BB8_65 Depth=3
	s_or_b32 exec_lo, exec_lo, s91
	s_delay_alu instid0(SALU_CYCLE_1)
	s_and_not1_b32 s13, s77, exec_lo
	s_and_b32 s77, s89, exec_lo
	s_and_not1_b32 s76, s76, exec_lo
	s_and_b32 s88, s88, exec_lo
	s_or_b32 s77, s13, s77
	s_or_b32 s76, s76, s88
.LBB8_64:                               ;   in Loop: Header=BB8_65 Depth=3
	s_or_b32 exec_lo, exec_lo, s79
	s_delay_alu instid0(SALU_CYCLE_1) | instskip(NEXT) | instid1(SALU_CYCLE_1)
	s_and_b32 s13, exec_lo, s76
	s_or_b32 s74, s13, s74
	s_and_not1_b32 s13, s75, exec_lo
	s_and_b32 s75, s77, exec_lo
	s_delay_alu instid0(SALU_CYCLE_1)
	s_or_b32 s75, s13, s75
	s_and_not1_b32 exec_lo, exec_lo, s74
	s_cbranch_execz .LBB8_69
.LBB8_65:                               ;   Parent Loop BB8_47 Depth=1
                                        ;     Parent Loop BB8_57 Depth=2
                                        ; =>    This Inner Loop Header: Depth=3
	s_sleep 1
	s_wait_loadcnt_dscnt 0x0
	flat_load_b64 v[82:83], v[64:65] scope:SCOPE_SYS
	s_or_b32 s77, s77, exec_lo
	s_or_b32 s76, s76, exec_lo
                                        ; implicit-def: $vgpr2
	s_wait_xcnt 0x0
	s_and_saveexec_b32 s79, vcc_lo
	s_cbranch_execz .LBB8_64
; %bb.66:                               ;   in Loop: Header=BB8_65 Depth=3
	s_cmp_lt_i32 s78, 0x270f
	s_mov_b32 s88, -1
	s_cselect_b32 s90, -1, 0
	s_cmp_gt_i32 s78, 0x270e
	s_cbranch_scc0 .LBB8_68
; %bb.67:                               ;   in Loop: Header=BB8_65 Depth=3
	s_trap 2
	ds_load_b64 v[4:5], v0
	s_and_not1_b32 s78, s90, exec_lo
	s_mov_b32 s89, 0
	s_wait_storecnt 0x0
	s_wait_loadcnt_dscnt 0x0
	flat_load_b32 v2, v[4:5] scope:SCOPE_SYS
	s_wait_loadcnt_dscnt 0x0
	global_inv scope:SCOPE_SYS
	v_cmp_eq_u32_e64 s13, 0, v2
	s_and_b32 s13, s13, exec_lo
	s_delay_alu instid0(SALU_CYCLE_1)
	s_or_b32 s90, s78, s13
	s_mov_b32 s78, 0
	s_wait_xcnt 0x0
	s_and_saveexec_b32 s91, s90
	s_cbranch_execz .LBB8_63
	s_branch .LBB8_62
.LBB8_68:                               ;   in Loop: Header=BB8_65 Depth=3
	s_add_co_i32 s78, s78, 1
	s_mov_b32 s89, -1
                                        ; implicit-def: $vgpr2
	s_and_saveexec_b32 s91, s90
	s_cbranch_execz .LBB8_63
	s_branch .LBB8_62
.LBB8_69:                               ;   in Loop: Header=BB8_57 Depth=2
	s_or_b32 exec_lo, exec_lo, s74
	s_xor_b32 s13, s75, -1
	s_delay_alu instid0(SALU_CYCLE_1) | instskip(NEXT) | instid1(SALU_CYCLE_1)
	s_and_saveexec_b32 s74, s13
	s_xor_b32 s13, exec_lo, s74
	s_cbranch_execz .LBB8_71
; %bb.70:                               ;   in Loop: Header=BB8_57 Depth=2
	v_or_b32_e32 v30, 64, v30
	s_wait_storecnt 0x0
	s_wait_loadcnt_dscnt 0x0
	ds_store_b32 v0, v2
	s_trap 2
.LBB8_71:                               ;   in Loop: Header=BB8_57 Depth=2
	s_or_b32 exec_lo, exec_lo, s13
.LBB8_72:                               ;   in Loop: Header=BB8_57 Depth=2
	s_delay_alu instid0(SALU_CYCLE_1) | instskip(SKIP_3) | instid1(VALU_DEP_1)
	s_or_b32 exec_lo, exec_lo, s41
	v_and_b32_e32 v2, 0x100, v30
	s_mov_b32 s41, 0
	;;#ASMSTART
	s_wakeup
	;;#ASMEND
                                        ; implicit-def: $vgpr10_vgpr11
	v_cmp_ne_u32_e32 vcc_lo, 0, v2
	v_and_b32_e32 v2, 7, v58
	s_and_saveexec_b32 s13, vcc_lo
	s_delay_alu instid0(SALU_CYCLE_1)
	s_xor_b32 s13, exec_lo, s13
	s_cbranch_execz .LBB8_93
; %bb.73:                               ;   in Loop: Header=BB8_57 Depth=2
	s_delay_alu instid0(VALU_DEP_1) | instskip(SKIP_2) | instid1(VALU_DEP_1)
	v_mad_nc_u64_u32 v[12:13], v2, 24, v[6:7]
	v_ashrrev_i32_e32 v73, 31, v72
	s_mov_b32 s41, -1
	v_lshlrev_b64_e32 v[4:5], 1, v[72:73]
	s_clause 0x1
	flat_load_b32 v10, v[12:13]
	flat_store_b64 v[12:13], v[4:5] offset:8
	s_wait_loadcnt_dscnt 0x1
	v_cmp_eq_u32_e32 vcc_lo, 1, v10
                                        ; implicit-def: $vgpr10_vgpr11
	s_wait_xcnt 0x0
	s_and_saveexec_b32 s74, vcc_lo
	s_cbranch_execz .LBB8_75
; %bb.74:                               ;   in Loop: Header=BB8_57 Depth=2
	flat_load_b32 v4, v[12:13] offset:4 scope:SCOPE_SYS
	s_xor_b32 s41, exec_lo, -1
	s_wait_loadcnt_dscnt 0x0
	v_ashrrev_i32_e32 v5, 31, v4
	s_delay_alu instid0(VALU_DEP_1)
	v_lshrrev_b64 v[10:11], 1, v[4:5]
.LBB8_75:                               ;   in Loop: Header=BB8_57 Depth=2
	s_wait_xcnt 0x0
	s_or_b32 exec_lo, exec_lo, s74
	s_delay_alu instid0(SALU_CYCLE_1)
	s_and_b32 s41, s41, exec_lo
	s_and_not1_saveexec_b32 s13, s13
	s_cbranch_execnz .LBB8_94
.LBB8_76:                               ;   in Loop: Header=BB8_57 Depth=2
	s_or_b32 exec_lo, exec_lo, s13
	s_and_saveexec_b32 s13, s41
.LBB8_77:                               ;   in Loop: Header=BB8_57 Depth=2
	v_mul_u64_e32 v[10:11], v[2:3], v[66:67]
.LBB8_78:                               ;   in Loop: Header=BB8_57 Depth=2
	s_or_b32 exec_lo, exec_lo, s13
	v_and_b32_e32 v2, 0x2000, v30
	s_delay_alu instid0(VALU_DEP_2)
	v_lshl_add_u64 v[4:5], v[10:11], 1, v[68:69]
	s_mov_b32 s13, exec_lo
	ds_store_b64 v0, v[4:5] offset:784
	v_cmpx_ne_u32_e32 0, v2
	s_cbranch_execz .LBB8_80
; %bb.79:                               ;   in Loop: Header=BB8_57 Depth=2
	ds_load_b64 v[4:5], v0 offset:872
	s_wait_dscnt 0x0
	v_add_nc_u64_e32 v[4:5], 1, v[4:5]
	ds_store_b64 v0, v[4:5] offset:872
.LBB8_80:                               ;   in Loop: Header=BB8_57 Depth=2
	s_or_b32 exec_lo, exec_lo, s13
	v_mov_b64_e32 v[58:59], v[8:9]
.LBB8_81:                               ;   in Loop: Header=BB8_57 Depth=2
	s_or_b32 exec_lo, exec_lo, s40
	s_and_saveexec_b32 s13, s2
	s_cbranch_execz .LBB8_102
; %bb.82:                               ;   in Loop: Header=BB8_57 Depth=2
	s_and_saveexec_b32 s40, s3
	s_delay_alu instid0(SALU_CYCLE_1)
	s_xor_b32 s40, exec_lo, s40
	s_cbranch_execz .LBB8_99
; %bb.83:                               ;   in Loop: Header=BB8_57 Depth=2
	s_and_saveexec_b32 s41, s6
	s_cbranch_execz .LBB8_98
; %bb.84:                               ;   in Loop: Header=BB8_57 Depth=2
	s_mov_b32 s75, exec_lo
	s_mov_b32 s74, exec_lo
	v_mbcnt_lo_u32_b32 v2, s75, 0
	global_wb scope:SCOPE_DEV
	s_wait_storecnt 0x0
	s_wait_loadcnt_dscnt 0x0
	global_inv scope:SCOPE_DEV
	v_cmpx_eq_u32_e32 0, v2
	s_cbranch_execz .LBB8_86
; %bb.85:                               ;   in Loop: Header=BB8_57 Depth=2
	s_bcnt1_i32_b32 s75, s75
	s_delay_alu instid0(SALU_CYCLE_1)
	v_mov_b32_e32 v2, s75
	s_wait_loadcnt 0x0
	ds_add_u64 v0, v[2:3]
	s_trap 2
.LBB8_86:                               ;   in Loop: Header=BB8_57 Depth=2
	s_or_b32 exec_lo, exec_lo, s74
	s_trap 2
	ds_load_b64 v[4:5], v0
	s_wait_dscnt 0x0
	v_add_nc_u64_e32 v[80:81], v[80:81], v[84:85]
	s_mov_b32 s74, exec_lo
	s_delay_alu instid0(VALU_DEP_1)
	v_cmpx_lt_u64_e64 v[4:5], v[80:81]
	s_cbranch_execz .LBB8_97
; %bb.87:                               ;   in Loop: Header=BB8_57 Depth=2
	s_mov_b32 s75, 0
	s_mov_b32 s78, 0
                                        ; implicit-def: $sgpr76
                                        ; implicit-def: $sgpr77
	s_branch .LBB8_89
.LBB8_88:                               ;   in Loop: Header=BB8_89 Depth=3
	s_or_b32 exec_lo, exec_lo, s88
	s_delay_alu instid0(SALU_CYCLE_1) | instskip(NEXT) | instid1(SALU_CYCLE_1)
	s_and_b32 s79, exec_lo, s89
	s_or_b32 s75, s79, s75
	s_and_not1_b32 s76, s76, exec_lo
	s_and_b32 s79, s77, exec_lo
	s_delay_alu instid0(SALU_CYCLE_1)
	s_or_b32 s76, s76, s79
	s_and_not1_b32 exec_lo, exec_lo, s75
	s_cbranch_execz .LBB8_95
.LBB8_89:                               ;   Parent Loop BB8_47 Depth=1
                                        ;     Parent Loop BB8_57 Depth=2
                                        ; =>    This Inner Loop Header: Depth=3
	s_add_co_i32 s78, s78, 1
	s_delay_alu instid0(SALU_CYCLE_1) | instskip(SKIP_1) | instid1(SALU_CYCLE_1)
	s_cmp_lg_u32 s78, 0x2710
	s_cselect_b32 s79, -1, 0
	s_and_b32 vcc_lo, exec_lo, s79
	s_cbranch_vccz .LBB8_91
; %bb.90:                               ;   in Loop: Header=BB8_89 Depth=3
	s_mov_b32 s89, -1
	s_or_b32 s77, s77, exec_lo
	s_and_saveexec_b32 s88, s79
	s_cbranch_execz .LBB8_88
	s_branch .LBB8_92
.LBB8_91:                               ;   in Loop: Header=BB8_89 Depth=3
	s_trap 2
	ds_load_b64 v[4:5], v0
	s_and_not1_b32 s79, s79, exec_lo
	s_mov_b32 s78, 0
	s_wait_loadcnt_dscnt 0x0
	flat_load_b32 v2, v[4:5] scope:SCOPE_SYS
	s_wait_loadcnt_dscnt 0x0
	global_inv scope:SCOPE_SYS
	v_cmp_eq_u32_e32 vcc_lo, 0, v2
	s_and_b32 s88, vcc_lo, exec_lo
	s_delay_alu instid0(SALU_CYCLE_1)
	s_or_b32 s79, s79, s88
	s_mov_b32 s89, -1
	s_or_b32 s77, s77, exec_lo
	s_wait_xcnt 0x0
	s_and_saveexec_b32 s88, s79
	s_cbranch_execz .LBB8_88
.LBB8_92:                               ;   in Loop: Header=BB8_89 Depth=3
	s_sleep 1
	s_trap 2
	ds_load_b64 v[4:5], v0
	s_wait_dscnt 0x0
	s_and_not1_b32 s77, s77, exec_lo
	v_cmp_ge_u64_e32 vcc_lo, v[4:5], v[80:81]
	s_or_not1_b32 s89, vcc_lo, exec_lo
	s_branch .LBB8_88
.LBB8_93:                               ;   in Loop: Header=BB8_57 Depth=2
	s_and_not1_saveexec_b32 s13, s13
	s_cbranch_execz .LBB8_76
.LBB8_94:                               ;   in Loop: Header=BB8_57 Depth=2
	s_or_b32 s41, s41, exec_lo
	s_or_b32 exec_lo, exec_lo, s13
	s_and_saveexec_b32 s13, s41
	s_cbranch_execnz .LBB8_77
	s_branch .LBB8_78
.LBB8_95:                               ;   in Loop: Header=BB8_57 Depth=2
	s_or_b32 exec_lo, exec_lo, s75
	s_and_saveexec_b32 s75, s76
	s_delay_alu instid0(SALU_CYCLE_1)
	s_xor_b32 s75, exec_lo, s75
	s_cbranch_execz .LBB8_97
; %bb.96:                               ;   in Loop: Header=BB8_57 Depth=2
	ds_store_b32 v0, v111
	s_trap 2
.LBB8_97:                               ;   in Loop: Header=BB8_57 Depth=2
	s_or_b32 exec_lo, exec_lo, s74
	;;#ASMSTART
	s_wakeup
	;;#ASMEND
.LBB8_98:                               ;   in Loop: Header=BB8_57 Depth=2
	s_or_b32 exec_lo, exec_lo, s41
.LBB8_99:                               ;   in Loop: Header=BB8_57 Depth=2
	s_and_not1_saveexec_b32 s40, s40
	s_cbranch_execz .LBB8_101
; %bb.100:                              ;   in Loop: Header=BB8_57 Depth=2
	global_wb scope:SCOPE_DEV
	s_wait_storecnt 0x0
	s_wait_loadcnt_dscnt 0x0
	global_inv scope:SCOPE_DEV
	s_barrier_signal -1
	s_barrier_wait -1
.LBB8_101:                              ;   in Loop: Header=BB8_57 Depth=2
	s_or_b32 exec_lo, exec_lo, s40
.LBB8_102:                              ;   in Loop: Header=BB8_57 Depth=2
	s_delay_alu instid0(SALU_CYCLE_1) | instskip(SKIP_4) | instid1(VALU_DEP_1)
	s_or_b32 exec_lo, exec_lo, s13
	s_trap 2
	ds_load_b32 v4, v0
	v_and_b32_e32 v2, 0x4000, v30
	s_xor_b32 s13, s1, -1
	v_cmp_ne_u32_e32 vcc_lo, 0, v2
	s_and_b32 s40, s13, vcc_lo
	s_delay_alu instid0(SALU_CYCLE_1)
	s_and_saveexec_b32 s13, s40
	s_cbranch_execz .LBB8_121
; %bb.103:                              ;   in Loop: Header=BB8_57 Depth=2
	s_and_saveexec_b32 s40, s3
	s_delay_alu instid0(SALU_CYCLE_1)
	s_xor_b32 s40, exec_lo, s40
	s_cbranch_execz .LBB8_118
; %bb.104:                              ;   in Loop: Header=BB8_57 Depth=2
	s_and_saveexec_b32 s41, s6
	s_cbranch_execz .LBB8_117
; %bb.105:                              ;   in Loop: Header=BB8_57 Depth=2
	s_mov_b32 s75, exec_lo
	s_mov_b32 s74, exec_lo
	v_mbcnt_lo_u32_b32 v2, s75, 0
	global_wb scope:SCOPE_DEV
	s_wait_storecnt 0x0
	s_wait_loadcnt_dscnt 0x0
	global_inv scope:SCOPE_DEV
	v_cmpx_eq_u32_e32 0, v2
	s_cbranch_execz .LBB8_107
; %bb.106:                              ;   in Loop: Header=BB8_57 Depth=2
	s_bcnt1_i32_b32 s75, s75
	s_delay_alu instid0(SALU_CYCLE_1)
	v_mov_b32_e32 v2, s75
	s_wait_loadcnt 0x0
	ds_add_u64 v0, v[2:3]
	s_trap 2
.LBB8_107:                              ;   in Loop: Header=BB8_57 Depth=2
	s_or_b32 exec_lo, exec_lo, s74
	s_trap 2
	ds_load_b64 v[8:9], v0
	s_wait_dscnt 0x0
	v_add_nc_u64_e32 v[80:81], v[80:81], v[84:85]
	s_mov_b32 s74, exec_lo
	s_delay_alu instid0(VALU_DEP_1)
	v_cmpx_lt_u64_e64 v[8:9], v[80:81]
	s_cbranch_execz .LBB8_116
; %bb.108:                              ;   in Loop: Header=BB8_57 Depth=2
	s_mov_b32 s75, 0
	s_mov_b32 s78, 0
                                        ; implicit-def: $sgpr76
                                        ; implicit-def: $sgpr77
	s_branch .LBB8_110
.LBB8_109:                              ;   in Loop: Header=BB8_110 Depth=3
	s_or_b32 exec_lo, exec_lo, s88
	s_delay_alu instid0(SALU_CYCLE_1) | instskip(NEXT) | instid1(SALU_CYCLE_1)
	s_and_b32 s79, exec_lo, s89
	s_or_b32 s75, s79, s75
	s_and_not1_b32 s76, s76, exec_lo
	s_and_b32 s79, s77, exec_lo
	s_delay_alu instid0(SALU_CYCLE_1)
	s_or_b32 s76, s76, s79
	s_and_not1_b32 exec_lo, exec_lo, s75
	s_cbranch_execz .LBB8_114
.LBB8_110:                              ;   Parent Loop BB8_47 Depth=1
                                        ;     Parent Loop BB8_57 Depth=2
                                        ; =>    This Inner Loop Header: Depth=3
	s_add_co_i32 s78, s78, 1
	s_delay_alu instid0(SALU_CYCLE_1) | instskip(SKIP_1) | instid1(SALU_CYCLE_1)
	s_cmp_lg_u32 s78, 0x2710
	s_cselect_b32 s79, -1, 0
	s_and_b32 vcc_lo, exec_lo, s79
	s_cbranch_vccz .LBB8_112
; %bb.111:                              ;   in Loop: Header=BB8_110 Depth=3
	s_mov_b32 s89, -1
	s_or_b32 s77, s77, exec_lo
	s_and_saveexec_b32 s88, s79
	s_cbranch_execz .LBB8_109
	s_branch .LBB8_113
.LBB8_112:                              ;   in Loop: Header=BB8_110 Depth=3
	s_trap 2
	ds_load_b64 v[8:9], v0
	s_and_not1_b32 s79, s79, exec_lo
	s_mov_b32 s78, 0
	s_wait_loadcnt_dscnt 0x0
	flat_load_b32 v2, v[8:9] scope:SCOPE_SYS
	s_wait_loadcnt_dscnt 0x0
	global_inv scope:SCOPE_SYS
	v_cmp_eq_u32_e32 vcc_lo, 0, v2
	s_and_b32 s88, vcc_lo, exec_lo
	s_delay_alu instid0(SALU_CYCLE_1)
	s_or_b32 s79, s79, s88
	s_mov_b32 s89, -1
	s_or_b32 s77, s77, exec_lo
	s_wait_xcnt 0x0
	s_and_saveexec_b32 s88, s79
	s_cbranch_execz .LBB8_109
.LBB8_113:                              ;   in Loop: Header=BB8_110 Depth=3
	s_sleep 1
	s_trap 2
	ds_load_b64 v[8:9], v0
	s_wait_dscnt 0x0
	s_and_not1_b32 s77, s77, exec_lo
	v_cmp_ge_u64_e32 vcc_lo, v[8:9], v[80:81]
	s_or_not1_b32 s89, vcc_lo, exec_lo
	s_branch .LBB8_109
.LBB8_114:                              ;   in Loop: Header=BB8_57 Depth=2
	s_or_b32 exec_lo, exec_lo, s75
	s_and_saveexec_b32 s75, s76
	s_delay_alu instid0(SALU_CYCLE_1)
	s_xor_b32 s75, exec_lo, s75
	s_cbranch_execz .LBB8_116
; %bb.115:                              ;   in Loop: Header=BB8_57 Depth=2
	ds_store_b32 v0, v111
	s_trap 2
.LBB8_116:                              ;   in Loop: Header=BB8_57 Depth=2
	s_or_b32 exec_lo, exec_lo, s74
	;;#ASMSTART
	s_wakeup
	;;#ASMEND
.LBB8_117:                              ;   in Loop: Header=BB8_57 Depth=2
	s_or_b32 exec_lo, exec_lo, s41
.LBB8_118:                              ;   in Loop: Header=BB8_57 Depth=2
	s_and_not1_saveexec_b32 s40, s40
	s_cbranch_execz .LBB8_120
; %bb.119:                              ;   in Loop: Header=BB8_57 Depth=2
	global_wb scope:SCOPE_DEV
	s_wait_storecnt 0x0
	s_wait_loadcnt_dscnt 0x0
	global_inv scope:SCOPE_DEV
	s_barrier_signal -1
	s_barrier_wait -1
.LBB8_120:                              ;   in Loop: Header=BB8_57 Depth=2
	s_or_b32 exec_lo, exec_lo, s40
.LBB8_121:                              ;   in Loop: Header=BB8_57 Depth=2
	s_delay_alu instid0(SALU_CYCLE_1)
	s_or_b32 exec_lo, exec_lo, s13
	s_trap 2
	ds_load_b64 v[78:79], v0
	s_wait_dscnt 0x0
	v_cmp_eq_u64_e32 vcc_lo, 0, v[78:79]
	s_cbranch_vccnz .LBB8_129
; %bb.122:                              ;   in Loop: Header=BB8_57 Depth=2
	s_trap 2
	ds_load_b64 v[88:89], v0
	s_wait_dscnt 0x0
	v_cmp_eq_u64_e32 vcc_lo, 0, v[88:89]
	s_cbranch_vccnz .LBB8_129
; %bb.123:                              ;   in Loop: Header=BB8_57 Depth=2
	s_mov_b32 s13, -1
	s_and_saveexec_b32 s40, s7
	s_cbranch_execz .LBB8_125
; %bb.124:                              ;   in Loop: Header=BB8_57 Depth=2
	ds_load_b32 v2, v0 offset:720
	s_wait_dscnt 0x0
	v_and_b32_e32 v2, 15, v2
	s_delay_alu instid0(VALU_DEP_1)
	v_cmp_eq_u32_e32 vcc_lo, 0, v2
	s_or_not1_b32 s13, vcc_lo, exec_lo
.LBB8_125:                              ;   in Loop: Header=BB8_57 Depth=2
	s_or_b32 exec_lo, exec_lo, s40
	s_and_saveexec_b32 s40, s10
	s_cbranch_execz .LBB8_127
; %bb.126:                              ;   in Loop: Header=BB8_57 Depth=2
	ds_load_b32 v2, v0 offset:784
	s_wait_dscnt 0x0
	v_and_b32_e32 v2, 15, v2
	s_delay_alu instid0(VALU_DEP_1) | instskip(SKIP_3) | instid1(SALU_CYCLE_1)
	v_cmp_eq_u32_e32 vcc_lo, 0, v2
	s_and_b32 s41, s13, vcc_lo
	s_and_not1_b32 s13, s13, exec_lo
	s_and_b32 s41, s41, exec_lo
	s_or_b32 s13, s13, s41
.LBB8_127:                              ;   in Loop: Header=BB8_57 Depth=2
	s_or_b32 exec_lo, exec_lo, s40
	s_xor_b32 s13, s13, -1
	s_mov_b32 s41, -1
	v_cndmask_b32_e64 v2, 0, 1, s13
	v_cmp_eq_u32_e64 s13, 0, v4
	s_delay_alu instid0(VALU_DEP_2)
	v_cmp_ne_u32_e32 vcc_lo, 0, v2
	s_cbranch_vccz .LBB8_130
; %bb.128:                              ;   in Loop: Header=BB8_57 Depth=2
	s_mov_b32 s41, 0
	s_mov_b32 s40, -1
	s_branch .LBB8_131
.LBB8_129:                              ;   in Loop: Header=BB8_57 Depth=2
	s_mov_b32 s13, 0
	s_and_saveexec_b32 s40, s2
	s_cbranch_execnz .LBB8_769
	s_branch .LBB8_787
.LBB8_130:                              ;   in Loop: Header=BB8_57 Depth=2
	s_mov_b32 s40, 0
.LBB8_131:                              ;   in Loop: Header=BB8_57 Depth=2
	v_dual_cndmask_b32 v2, 0, v72, s13 :: v_dual_mov_b32 v12, 0
	s_and_not1_b32 vcc_lo, exec_lo, s41
	s_delay_alu instid0(VALU_DEP_1)
	v_lshlrev_b32_e32 v73, 1, v2
	s_cbranch_vccnz .LBB8_395
; %bb.132:                              ;   in Loop: Header=BB8_57 Depth=2
	s_delay_alu instid0(VALU_DEP_1) | instskip(SKIP_3) | instid1(VALU_DEP_2)
	v_ashrrev_i32_e32 v4, 31, v73
	v_add_nc_u64_e32 v[90:91], v[88:89], v[100:101]
	s_mov_b32 s41, 0
	s_mov_b32 s13, exec_lo
                                        ; implicit-def: $vgpr32_vgpr33
                                        ; implicit-def: $vgpr16_vgpr17
                                        ; implicit-def: $vgpr12_vgpr13
                                        ; implicit-def: $vgpr8_vgpr9
	v_lshrrev_b32_e32 v4, 21, v4
	s_delay_alu instid0(VALU_DEP_1) | instskip(NEXT) | instid1(VALU_DEP_1)
	v_add_nc_u32_e32 v4, v73, v4
	v_ashrrev_i32_e32 v75, 11, v4
	s_delay_alu instid0(VALU_DEP_1) | instskip(NEXT) | instid1(VALU_DEP_1)
	v_sub_nc_u32_e32 v95, v75, v110
	v_cmpx_lt_i32_e32 0, v95
	s_cbranch_execz .LBB8_397
; %bb.133:                              ;   in Loop: Header=BB8_57 Depth=2
	s_trap 2
	ds_load_b32 v4, v0
	v_add_nc_u64_e32 v[92:93], v[78:79], v[100:101]
	s_mov_b32 s75, 0
                                        ; implicit-def: $sgpr74
                                        ; implicit-def: $vgpr32_vgpr33
                                        ; implicit-def: $vgpr16_vgpr17
                                        ; implicit-def: $vgpr12_vgpr13
                                        ; implicit-def: $vgpr8_vgpr9
	s_wait_dscnt 0x0
	v_lshlrev_b32_e32 v104, 16, v4
	s_branch .LBB8_135
.LBB8_134:                              ;   in Loop: Header=BB8_135 Depth=3
	s_or_b32 exec_lo, exec_lo, s76
	v_dual_lshrrev_b32 v5, 16, v5 :: v_dual_lshrrev_b32 v54, 16, v54
	v_dual_lshrrev_b32 v96, 16, v25 :: v_dual_lshrrev_b32 v55, 16, v55
	v_lshrrev_b32_e32 v29, 16, v29
	s_delay_alu instid0(VALU_DEP_3) | instskip(NEXT) | instid1(VALU_DEP_4)
	v_and_or_b32 v25, 0xffff0000, v24, v5
	v_and_or_b32 v24, 0xffff0000, v4, v54
	v_dual_lshrrev_b32 v4, 16, v53 :: v_dual_lshrrev_b32 v5, 16, v52
	v_and_or_b32 v27, 0xffff0000, v27, v55
	v_and_or_b32 v26, 0xffff0000, v26, v96
	s_delay_alu instid0(VALU_DEP_3) | instskip(NEXT) | instid1(VALU_DEP_4)
	v_and_or_b32 v53, 0xffff0000, v28, v4
	v_and_or_b32 v52, 0xffff0000, v36, v5
	v_lshrrev_b32_e32 v4, 16, v38
	v_dual_lshrrev_b32 v5, 16, v106 :: v_dual_lshrrev_b32 v28, 16, v105
	v_and_or_b32 v54, 0xffff0000, v37, v29
	v_lshrrev_b32_e32 v29, 16, v107
	s_delay_alu instid0(VALU_DEP_4) | instskip(NEXT) | instid1(VALU_DEP_4)
	v_and_or_b32 v55, 0xffff0000, v39, v4
	v_and_or_b32 v37, 0xffff0000, v49, v5
	v_dual_lshrrev_b32 v4, 16, v124 :: v_dual_lshrrev_b32 v5, 16, v99
	v_and_or_b32 v36, 0xffff0000, v48, v28
	v_lshrrev_b32_e32 v28, 16, v98
	v_and_or_b32 v38, 0xffff0000, v50, v29
	s_delay_alu instid0(VALU_DEP_4) | instskip(SKIP_4) | instid1(VALU_DEP_4)
	v_and_or_b32 v39, 0xffff0000, v51, v4
	v_dual_lshrrev_b32 v4, 16, v108 :: v_dual_lshrrev_b32 v29, 16, v125
	v_and_or_b32 v21, 0xffff0000, v21, v5
	v_cndmask_b32_e64 v5, 0, v84, s75
	v_and_or_b32 v20, 0xffff0000, v20, v28
	v_and_or_b32 v22, 0xffff0000, v22, v4
	v_cndmask_b32_e64 v4, 0, v102, s75
	v_and_or_b32 v23, 0xffff0000, v23, v29
	v_dual_sub_nc_u32 v95, v95, v5 :: v_dual_cndmask_b32 v5, 0, v103, s75
	v_cndmask_b32_e64 v29, 0, v41, s75
	v_cndmask_b32_e64 v28, 0x800, v40, s75
	s_clause 0x1
	global_store_b128 v[90:91], v[36:39], off th:TH_STORE_NT
	global_store_b128 v[90:91], v[52:55], off offset:512 th:TH_STORE_NT
	v_cmp_gt_i32_e32 vcc_lo, 1, v95
	s_clause 0x1
	global_store_b128 v[90:91], v[24:27], off offset:1024 th:TH_STORE_NT
	global_store_b128 v[90:91], v[20:23], off offset:1536 th:TH_STORE_NT
	v_add_nc_u64_e32 v[92:93], v[92:93], v[4:5]
	s_wait_xcnt 0x0
	v_add_nc_u64_e32 v[90:91], v[90:91], v[28:29]
	s_or_b32 s41, vcc_lo, s41
	s_and_not1_b32 s74, s74, exec_lo
	s_and_b32 s76, s75, exec_lo
	s_delay_alu instid0(SALU_CYCLE_1)
	s_or_b32 s74, s74, s76
	s_and_not1_b32 exec_lo, exec_lo, s41
	s_cbranch_execz .LBB8_396
.LBB8_135:                              ;   Parent Loop BB8_47 Depth=1
                                        ;     Parent Loop BB8_57 Depth=2
                                        ; =>    This Inner Loop Header: Depth=3
	s_clause 0x3
	global_load_b128 v[48:51], v[92:93], off th:TH_LOAD_NT
	global_load_b128 v[36:39], v[92:93], off offset:512 th:TH_LOAD_NT
	global_load_b128 v[24:27], v[92:93], off offset:1024 th:TH_LOAD_NT
	global_load_b128 v[20:23], v[92:93], off offset:1536 th:TH_LOAD_NT
	s_wait_xcnt 0x0
	s_and_saveexec_b32 s76, s75
	s_cbranch_execz .LBB8_265
; %bb.136:                              ;   in Loop: Header=BB8_135 Depth=3
	v_lshlrev_b32_e32 v4, 16, v32
	s_mov_b32 s75, exec_lo
                                        ; implicit-def: $vgpr105
	s_delay_alu instid0(VALU_DEP_1) | instskip(NEXT) | instid1(VALU_DEP_1)
	v_mul_f32_e32 v4, v104, v4
	v_and_b32_e32 v5, 0x7f800000, v4
	s_delay_alu instid0(VALU_DEP_1)
	v_cmpx_ne_u32_e32 0x7f800000, v5
	s_xor_b32 s75, exec_lo, s75
; %bb.137:                              ;   in Loop: Header=BB8_135 Depth=3
	v_bfe_u32 v5, v4, 16, 1
	s_delay_alu instid0(VALU_DEP_1)
	v_add3_u32 v105, v4, v5, 0x7fff
                                        ; implicit-def: $vgpr4
; %bb.138:                              ;   in Loop: Header=BB8_135 Depth=3
	s_and_not1_saveexec_b32 s75, s75
; %bb.139:                              ;   in Loop: Header=BB8_135 Depth=3
	v_and_b32_e32 v5, 0xffff, v4
	v_or_b32_e32 v28, 0x10000, v4
	s_delay_alu instid0(VALU_DEP_2) | instskip(NEXT) | instid1(VALU_DEP_2)
	v_cmp_eq_u32_e32 vcc_lo, 0, v5
	v_cndmask_b32_e32 v105, v28, v4, vcc_lo
; %bb.140:                              ;   in Loop: Header=BB8_135 Depth=3
	s_or_b32 exec_lo, exec_lo, s75
	v_and_b32_e32 v4, 0xffff0000, v32
	s_mov_b32 s75, exec_lo
                                        ; implicit-def: $vgpr32
	s_delay_alu instid0(VALU_DEP_1) | instskip(NEXT) | instid1(VALU_DEP_1)
	v_mul_f32_e32 v4, v104, v4
	v_and_b32_e32 v5, 0x7f800000, v4
	s_delay_alu instid0(VALU_DEP_1)
	v_cmpx_ne_u32_e32 0x7f800000, v5
	s_xor_b32 s75, exec_lo, s75
; %bb.141:                              ;   in Loop: Header=BB8_135 Depth=3
	v_bfe_u32 v5, v4, 16, 1
	s_delay_alu instid0(VALU_DEP_1)
	v_add3_u32 v32, v4, v5, 0x7fff
                                        ; implicit-def: $vgpr4
; %bb.142:                              ;   in Loop: Header=BB8_135 Depth=3
	s_and_not1_saveexec_b32 s75, s75
; %bb.143:                              ;   in Loop: Header=BB8_135 Depth=3
	v_and_b32_e32 v5, 0xffff, v4
	v_or_b32_e32 v28, 0x10000, v4
	s_delay_alu instid0(VALU_DEP_2) | instskip(NEXT) | instid1(VALU_DEP_2)
	v_cmp_eq_u32_e32 vcc_lo, 0, v5
	v_cndmask_b32_e32 v32, v28, v4, vcc_lo
; %bb.144:                              ;   in Loop: Header=BB8_135 Depth=3
	s_or_b32 exec_lo, exec_lo, s75
	v_lshlrev_b32_e32 v4, 16, v33
	s_mov_b32 s75, exec_lo
                                        ; implicit-def: $vgpr106
	s_delay_alu instid0(VALU_DEP_1) | instskip(NEXT) | instid1(VALU_DEP_1)
	v_mul_f32_e32 v4, v104, v4
	v_and_b32_e32 v5, 0x7f800000, v4
	s_delay_alu instid0(VALU_DEP_1)
	v_cmpx_ne_u32_e32 0x7f800000, v5
	s_xor_b32 s75, exec_lo, s75
; %bb.145:                              ;   in Loop: Header=BB8_135 Depth=3
	v_bfe_u32 v5, v4, 16, 1
	s_delay_alu instid0(VALU_DEP_1)
	v_add3_u32 v106, v4, v5, 0x7fff
                                        ; implicit-def: $vgpr4
; %bb.146:                              ;   in Loop: Header=BB8_135 Depth=3
	s_and_not1_saveexec_b32 s75, s75
; %bb.147:                              ;   in Loop: Header=BB8_135 Depth=3
	v_and_b32_e32 v5, 0xffff, v4
	v_or_b32_e32 v28, 0x10000, v4
	s_delay_alu instid0(VALU_DEP_2) | instskip(NEXT) | instid1(VALU_DEP_2)
	v_cmp_eq_u32_e32 vcc_lo, 0, v5
	v_cndmask_b32_e32 v106, v28, v4, vcc_lo
; %bb.148:                              ;   in Loop: Header=BB8_135 Depth=3
	s_or_b32 exec_lo, exec_lo, s75
	v_and_b32_e32 v4, 0xffff0000, v33
	s_mov_b32 s75, exec_lo
                                        ; implicit-def: $vgpr33
	s_delay_alu instid0(VALU_DEP_1) | instskip(NEXT) | instid1(VALU_DEP_1)
	v_mul_f32_e32 v4, v104, v4
	v_and_b32_e32 v5, 0x7f800000, v4
	s_delay_alu instid0(VALU_DEP_1)
	v_cmpx_ne_u32_e32 0x7f800000, v5
	s_xor_b32 s75, exec_lo, s75
; %bb.149:                              ;   in Loop: Header=BB8_135 Depth=3
	v_bfe_u32 v5, v4, 16, 1
	s_delay_alu instid0(VALU_DEP_1)
	v_add3_u32 v33, v4, v5, 0x7fff
                                        ; implicit-def: $vgpr4
; %bb.150:                              ;   in Loop: Header=BB8_135 Depth=3
	s_and_not1_saveexec_b32 s75, s75
; %bb.151:                              ;   in Loop: Header=BB8_135 Depth=3
	v_and_b32_e32 v5, 0xffff, v4
	v_or_b32_e32 v28, 0x10000, v4
	s_delay_alu instid0(VALU_DEP_2) | instskip(NEXT) | instid1(VALU_DEP_2)
	v_cmp_eq_u32_e32 vcc_lo, 0, v5
	v_cndmask_b32_e32 v33, v28, v4, vcc_lo
; %bb.152:                              ;   in Loop: Header=BB8_135 Depth=3
	s_or_b32 exec_lo, exec_lo, s75
	v_lshlrev_b32_e32 v4, 16, v34
	s_mov_b32 s75, exec_lo
                                        ; implicit-def: $vgpr107
	s_delay_alu instid0(VALU_DEP_1) | instskip(NEXT) | instid1(VALU_DEP_1)
	v_mul_f32_e32 v4, v104, v4
	v_and_b32_e32 v5, 0x7f800000, v4
	s_delay_alu instid0(VALU_DEP_1)
	v_cmpx_ne_u32_e32 0x7f800000, v5
	s_xor_b32 s75, exec_lo, s75
; %bb.153:                              ;   in Loop: Header=BB8_135 Depth=3
	v_bfe_u32 v5, v4, 16, 1
	s_delay_alu instid0(VALU_DEP_1)
	v_add3_u32 v107, v4, v5, 0x7fff
                                        ; implicit-def: $vgpr4
; %bb.154:                              ;   in Loop: Header=BB8_135 Depth=3
	s_and_not1_saveexec_b32 s75, s75
; %bb.155:                              ;   in Loop: Header=BB8_135 Depth=3
	v_and_b32_e32 v5, 0xffff, v4
	v_or_b32_e32 v28, 0x10000, v4
	s_delay_alu instid0(VALU_DEP_2) | instskip(NEXT) | instid1(VALU_DEP_2)
	v_cmp_eq_u32_e32 vcc_lo, 0, v5
	v_cndmask_b32_e32 v107, v28, v4, vcc_lo
; %bb.156:                              ;   in Loop: Header=BB8_135 Depth=3
	s_or_b32 exec_lo, exec_lo, s75
	v_and_b32_e32 v4, 0xffff0000, v34
	s_mov_b32 s75, exec_lo
                                        ; implicit-def: $vgpr34
	s_delay_alu instid0(VALU_DEP_1) | instskip(NEXT) | instid1(VALU_DEP_1)
	v_mul_f32_e32 v4, v104, v4
	v_and_b32_e32 v5, 0x7f800000, v4
	s_delay_alu instid0(VALU_DEP_1)
	v_cmpx_ne_u32_e32 0x7f800000, v5
	s_xor_b32 s75, exec_lo, s75
; %bb.157:                              ;   in Loop: Header=BB8_135 Depth=3
	v_bfe_u32 v5, v4, 16, 1
	s_delay_alu instid0(VALU_DEP_1)
	v_add3_u32 v34, v4, v5, 0x7fff
                                        ; implicit-def: $vgpr4
; %bb.158:                              ;   in Loop: Header=BB8_135 Depth=3
	s_and_not1_saveexec_b32 s75, s75
; %bb.159:                              ;   in Loop: Header=BB8_135 Depth=3
	v_and_b32_e32 v5, 0xffff, v4
	v_or_b32_e32 v28, 0x10000, v4
	s_delay_alu instid0(VALU_DEP_2) | instskip(NEXT) | instid1(VALU_DEP_2)
	v_cmp_eq_u32_e32 vcc_lo, 0, v5
	v_cndmask_b32_e32 v34, v28, v4, vcc_lo
; %bb.160:                              ;   in Loop: Header=BB8_135 Depth=3
	s_or_b32 exec_lo, exec_lo, s75
	v_lshlrev_b32_e32 v4, 16, v35
	s_mov_b32 s75, exec_lo
                                        ; implicit-def: $vgpr124
	s_delay_alu instid0(VALU_DEP_1) | instskip(NEXT) | instid1(VALU_DEP_1)
	v_mul_f32_e32 v4, v104, v4
	v_and_b32_e32 v5, 0x7f800000, v4
	s_delay_alu instid0(VALU_DEP_1)
	v_cmpx_ne_u32_e32 0x7f800000, v5
	s_xor_b32 s75, exec_lo, s75
; %bb.161:                              ;   in Loop: Header=BB8_135 Depth=3
	v_bfe_u32 v5, v4, 16, 1
	s_delay_alu instid0(VALU_DEP_1)
	v_add3_u32 v124, v4, v5, 0x7fff
                                        ; implicit-def: $vgpr4
; %bb.162:                              ;   in Loop: Header=BB8_135 Depth=3
	s_and_not1_saveexec_b32 s75, s75
; %bb.163:                              ;   in Loop: Header=BB8_135 Depth=3
	v_and_b32_e32 v5, 0xffff, v4
	v_or_b32_e32 v28, 0x10000, v4
	s_delay_alu instid0(VALU_DEP_2) | instskip(NEXT) | instid1(VALU_DEP_2)
	v_cmp_eq_u32_e32 vcc_lo, 0, v5
	v_cndmask_b32_e32 v124, v28, v4, vcc_lo
; %bb.164:                              ;   in Loop: Header=BB8_135 Depth=3
	s_or_b32 exec_lo, exec_lo, s75
	v_and_b32_e32 v4, 0xffff0000, v35
	s_mov_b32 s75, exec_lo
                                        ; implicit-def: $vgpr35
	s_delay_alu instid0(VALU_DEP_1) | instskip(NEXT) | instid1(VALU_DEP_1)
	v_mul_f32_e32 v4, v104, v4
	v_and_b32_e32 v5, 0x7f800000, v4
	s_delay_alu instid0(VALU_DEP_1)
	v_cmpx_ne_u32_e32 0x7f800000, v5
	s_xor_b32 s75, exec_lo, s75
; %bb.165:                              ;   in Loop: Header=BB8_135 Depth=3
	v_bfe_u32 v5, v4, 16, 1
	s_delay_alu instid0(VALU_DEP_1)
	v_add3_u32 v35, v4, v5, 0x7fff
                                        ; implicit-def: $vgpr4
; %bb.166:                              ;   in Loop: Header=BB8_135 Depth=3
	s_and_not1_saveexec_b32 s75, s75
; %bb.167:                              ;   in Loop: Header=BB8_135 Depth=3
	v_and_b32_e32 v5, 0xffff, v4
	v_or_b32_e32 v28, 0x10000, v4
	s_delay_alu instid0(VALU_DEP_2) | instskip(NEXT) | instid1(VALU_DEP_2)
	v_cmp_eq_u32_e32 vcc_lo, 0, v5
	v_cndmask_b32_e32 v35, v28, v4, vcc_lo
; %bb.168:                              ;   in Loop: Header=BB8_135 Depth=3
	s_or_b32 exec_lo, exec_lo, s75
	v_lshlrev_b32_e32 v4, 16, v16
	s_mov_b32 s75, exec_lo
                                        ; implicit-def: $vgpr52
	s_delay_alu instid0(VALU_DEP_1) | instskip(NEXT) | instid1(VALU_DEP_1)
	v_mul_f32_e32 v4, v104, v4
	v_and_b32_e32 v5, 0x7f800000, v4
	s_delay_alu instid0(VALU_DEP_1)
	v_cmpx_ne_u32_e32 0x7f800000, v5
	s_xor_b32 s75, exec_lo, s75
; %bb.169:                              ;   in Loop: Header=BB8_135 Depth=3
	v_bfe_u32 v5, v4, 16, 1
	s_delay_alu instid0(VALU_DEP_1)
	v_add3_u32 v52, v4, v5, 0x7fff
                                        ; implicit-def: $vgpr4
; %bb.170:                              ;   in Loop: Header=BB8_135 Depth=3
	s_and_not1_saveexec_b32 s75, s75
; %bb.171:                              ;   in Loop: Header=BB8_135 Depth=3
	v_and_b32_e32 v5, 0xffff, v4
	v_or_b32_e32 v28, 0x10000, v4
	s_delay_alu instid0(VALU_DEP_2) | instskip(NEXT) | instid1(VALU_DEP_2)
	v_cmp_eq_u32_e32 vcc_lo, 0, v5
	v_cndmask_b32_e32 v52, v28, v4, vcc_lo
; %bb.172:                              ;   in Loop: Header=BB8_135 Depth=3
	s_or_b32 exec_lo, exec_lo, s75
	v_and_b32_e32 v4, 0xffff0000, v16
	s_mov_b32 s75, exec_lo
                                        ; implicit-def: $vgpr16
	s_delay_alu instid0(VALU_DEP_1) | instskip(NEXT) | instid1(VALU_DEP_1)
	v_mul_f32_e32 v4, v104, v4
	v_and_b32_e32 v5, 0x7f800000, v4
	s_delay_alu instid0(VALU_DEP_1)
	v_cmpx_ne_u32_e32 0x7f800000, v5
	s_xor_b32 s75, exec_lo, s75
; %bb.173:                              ;   in Loop: Header=BB8_135 Depth=3
	v_bfe_u32 v5, v4, 16, 1
	s_delay_alu instid0(VALU_DEP_1)
	v_add3_u32 v16, v4, v5, 0x7fff
                                        ; implicit-def: $vgpr4
; %bb.174:                              ;   in Loop: Header=BB8_135 Depth=3
	s_and_not1_saveexec_b32 s75, s75
; %bb.175:                              ;   in Loop: Header=BB8_135 Depth=3
	v_and_b32_e32 v5, 0xffff, v4
	v_or_b32_e32 v16, 0x10000, v4
	s_delay_alu instid0(VALU_DEP_2) | instskip(NEXT) | instid1(VALU_DEP_2)
	v_cmp_eq_u32_e32 vcc_lo, 0, v5
	v_cndmask_b32_e32 v16, v16, v4, vcc_lo
; %bb.176:                              ;   in Loop: Header=BB8_135 Depth=3
	s_or_b32 exec_lo, exec_lo, s75
	v_lshlrev_b32_e32 v4, 16, v17
	s_mov_b32 s75, exec_lo
                                        ; implicit-def: $vgpr53
	s_delay_alu instid0(VALU_DEP_1) | instskip(NEXT) | instid1(VALU_DEP_1)
	v_mul_f32_e32 v4, v104, v4
	v_and_b32_e32 v5, 0x7f800000, v4
	s_delay_alu instid0(VALU_DEP_1)
	v_cmpx_ne_u32_e32 0x7f800000, v5
	s_xor_b32 s75, exec_lo, s75
; %bb.177:                              ;   in Loop: Header=BB8_135 Depth=3
	v_bfe_u32 v5, v4, 16, 1
	s_delay_alu instid0(VALU_DEP_1)
	v_add3_u32 v53, v4, v5, 0x7fff
                                        ; implicit-def: $vgpr4
; %bb.178:                              ;   in Loop: Header=BB8_135 Depth=3
	s_and_not1_saveexec_b32 s75, s75
; %bb.179:                              ;   in Loop: Header=BB8_135 Depth=3
	v_and_b32_e32 v5, 0xffff, v4
	v_or_b32_e32 v28, 0x10000, v4
	s_delay_alu instid0(VALU_DEP_2) | instskip(NEXT) | instid1(VALU_DEP_2)
	v_cmp_eq_u32_e32 vcc_lo, 0, v5
	v_cndmask_b32_e32 v53, v28, v4, vcc_lo
; %bb.180:                              ;   in Loop: Header=BB8_135 Depth=3
	s_or_b32 exec_lo, exec_lo, s75
	v_and_b32_e32 v4, 0xffff0000, v17
	s_mov_b32 s75, exec_lo
                                        ; implicit-def: $vgpr17
	s_delay_alu instid0(VALU_DEP_1) | instskip(NEXT) | instid1(VALU_DEP_1)
	v_mul_f32_e32 v4, v104, v4
	v_and_b32_e32 v5, 0x7f800000, v4
	s_delay_alu instid0(VALU_DEP_1)
	v_cmpx_ne_u32_e32 0x7f800000, v5
	s_xor_b32 s75, exec_lo, s75
; %bb.181:                              ;   in Loop: Header=BB8_135 Depth=3
	v_bfe_u32 v5, v4, 16, 1
	s_delay_alu instid0(VALU_DEP_1)
	v_add3_u32 v17, v4, v5, 0x7fff
                                        ; implicit-def: $vgpr4
; %bb.182:                              ;   in Loop: Header=BB8_135 Depth=3
	s_and_not1_saveexec_b32 s75, s75
; %bb.183:                              ;   in Loop: Header=BB8_135 Depth=3
	v_and_b32_e32 v5, 0xffff, v4
	v_or_b32_e32 v17, 0x10000, v4
	s_delay_alu instid0(VALU_DEP_2) | instskip(NEXT) | instid1(VALU_DEP_2)
	v_cmp_eq_u32_e32 vcc_lo, 0, v5
	v_cndmask_b32_e32 v17, v17, v4, vcc_lo
; %bb.184:                              ;   in Loop: Header=BB8_135 Depth=3
	s_or_b32 exec_lo, exec_lo, s75
	v_lshlrev_b32_e32 v4, 16, v18
	s_mov_b32 s75, exec_lo
                                        ; implicit-def: $vgpr28
	s_delay_alu instid0(VALU_DEP_1) | instskip(NEXT) | instid1(VALU_DEP_1)
	v_mul_f32_e32 v4, v104, v4
	v_and_b32_e32 v5, 0x7f800000, v4
	s_delay_alu instid0(VALU_DEP_1)
	v_cmpx_ne_u32_e32 0x7f800000, v5
	s_xor_b32 s75, exec_lo, s75
; %bb.185:                              ;   in Loop: Header=BB8_135 Depth=3
	v_bfe_u32 v5, v4, 16, 1
	s_delay_alu instid0(VALU_DEP_1)
	v_add3_u32 v28, v4, v5, 0x7fff
                                        ; implicit-def: $vgpr4
; %bb.186:                              ;   in Loop: Header=BB8_135 Depth=3
	s_and_not1_saveexec_b32 s75, s75
; %bb.187:                              ;   in Loop: Header=BB8_135 Depth=3
	v_and_b32_e32 v5, 0xffff, v4
	v_or_b32_e32 v28, 0x10000, v4
	s_delay_alu instid0(VALU_DEP_2) | instskip(NEXT) | instid1(VALU_DEP_2)
	v_cmp_eq_u32_e32 vcc_lo, 0, v5
	v_cndmask_b32_e32 v28, v28, v4, vcc_lo
; %bb.188:                              ;   in Loop: Header=BB8_135 Depth=3
	s_or_b32 exec_lo, exec_lo, s75
	v_and_b32_e32 v4, 0xffff0000, v18
	s_mov_b32 s75, exec_lo
                                        ; implicit-def: $vgpr18
	s_delay_alu instid0(VALU_DEP_1) | instskip(NEXT) | instid1(VALU_DEP_1)
	v_mul_f32_e32 v4, v104, v4
	v_and_b32_e32 v5, 0x7f800000, v4
	s_delay_alu instid0(VALU_DEP_1)
	v_cmpx_ne_u32_e32 0x7f800000, v5
	s_xor_b32 s75, exec_lo, s75
; %bb.189:                              ;   in Loop: Header=BB8_135 Depth=3
	v_bfe_u32 v5, v4, 16, 1
	s_delay_alu instid0(VALU_DEP_1)
	v_add3_u32 v18, v4, v5, 0x7fff
                                        ; implicit-def: $vgpr4
; %bb.190:                              ;   in Loop: Header=BB8_135 Depth=3
	s_and_not1_saveexec_b32 s75, s75
; %bb.191:                              ;   in Loop: Header=BB8_135 Depth=3
	v_and_b32_e32 v5, 0xffff, v4
	v_or_b32_e32 v18, 0x10000, v4
	s_delay_alu instid0(VALU_DEP_2) | instskip(NEXT) | instid1(VALU_DEP_2)
	v_cmp_eq_u32_e32 vcc_lo, 0, v5
	v_cndmask_b32_e32 v18, v18, v4, vcc_lo
; %bb.192:                              ;   in Loop: Header=BB8_135 Depth=3
	s_or_b32 exec_lo, exec_lo, s75
	v_lshlrev_b32_e32 v4, 16, v19
	s_mov_b32 s75, exec_lo
                                        ; implicit-def: $vgpr29
	s_delay_alu instid0(VALU_DEP_1) | instskip(NEXT) | instid1(VALU_DEP_1)
	v_mul_f32_e32 v4, v104, v4
	v_and_b32_e32 v5, 0x7f800000, v4
	s_delay_alu instid0(VALU_DEP_1)
	v_cmpx_ne_u32_e32 0x7f800000, v5
	s_xor_b32 s75, exec_lo, s75
; %bb.193:                              ;   in Loop: Header=BB8_135 Depth=3
	v_bfe_u32 v5, v4, 16, 1
	s_delay_alu instid0(VALU_DEP_1)
	v_add3_u32 v29, v4, v5, 0x7fff
                                        ; implicit-def: $vgpr4
; %bb.194:                              ;   in Loop: Header=BB8_135 Depth=3
	s_and_not1_saveexec_b32 s75, s75
; %bb.195:                              ;   in Loop: Header=BB8_135 Depth=3
	v_and_b32_e32 v5, 0xffff, v4
	v_or_b32_e32 v29, 0x10000, v4
	s_delay_alu instid0(VALU_DEP_2) | instskip(NEXT) | instid1(VALU_DEP_2)
	v_cmp_eq_u32_e32 vcc_lo, 0, v5
	v_cndmask_b32_e32 v29, v29, v4, vcc_lo
; %bb.196:                              ;   in Loop: Header=BB8_135 Depth=3
	s_or_b32 exec_lo, exec_lo, s75
	v_and_b32_e32 v4, 0xffff0000, v19
	s_mov_b32 s75, exec_lo
                                        ; implicit-def: $vgpr19
	s_delay_alu instid0(VALU_DEP_1) | instskip(NEXT) | instid1(VALU_DEP_1)
	v_mul_f32_e32 v4, v104, v4
	v_and_b32_e32 v5, 0x7f800000, v4
	s_delay_alu instid0(VALU_DEP_1)
	v_cmpx_ne_u32_e32 0x7f800000, v5
	s_xor_b32 s75, exec_lo, s75
; %bb.197:                              ;   in Loop: Header=BB8_135 Depth=3
	v_bfe_u32 v5, v4, 16, 1
	s_delay_alu instid0(VALU_DEP_1)
	v_add3_u32 v19, v4, v5, 0x7fff
                                        ; implicit-def: $vgpr4
; %bb.198:                              ;   in Loop: Header=BB8_135 Depth=3
	s_and_not1_saveexec_b32 s75, s75
; %bb.199:                              ;   in Loop: Header=BB8_135 Depth=3
	v_and_b32_e32 v5, 0xffff, v4
	v_or_b32_e32 v19, 0x10000, v4
	s_delay_alu instid0(VALU_DEP_2) | instskip(NEXT) | instid1(VALU_DEP_2)
	v_cmp_eq_u32_e32 vcc_lo, 0, v5
	v_cndmask_b32_e32 v19, v19, v4, vcc_lo
; %bb.200:                              ;   in Loop: Header=BB8_135 Depth=3
	s_or_b32 exec_lo, exec_lo, s75
	v_lshlrev_b32_e32 v4, 16, v12
	s_mov_b32 s75, exec_lo
                                        ; implicit-def: $vgpr54
	s_delay_alu instid0(VALU_DEP_1) | instskip(NEXT) | instid1(VALU_DEP_1)
	v_mul_f32_e32 v4, v104, v4
	v_and_b32_e32 v5, 0x7f800000, v4
	s_delay_alu instid0(VALU_DEP_1)
	v_cmpx_ne_u32_e32 0x7f800000, v5
	s_xor_b32 s75, exec_lo, s75
; %bb.201:                              ;   in Loop: Header=BB8_135 Depth=3
	v_bfe_u32 v5, v4, 16, 1
	s_delay_alu instid0(VALU_DEP_1)
	v_add3_u32 v54, v4, v5, 0x7fff
                                        ; implicit-def: $vgpr4
; %bb.202:                              ;   in Loop: Header=BB8_135 Depth=3
	s_and_not1_saveexec_b32 s75, s75
; %bb.203:                              ;   in Loop: Header=BB8_135 Depth=3
	v_and_b32_e32 v5, 0xffff, v4
	v_or_b32_e32 v54, 0x10000, v4
	s_delay_alu instid0(VALU_DEP_2) | instskip(NEXT) | instid1(VALU_DEP_2)
	v_cmp_eq_u32_e32 vcc_lo, 0, v5
	v_cndmask_b32_e32 v54, v54, v4, vcc_lo
; %bb.204:                              ;   in Loop: Header=BB8_135 Depth=3
	s_or_b32 exec_lo, exec_lo, s75
	v_and_b32_e32 v4, 0xffff0000, v12
	s_delay_alu instid0(VALU_DEP_1) | instskip(NEXT) | instid1(VALU_DEP_1)
	v_mul_f32_e32 v5, v104, v4
	v_and_b32_e32 v4, 0x7f800000, v5
	s_delay_alu instid0(VALU_DEP_1) | instskip(SKIP_1) | instid1(SALU_CYCLE_1)
	v_cmp_ne_u32_e32 vcc_lo, 0x7f800000, v4
                                        ; implicit-def: $vgpr4
	s_and_saveexec_b32 s75, vcc_lo
	s_xor_b32 s75, exec_lo, s75
; %bb.205:                              ;   in Loop: Header=BB8_135 Depth=3
	v_bfe_u32 v4, v5, 16, 1
	s_delay_alu instid0(VALU_DEP_1)
	v_add3_u32 v4, v5, v4, 0x7fff
                                        ; implicit-def: $vgpr5
; %bb.206:                              ;   in Loop: Header=BB8_135 Depth=3
	s_and_not1_saveexec_b32 s75, s75
; %bb.207:                              ;   in Loop: Header=BB8_135 Depth=3
	v_and_b32_e32 v4, 0xffff, v5
	v_or_b32_e32 v12, 0x10000, v5
	s_delay_alu instid0(VALU_DEP_2) | instskip(NEXT) | instid1(VALU_DEP_2)
	v_cmp_eq_u32_e32 vcc_lo, 0, v4
	v_cndmask_b32_e32 v4, v12, v5, vcc_lo
; %bb.208:                              ;   in Loop: Header=BB8_135 Depth=3
	s_or_b32 exec_lo, exec_lo, s75
	v_lshlrev_b32_e32 v5, 16, v13
	s_delay_alu instid0(VALU_DEP_1) | instskip(NEXT) | instid1(VALU_DEP_1)
	v_mul_f32_e32 v12, v104, v5
	v_and_b32_e32 v5, 0x7f800000, v12
	s_delay_alu instid0(VALU_DEP_1) | instskip(SKIP_1) | instid1(SALU_CYCLE_1)
	v_cmp_ne_u32_e32 vcc_lo, 0x7f800000, v5
                                        ; implicit-def: $vgpr5
	s_and_saveexec_b32 s75, vcc_lo
	s_xor_b32 s75, exec_lo, s75
; %bb.209:                              ;   in Loop: Header=BB8_135 Depth=3
	v_bfe_u32 v5, v12, 16, 1
	s_delay_alu instid0(VALU_DEP_1)
	v_add3_u32 v5, v12, v5, 0x7fff
                                        ; implicit-def: $vgpr12
; %bb.210:                              ;   in Loop: Header=BB8_135 Depth=3
	s_and_not1_saveexec_b32 s75, s75
; %bb.211:                              ;   in Loop: Header=BB8_135 Depth=3
	v_and_b32_e32 v5, 0xffff, v12
	v_or_b32_e32 v55, 0x10000, v12
	s_delay_alu instid0(VALU_DEP_2) | instskip(NEXT) | instid1(VALU_DEP_2)
	v_cmp_eq_u32_e32 vcc_lo, 0, v5
	v_cndmask_b32_e32 v5, v55, v12, vcc_lo
; %bb.212:                              ;   in Loop: Header=BB8_135 Depth=3
	s_or_b32 exec_lo, exec_lo, s75
	v_and_b32_e32 v12, 0xffff0000, v13
	s_delay_alu instid0(VALU_DEP_1) | instskip(NEXT) | instid1(VALU_DEP_1)
	v_mul_f32_e32 v13, v104, v12
	v_and_b32_e32 v12, 0x7f800000, v13
	s_delay_alu instid0(VALU_DEP_1) | instskip(SKIP_1) | instid1(SALU_CYCLE_1)
	v_cmp_ne_u32_e32 vcc_lo, 0x7f800000, v12
                                        ; implicit-def: $vgpr12
	s_and_saveexec_b32 s75, vcc_lo
	s_xor_b32 s75, exec_lo, s75
; %bb.213:                              ;   in Loop: Header=BB8_135 Depth=3
	v_bfe_u32 v12, v13, 16, 1
	s_delay_alu instid0(VALU_DEP_1)
	v_add3_u32 v12, v13, v12, 0x7fff
                                        ; implicit-def: $vgpr13
; %bb.214:                              ;   in Loop: Header=BB8_135 Depth=3
	s_and_not1_saveexec_b32 s75, s75
; %bb.215:                              ;   in Loop: Header=BB8_135 Depth=3
	v_and_b32_e32 v12, 0xffff, v13
	v_or_b32_e32 v55, 0x10000, v13
	s_delay_alu instid0(VALU_DEP_2) | instskip(NEXT) | instid1(VALU_DEP_2)
	v_cmp_eq_u32_e32 vcc_lo, 0, v12
	v_cndmask_b32_e32 v12, v55, v13, vcc_lo
; %bb.216:                              ;   in Loop: Header=BB8_135 Depth=3
	s_or_b32 exec_lo, exec_lo, s75
	v_lshlrev_b32_e32 v13, 16, v14
	s_delay_alu instid0(VALU_DEP_1) | instskip(NEXT) | instid1(VALU_DEP_1)
	v_mul_f32_e32 v55, v104, v13
	v_and_b32_e32 v13, 0x7f800000, v55
	s_delay_alu instid0(VALU_DEP_1) | instskip(SKIP_1) | instid1(SALU_CYCLE_1)
	v_cmp_ne_u32_e32 vcc_lo, 0x7f800000, v13
                                        ; implicit-def: $vgpr13
	s_and_saveexec_b32 s75, vcc_lo
	s_xor_b32 s75, exec_lo, s75
; %bb.217:                              ;   in Loop: Header=BB8_135 Depth=3
	v_bfe_u32 v13, v55, 16, 1
	s_delay_alu instid0(VALU_DEP_1)
	v_add3_u32 v13, v55, v13, 0x7fff
                                        ; implicit-def: $vgpr55
; %bb.218:                              ;   in Loop: Header=BB8_135 Depth=3
	s_and_not1_saveexec_b32 s75, s75
; %bb.219:                              ;   in Loop: Header=BB8_135 Depth=3
	v_and_b32_e32 v13, 0xffff, v55
	v_or_b32_e32 v96, 0x10000, v55
	s_delay_alu instid0(VALU_DEP_2) | instskip(NEXT) | instid1(VALU_DEP_2)
	v_cmp_eq_u32_e32 vcc_lo, 0, v13
	v_cndmask_b32_e32 v13, v96, v55, vcc_lo
; %bb.220:                              ;   in Loop: Header=BB8_135 Depth=3
	s_or_b32 exec_lo, exec_lo, s75
	v_and_b32_e32 v14, 0xffff0000, v14
	s_delay_alu instid0(VALU_DEP_1) | instskip(NEXT) | instid1(VALU_DEP_1)
	v_mul_f32_e32 v55, v104, v14
	v_and_b32_e32 v14, 0x7f800000, v55
	s_delay_alu instid0(VALU_DEP_1) | instskip(SKIP_1) | instid1(SALU_CYCLE_1)
	v_cmp_ne_u32_e32 vcc_lo, 0x7f800000, v14
                                        ; implicit-def: $vgpr14
	s_and_saveexec_b32 s75, vcc_lo
	s_xor_b32 s75, exec_lo, s75
; %bb.221:                              ;   in Loop: Header=BB8_135 Depth=3
	v_bfe_u32 v14, v55, 16, 1
	s_delay_alu instid0(VALU_DEP_1)
	v_add3_u32 v14, v55, v14, 0x7fff
                                        ; implicit-def: $vgpr55
; %bb.222:                              ;   in Loop: Header=BB8_135 Depth=3
	s_and_not1_saveexec_b32 s75, s75
; %bb.223:                              ;   in Loop: Header=BB8_135 Depth=3
	v_and_b32_e32 v14, 0xffff, v55
	v_or_b32_e32 v96, 0x10000, v55
	s_delay_alu instid0(VALU_DEP_2) | instskip(NEXT) | instid1(VALU_DEP_2)
	v_cmp_eq_u32_e32 vcc_lo, 0, v14
	v_cndmask_b32_e32 v14, v96, v55, vcc_lo
; %bb.224:                              ;   in Loop: Header=BB8_135 Depth=3
	s_or_b32 exec_lo, exec_lo, s75
	v_lshlrev_b32_e32 v55, 16, v15
	s_delay_alu instid0(VALU_DEP_1) | instskip(NEXT) | instid1(VALU_DEP_1)
	v_mul_f32_e32 v96, v104, v55
	v_and_b32_e32 v55, 0x7f800000, v96
	s_delay_alu instid0(VALU_DEP_1) | instskip(SKIP_1) | instid1(SALU_CYCLE_1)
	v_cmp_ne_u32_e32 vcc_lo, 0x7f800000, v55
                                        ; implicit-def: $vgpr55
	s_and_saveexec_b32 s75, vcc_lo
	s_xor_b32 s75, exec_lo, s75
; %bb.225:                              ;   in Loop: Header=BB8_135 Depth=3
	v_bfe_u32 v55, v96, 16, 1
	s_delay_alu instid0(VALU_DEP_1)
	v_add3_u32 v55, v96, v55, 0x7fff
                                        ; implicit-def: $vgpr96
; %bb.226:                              ;   in Loop: Header=BB8_135 Depth=3
	s_and_not1_saveexec_b32 s75, s75
; %bb.227:                              ;   in Loop: Header=BB8_135 Depth=3
	v_and_b32_e32 v55, 0xffff, v96
	v_or_b32_e32 v97, 0x10000, v96
	s_delay_alu instid0(VALU_DEP_2) | instskip(NEXT) | instid1(VALU_DEP_2)
	v_cmp_eq_u32_e32 vcc_lo, 0, v55
	v_cndmask_b32_e32 v55, v97, v96, vcc_lo
; %bb.228:                              ;   in Loop: Header=BB8_135 Depth=3
	s_or_b32 exec_lo, exec_lo, s75
	v_and_b32_e32 v15, 0xffff0000, v15
	s_delay_alu instid0(VALU_DEP_1) | instskip(NEXT) | instid1(VALU_DEP_1)
	v_mul_f32_e32 v96, v104, v15
	v_and_b32_e32 v15, 0x7f800000, v96
	s_delay_alu instid0(VALU_DEP_1) | instskip(SKIP_1) | instid1(SALU_CYCLE_1)
	v_cmp_ne_u32_e32 vcc_lo, 0x7f800000, v15
                                        ; implicit-def: $vgpr15
	s_and_saveexec_b32 s75, vcc_lo
	s_xor_b32 s75, exec_lo, s75
; %bb.229:                              ;   in Loop: Header=BB8_135 Depth=3
	v_bfe_u32 v15, v96, 16, 1
	s_delay_alu instid0(VALU_DEP_1)
	v_add3_u32 v15, v96, v15, 0x7fff
                                        ; implicit-def: $vgpr96
; %bb.230:                              ;   in Loop: Header=BB8_135 Depth=3
	s_and_not1_saveexec_b32 s75, s75
; %bb.231:                              ;   in Loop: Header=BB8_135 Depth=3
	v_and_b32_e32 v15, 0xffff, v96
	v_or_b32_e32 v97, 0x10000, v96
	s_delay_alu instid0(VALU_DEP_2) | instskip(NEXT) | instid1(VALU_DEP_2)
	v_cmp_eq_u32_e32 vcc_lo, 0, v15
	v_cndmask_b32_e32 v15, v97, v96, vcc_lo
; %bb.232:                              ;   in Loop: Header=BB8_135 Depth=3
	s_or_b32 exec_lo, exec_lo, s75
	v_lshlrev_b32_e32 v96, 16, v8
	s_mov_b32 s75, exec_lo
                                        ; implicit-def: $vgpr98
	s_delay_alu instid0(VALU_DEP_1) | instskip(NEXT) | instid1(VALU_DEP_1)
	v_mul_f32_e32 v96, v104, v96
	v_and_b32_e32 v97, 0x7f800000, v96
	s_delay_alu instid0(VALU_DEP_1)
	v_cmpx_ne_u32_e32 0x7f800000, v97
	s_xor_b32 s75, exec_lo, s75
; %bb.233:                              ;   in Loop: Header=BB8_135 Depth=3
	v_bfe_u32 v97, v96, 16, 1
	s_delay_alu instid0(VALU_DEP_1)
	v_add3_u32 v98, v96, v97, 0x7fff
                                        ; implicit-def: $vgpr96
; %bb.234:                              ;   in Loop: Header=BB8_135 Depth=3
	s_and_not1_saveexec_b32 s75, s75
; %bb.235:                              ;   in Loop: Header=BB8_135 Depth=3
	v_and_b32_e32 v97, 0xffff, v96
	v_or_b32_e32 v98, 0x10000, v96
	s_delay_alu instid0(VALU_DEP_2) | instskip(NEXT) | instid1(VALU_DEP_2)
	v_cmp_eq_u32_e32 vcc_lo, 0, v97
	v_cndmask_b32_e32 v98, v98, v96, vcc_lo
; %bb.236:                              ;   in Loop: Header=BB8_135 Depth=3
	s_or_b32 exec_lo, exec_lo, s75
	v_and_b32_e32 v8, 0xffff0000, v8
	s_delay_alu instid0(VALU_DEP_1) | instskip(NEXT) | instid1(VALU_DEP_1)
	v_mul_f32_e32 v96, v104, v8
	v_and_b32_e32 v8, 0x7f800000, v96
	s_delay_alu instid0(VALU_DEP_1) | instskip(SKIP_1) | instid1(SALU_CYCLE_1)
	v_cmp_ne_u32_e32 vcc_lo, 0x7f800000, v8
                                        ; implicit-def: $vgpr8
	s_and_saveexec_b32 s75, vcc_lo
	s_xor_b32 s75, exec_lo, s75
; %bb.237:                              ;   in Loop: Header=BB8_135 Depth=3
	v_bfe_u32 v8, v96, 16, 1
	s_delay_alu instid0(VALU_DEP_1)
	v_add3_u32 v8, v96, v8, 0x7fff
                                        ; implicit-def: $vgpr96
; %bb.238:                              ;   in Loop: Header=BB8_135 Depth=3
	s_and_not1_saveexec_b32 s75, s75
; %bb.239:                              ;   in Loop: Header=BB8_135 Depth=3
	v_and_b32_e32 v8, 0xffff, v96
	v_or_b32_e32 v97, 0x10000, v96
	s_delay_alu instid0(VALU_DEP_2) | instskip(NEXT) | instid1(VALU_DEP_2)
	v_cmp_eq_u32_e32 vcc_lo, 0, v8
	v_cndmask_b32_e32 v8, v97, v96, vcc_lo
; %bb.240:                              ;   in Loop: Header=BB8_135 Depth=3
	s_or_b32 exec_lo, exec_lo, s75
	v_lshlrev_b32_e32 v96, 16, v9
	s_mov_b32 s75, exec_lo
                                        ; implicit-def: $vgpr99
	s_delay_alu instid0(VALU_DEP_1) | instskip(NEXT) | instid1(VALU_DEP_1)
	v_mul_f32_e32 v96, v104, v96
	v_and_b32_e32 v97, 0x7f800000, v96
	s_delay_alu instid0(VALU_DEP_1)
	v_cmpx_ne_u32_e32 0x7f800000, v97
	s_xor_b32 s75, exec_lo, s75
; %bb.241:                              ;   in Loop: Header=BB8_135 Depth=3
	v_bfe_u32 v97, v96, 16, 1
	s_delay_alu instid0(VALU_DEP_1)
	v_add3_u32 v99, v96, v97, 0x7fff
                                        ; implicit-def: $vgpr96
; %bb.242:                              ;   in Loop: Header=BB8_135 Depth=3
	s_and_not1_saveexec_b32 s75, s75
; %bb.243:                              ;   in Loop: Header=BB8_135 Depth=3
	v_and_b32_e32 v97, 0xffff, v96
	v_or_b32_e32 v99, 0x10000, v96
	s_delay_alu instid0(VALU_DEP_2) | instskip(NEXT) | instid1(VALU_DEP_2)
	v_cmp_eq_u32_e32 vcc_lo, 0, v97
	v_cndmask_b32_e32 v99, v99, v96, vcc_lo
; %bb.244:                              ;   in Loop: Header=BB8_135 Depth=3
	s_or_b32 exec_lo, exec_lo, s75
	v_and_b32_e32 v9, 0xffff0000, v9
	s_delay_alu instid0(VALU_DEP_1) | instskip(NEXT) | instid1(VALU_DEP_1)
	v_mul_f32_e32 v96, v104, v9
	v_and_b32_e32 v9, 0x7f800000, v96
	s_delay_alu instid0(VALU_DEP_1) | instskip(SKIP_1) | instid1(SALU_CYCLE_1)
	v_cmp_ne_u32_e32 vcc_lo, 0x7f800000, v9
                                        ; implicit-def: $vgpr9
	s_and_saveexec_b32 s75, vcc_lo
	s_xor_b32 s75, exec_lo, s75
; %bb.245:                              ;   in Loop: Header=BB8_135 Depth=3
	v_bfe_u32 v9, v96, 16, 1
	s_delay_alu instid0(VALU_DEP_1)
	v_add3_u32 v9, v96, v9, 0x7fff
                                        ; implicit-def: $vgpr96
; %bb.246:                              ;   in Loop: Header=BB8_135 Depth=3
	s_and_not1_saveexec_b32 s75, s75
; %bb.247:                              ;   in Loop: Header=BB8_135 Depth=3
	v_and_b32_e32 v9, 0xffff, v96
	v_or_b32_e32 v97, 0x10000, v96
	s_delay_alu instid0(VALU_DEP_2) | instskip(NEXT) | instid1(VALU_DEP_2)
	v_cmp_eq_u32_e32 vcc_lo, 0, v9
	v_cndmask_b32_e32 v9, v97, v96, vcc_lo
; %bb.248:                              ;   in Loop: Header=BB8_135 Depth=3
	s_or_b32 exec_lo, exec_lo, s75
	v_lshlrev_b32_e32 v96, 16, v10
	s_mov_b32 s75, exec_lo
                                        ; implicit-def: $vgpr108
	s_delay_alu instid0(VALU_DEP_1) | instskip(NEXT) | instid1(VALU_DEP_1)
	v_mul_f32_e32 v96, v104, v96
	v_and_b32_e32 v97, 0x7f800000, v96
	s_delay_alu instid0(VALU_DEP_1)
	v_cmpx_ne_u32_e32 0x7f800000, v97
	s_xor_b32 s75, exec_lo, s75
; %bb.249:                              ;   in Loop: Header=BB8_135 Depth=3
	v_bfe_u32 v97, v96, 16, 1
	s_delay_alu instid0(VALU_DEP_1)
	v_add3_u32 v108, v96, v97, 0x7fff
                                        ; implicit-def: $vgpr96
; %bb.250:                              ;   in Loop: Header=BB8_135 Depth=3
	s_and_not1_saveexec_b32 s75, s75
; %bb.251:                              ;   in Loop: Header=BB8_135 Depth=3
	v_and_b32_e32 v97, 0xffff, v96
	v_or_b32_e32 v108, 0x10000, v96
	s_delay_alu instid0(VALU_DEP_2) | instskip(NEXT) | instid1(VALU_DEP_2)
	v_cmp_eq_u32_e32 vcc_lo, 0, v97
	v_cndmask_b32_e32 v108, v108, v96, vcc_lo
; %bb.252:                              ;   in Loop: Header=BB8_135 Depth=3
	s_or_b32 exec_lo, exec_lo, s75
	v_and_b32_e32 v10, 0xffff0000, v10
	s_delay_alu instid0(VALU_DEP_1) | instskip(NEXT) | instid1(VALU_DEP_1)
	v_mul_f32_e32 v96, v104, v10
	v_and_b32_e32 v10, 0x7f800000, v96
	s_delay_alu instid0(VALU_DEP_1) | instskip(SKIP_1) | instid1(SALU_CYCLE_1)
	v_cmp_ne_u32_e32 vcc_lo, 0x7f800000, v10
                                        ; implicit-def: $vgpr10
	s_and_saveexec_b32 s75, vcc_lo
	s_xor_b32 s75, exec_lo, s75
; %bb.253:                              ;   in Loop: Header=BB8_135 Depth=3
	v_bfe_u32 v10, v96, 16, 1
	s_delay_alu instid0(VALU_DEP_1)
	v_add3_u32 v10, v96, v10, 0x7fff
                                        ; implicit-def: $vgpr96
; %bb.254:                              ;   in Loop: Header=BB8_135 Depth=3
	s_and_not1_saveexec_b32 s75, s75
; %bb.255:                              ;   in Loop: Header=BB8_135 Depth=3
	v_and_b32_e32 v10, 0xffff, v96
	v_or_b32_e32 v97, 0x10000, v96
	s_delay_alu instid0(VALU_DEP_2) | instskip(NEXT) | instid1(VALU_DEP_2)
	v_cmp_eq_u32_e32 vcc_lo, 0, v10
	v_cndmask_b32_e32 v10, v97, v96, vcc_lo
; %bb.256:                              ;   in Loop: Header=BB8_135 Depth=3
	s_or_b32 exec_lo, exec_lo, s75
	v_lshlrev_b32_e32 v96, 16, v11
	s_mov_b32 s75, exec_lo
                                        ; implicit-def: $vgpr125
	s_delay_alu instid0(VALU_DEP_1) | instskip(NEXT) | instid1(VALU_DEP_1)
	v_mul_f32_e32 v96, v104, v96
	v_and_b32_e32 v97, 0x7f800000, v96
	s_delay_alu instid0(VALU_DEP_1)
	v_cmpx_ne_u32_e32 0x7f800000, v97
	s_xor_b32 s75, exec_lo, s75
; %bb.257:                              ;   in Loop: Header=BB8_135 Depth=3
	v_bfe_u32 v97, v96, 16, 1
	s_delay_alu instid0(VALU_DEP_1)
	v_add3_u32 v125, v96, v97, 0x7fff
                                        ; implicit-def: $vgpr96
; %bb.258:                              ;   in Loop: Header=BB8_135 Depth=3
	s_and_not1_saveexec_b32 s75, s75
; %bb.259:                              ;   in Loop: Header=BB8_135 Depth=3
	v_and_b32_e32 v97, 0xffff, v96
	v_or_b32_e32 v125, 0x10000, v96
	s_delay_alu instid0(VALU_DEP_2) | instskip(NEXT) | instid1(VALU_DEP_2)
	v_cmp_eq_u32_e32 vcc_lo, 0, v97
	v_cndmask_b32_e32 v125, v125, v96, vcc_lo
; %bb.260:                              ;   in Loop: Header=BB8_135 Depth=3
	s_or_b32 exec_lo, exec_lo, s75
	v_and_b32_e32 v11, 0xffff0000, v11
	s_delay_alu instid0(VALU_DEP_1) | instskip(NEXT) | instid1(VALU_DEP_1)
	v_mul_f32_e32 v96, v104, v11
	v_and_b32_e32 v11, 0x7f800000, v96
	s_delay_alu instid0(VALU_DEP_1) | instskip(SKIP_1) | instid1(SALU_CYCLE_1)
	v_cmp_ne_u32_e32 vcc_lo, 0x7f800000, v11
                                        ; implicit-def: $vgpr11
	s_and_saveexec_b32 s75, vcc_lo
	s_xor_b32 s75, exec_lo, s75
; %bb.261:                              ;   in Loop: Header=BB8_135 Depth=3
	v_bfe_u32 v11, v96, 16, 1
	s_delay_alu instid0(VALU_DEP_1)
	v_add3_u32 v11, v96, v11, 0x7fff
                                        ; implicit-def: $vgpr96
; %bb.262:                              ;   in Loop: Header=BB8_135 Depth=3
	s_and_not1_saveexec_b32 s75, s75
; %bb.263:                              ;   in Loop: Header=BB8_135 Depth=3
	v_and_b32_e32 v11, 0xffff, v96
	v_or_b32_e32 v97, 0x10000, v96
	s_delay_alu instid0(VALU_DEP_2) | instskip(NEXT) | instid1(VALU_DEP_2)
	v_cmp_eq_u32_e32 vcc_lo, 0, v11
	v_cndmask_b32_e32 v11, v97, v96, vcc_lo
; %bb.264:                              ;   in Loop: Header=BB8_135 Depth=3
	s_or_b32 exec_lo, exec_lo, s75
	v_dual_lshrrev_b32 v5, 16, v5 :: v_dual_lshrrev_b32 v54, 16, v54
	v_dual_lshrrev_b32 v96, 16, v13 :: v_dual_lshrrev_b32 v55, 16, v55
	v_lshrrev_b32_e32 v53, 16, v53
	s_delay_alu instid0(VALU_DEP_3) | instskip(SKIP_4) | instid1(VALU_DEP_4)
	v_and_or_b32 v13, 0xffff0000, v12, v5
	v_lshrrev_b32_e32 v5, 16, v52
	v_and_or_b32 v12, 0xffff0000, v4, v54
	v_dual_lshrrev_b32 v4, 16, v28 :: v_dual_lshrrev_b32 v28, 16, v106
	v_lshrrev_b32_e32 v52, 16, v107
	v_and_or_b32 v16, 0xffff0000, v16, v5
	v_lshrrev_b32_e32 v5, 16, v29
	v_lshrrev_b32_e32 v29, 16, v105
	v_and_or_b32 v18, 0xffff0000, v18, v4
	v_lshrrev_b32_e32 v4, 16, v124
	v_and_or_b32 v33, 0xffff0000, v33, v28
	v_and_or_b32 v19, 0xffff0000, v19, v5
	;; [unrolled: 1-line block ×4, first 2 shown]
	v_dual_lshrrev_b32 v5, 16, v99 :: v_dual_lshrrev_b32 v28, 16, v98
	v_dual_lshrrev_b32 v29, 16, v108 :: v_dual_lshrrev_b32 v52, 16, v125
	v_and_or_b32 v35, 0xffff0000, v35, v4
	v_and_or_b32 v17, 0xffff0000, v17, v53
	;; [unrolled: 1-line block ×8, first 2 shown]
	s_clause 0x3
	global_store_b128 v[90:91], v[32:35], off th:TH_STORE_NT
	global_store_b128 v[90:91], v[16:19], off offset:512 th:TH_STORE_NT
	global_store_b128 v[90:91], v[12:15], off offset:1024 th:TH_STORE_NT
	;; [unrolled: 1-line block ×3, first 2 shown]
	s_wait_xcnt 0x0
	v_add_nc_u64_e32 v[90:91], v[90:91], v[40:41]
.LBB8_265:                              ;   in Loop: Header=BB8_135 Depth=3
	s_or_b32 exec_lo, exec_lo, s76
	v_sub_nc_u32_e32 v95, v95, v84
	v_add_nc_u64_e32 v[92:93], v[92:93], v[40:41]
	s_delay_alu instid0(VALU_DEP_2)
	v_cmp_lt_i32_e64 s75, 0, v95
	s_and_saveexec_b32 s76, s75
	s_cbranch_execz .LBB8_267
; %bb.266:                              ;   in Loop: Header=BB8_135 Depth=3
	s_clause 0x3
	global_load_b128 v[32:35], v[92:93], off th:TH_LOAD_NT
	global_load_b128 v[16:19], v[92:93], off offset:512 th:TH_LOAD_NT
	global_load_b128 v[12:15], v[92:93], off offset:1024 th:TH_LOAD_NT
	;; [unrolled: 1-line block ×3, first 2 shown]
	s_wait_xcnt 0x0
	v_add_nc_u64_e32 v[92:93], 0x800, v[92:93]
.LBB8_267:                              ;   in Loop: Header=BB8_135 Depth=3
	s_or_b32 exec_lo, exec_lo, s76
	s_wait_loadcnt 0x3
	v_lshlrev_b32_e32 v4, 16, v48
	s_mov_b32 s76, exec_lo
                                        ; implicit-def: $vgpr105
	s_delay_alu instid0(VALU_DEP_1) | instskip(NEXT) | instid1(VALU_DEP_1)
	v_mul_f32_e32 v4, v104, v4
	v_and_b32_e32 v5, 0x7f800000, v4
	s_delay_alu instid0(VALU_DEP_1)
	v_cmpx_ne_u32_e32 0x7f800000, v5
	s_xor_b32 s76, exec_lo, s76
; %bb.268:                              ;   in Loop: Header=BB8_135 Depth=3
	v_bfe_u32 v5, v4, 16, 1
	s_delay_alu instid0(VALU_DEP_1)
	v_add3_u32 v105, v4, v5, 0x7fff
                                        ; implicit-def: $vgpr4
; %bb.269:                              ;   in Loop: Header=BB8_135 Depth=3
	s_and_not1_saveexec_b32 s76, s76
; %bb.270:                              ;   in Loop: Header=BB8_135 Depth=3
	v_and_b32_e32 v5, 0xffff, v4
	v_or_b32_e32 v28, 0x10000, v4
	s_delay_alu instid0(VALU_DEP_2) | instskip(NEXT) | instid1(VALU_DEP_2)
	v_cmp_eq_u32_e32 vcc_lo, 0, v5
	v_cndmask_b32_e32 v105, v28, v4, vcc_lo
; %bb.271:                              ;   in Loop: Header=BB8_135 Depth=3
	s_or_b32 exec_lo, exec_lo, s76
	v_and_b32_e32 v4, 0xffff0000, v48
	s_mov_b32 s76, exec_lo
                                        ; implicit-def: $vgpr48
	s_delay_alu instid0(VALU_DEP_1) | instskip(NEXT) | instid1(VALU_DEP_1)
	v_mul_f32_e32 v4, v104, v4
	v_and_b32_e32 v5, 0x7f800000, v4
	s_delay_alu instid0(VALU_DEP_1)
	v_cmpx_ne_u32_e32 0x7f800000, v5
	s_xor_b32 s76, exec_lo, s76
; %bb.272:                              ;   in Loop: Header=BB8_135 Depth=3
	v_bfe_u32 v5, v4, 16, 1
	s_delay_alu instid0(VALU_DEP_1)
	v_add3_u32 v48, v4, v5, 0x7fff
                                        ; implicit-def: $vgpr4
; %bb.273:                              ;   in Loop: Header=BB8_135 Depth=3
	s_and_not1_saveexec_b32 s76, s76
; %bb.274:                              ;   in Loop: Header=BB8_135 Depth=3
	v_and_b32_e32 v5, 0xffff, v4
	v_or_b32_e32 v28, 0x10000, v4
	s_delay_alu instid0(VALU_DEP_2) | instskip(NEXT) | instid1(VALU_DEP_2)
	v_cmp_eq_u32_e32 vcc_lo, 0, v5
	v_cndmask_b32_e32 v48, v28, v4, vcc_lo
; %bb.275:                              ;   in Loop: Header=BB8_135 Depth=3
	s_or_b32 exec_lo, exec_lo, s76
	v_lshlrev_b32_e32 v4, 16, v49
	s_mov_b32 s76, exec_lo
                                        ; implicit-def: $vgpr106
	s_delay_alu instid0(VALU_DEP_1) | instskip(NEXT) | instid1(VALU_DEP_1)
	v_mul_f32_e32 v4, v104, v4
	v_and_b32_e32 v5, 0x7f800000, v4
	s_delay_alu instid0(VALU_DEP_1)
	v_cmpx_ne_u32_e32 0x7f800000, v5
	s_xor_b32 s76, exec_lo, s76
; %bb.276:                              ;   in Loop: Header=BB8_135 Depth=3
	v_bfe_u32 v5, v4, 16, 1
	s_delay_alu instid0(VALU_DEP_1)
	v_add3_u32 v106, v4, v5, 0x7fff
                                        ; implicit-def: $vgpr4
; %bb.277:                              ;   in Loop: Header=BB8_135 Depth=3
	s_and_not1_saveexec_b32 s76, s76
; %bb.278:                              ;   in Loop: Header=BB8_135 Depth=3
	v_and_b32_e32 v5, 0xffff, v4
	v_or_b32_e32 v28, 0x10000, v4
	s_delay_alu instid0(VALU_DEP_2) | instskip(NEXT) | instid1(VALU_DEP_2)
	v_cmp_eq_u32_e32 vcc_lo, 0, v5
	v_cndmask_b32_e32 v106, v28, v4, vcc_lo
; %bb.279:                              ;   in Loop: Header=BB8_135 Depth=3
	s_or_b32 exec_lo, exec_lo, s76
	v_and_b32_e32 v4, 0xffff0000, v49
	s_mov_b32 s76, exec_lo
                                        ; implicit-def: $vgpr49
	s_delay_alu instid0(VALU_DEP_1) | instskip(NEXT) | instid1(VALU_DEP_1)
	v_mul_f32_e32 v4, v104, v4
	v_and_b32_e32 v5, 0x7f800000, v4
	s_delay_alu instid0(VALU_DEP_1)
	v_cmpx_ne_u32_e32 0x7f800000, v5
	s_xor_b32 s76, exec_lo, s76
; %bb.280:                              ;   in Loop: Header=BB8_135 Depth=3
	v_bfe_u32 v5, v4, 16, 1
	s_delay_alu instid0(VALU_DEP_1)
	v_add3_u32 v49, v4, v5, 0x7fff
                                        ; implicit-def: $vgpr4
; %bb.281:                              ;   in Loop: Header=BB8_135 Depth=3
	s_and_not1_saveexec_b32 s76, s76
; %bb.282:                              ;   in Loop: Header=BB8_135 Depth=3
	v_and_b32_e32 v5, 0xffff, v4
	v_or_b32_e32 v28, 0x10000, v4
	s_delay_alu instid0(VALU_DEP_2) | instskip(NEXT) | instid1(VALU_DEP_2)
	v_cmp_eq_u32_e32 vcc_lo, 0, v5
	v_cndmask_b32_e32 v49, v28, v4, vcc_lo
; %bb.283:                              ;   in Loop: Header=BB8_135 Depth=3
	s_or_b32 exec_lo, exec_lo, s76
	v_lshlrev_b32_e32 v4, 16, v50
	s_mov_b32 s76, exec_lo
                                        ; implicit-def: $vgpr107
	s_delay_alu instid0(VALU_DEP_1) | instskip(NEXT) | instid1(VALU_DEP_1)
	v_mul_f32_e32 v4, v104, v4
	v_and_b32_e32 v5, 0x7f800000, v4
	s_delay_alu instid0(VALU_DEP_1)
	v_cmpx_ne_u32_e32 0x7f800000, v5
	s_xor_b32 s76, exec_lo, s76
; %bb.284:                              ;   in Loop: Header=BB8_135 Depth=3
	v_bfe_u32 v5, v4, 16, 1
	s_delay_alu instid0(VALU_DEP_1)
	v_add3_u32 v107, v4, v5, 0x7fff
                                        ; implicit-def: $vgpr4
; %bb.285:                              ;   in Loop: Header=BB8_135 Depth=3
	s_and_not1_saveexec_b32 s76, s76
; %bb.286:                              ;   in Loop: Header=BB8_135 Depth=3
	v_and_b32_e32 v5, 0xffff, v4
	v_or_b32_e32 v28, 0x10000, v4
	s_delay_alu instid0(VALU_DEP_2) | instskip(NEXT) | instid1(VALU_DEP_2)
	v_cmp_eq_u32_e32 vcc_lo, 0, v5
	v_cndmask_b32_e32 v107, v28, v4, vcc_lo
; %bb.287:                              ;   in Loop: Header=BB8_135 Depth=3
	s_or_b32 exec_lo, exec_lo, s76
	v_and_b32_e32 v4, 0xffff0000, v50
	s_mov_b32 s76, exec_lo
                                        ; implicit-def: $vgpr50
	s_delay_alu instid0(VALU_DEP_1) | instskip(NEXT) | instid1(VALU_DEP_1)
	v_mul_f32_e32 v4, v104, v4
	v_and_b32_e32 v5, 0x7f800000, v4
	s_delay_alu instid0(VALU_DEP_1)
	v_cmpx_ne_u32_e32 0x7f800000, v5
	s_xor_b32 s76, exec_lo, s76
; %bb.288:                              ;   in Loop: Header=BB8_135 Depth=3
	v_bfe_u32 v5, v4, 16, 1
	s_delay_alu instid0(VALU_DEP_1)
	v_add3_u32 v50, v4, v5, 0x7fff
                                        ; implicit-def: $vgpr4
; %bb.289:                              ;   in Loop: Header=BB8_135 Depth=3
	s_and_not1_saveexec_b32 s76, s76
; %bb.290:                              ;   in Loop: Header=BB8_135 Depth=3
	v_and_b32_e32 v5, 0xffff, v4
	v_or_b32_e32 v28, 0x10000, v4
	s_delay_alu instid0(VALU_DEP_2) | instskip(NEXT) | instid1(VALU_DEP_2)
	v_cmp_eq_u32_e32 vcc_lo, 0, v5
	v_cndmask_b32_e32 v50, v28, v4, vcc_lo
; %bb.291:                              ;   in Loop: Header=BB8_135 Depth=3
	s_or_b32 exec_lo, exec_lo, s76
	v_lshlrev_b32_e32 v4, 16, v51
	s_mov_b32 s76, exec_lo
                                        ; implicit-def: $vgpr124
	s_delay_alu instid0(VALU_DEP_1) | instskip(NEXT) | instid1(VALU_DEP_1)
	v_mul_f32_e32 v4, v104, v4
	v_and_b32_e32 v5, 0x7f800000, v4
	s_delay_alu instid0(VALU_DEP_1)
	v_cmpx_ne_u32_e32 0x7f800000, v5
	s_xor_b32 s76, exec_lo, s76
; %bb.292:                              ;   in Loop: Header=BB8_135 Depth=3
	v_bfe_u32 v5, v4, 16, 1
	s_delay_alu instid0(VALU_DEP_1)
	v_add3_u32 v124, v4, v5, 0x7fff
                                        ; implicit-def: $vgpr4
; %bb.293:                              ;   in Loop: Header=BB8_135 Depth=3
	s_and_not1_saveexec_b32 s76, s76
; %bb.294:                              ;   in Loop: Header=BB8_135 Depth=3
	v_and_b32_e32 v5, 0xffff, v4
	v_or_b32_e32 v28, 0x10000, v4
	s_delay_alu instid0(VALU_DEP_2) | instskip(NEXT) | instid1(VALU_DEP_2)
	v_cmp_eq_u32_e32 vcc_lo, 0, v5
	v_cndmask_b32_e32 v124, v28, v4, vcc_lo
; %bb.295:                              ;   in Loop: Header=BB8_135 Depth=3
	s_or_b32 exec_lo, exec_lo, s76
	v_and_b32_e32 v4, 0xffff0000, v51
	s_mov_b32 s76, exec_lo
                                        ; implicit-def: $vgpr51
	s_delay_alu instid0(VALU_DEP_1) | instskip(NEXT) | instid1(VALU_DEP_1)
	v_mul_f32_e32 v4, v104, v4
	v_and_b32_e32 v5, 0x7f800000, v4
	s_delay_alu instid0(VALU_DEP_1)
	v_cmpx_ne_u32_e32 0x7f800000, v5
	s_xor_b32 s76, exec_lo, s76
; %bb.296:                              ;   in Loop: Header=BB8_135 Depth=3
	v_bfe_u32 v5, v4, 16, 1
	s_delay_alu instid0(VALU_DEP_1)
	v_add3_u32 v51, v4, v5, 0x7fff
                                        ; implicit-def: $vgpr4
; %bb.297:                              ;   in Loop: Header=BB8_135 Depth=3
	s_and_not1_saveexec_b32 s76, s76
; %bb.298:                              ;   in Loop: Header=BB8_135 Depth=3
	v_and_b32_e32 v5, 0xffff, v4
	v_or_b32_e32 v28, 0x10000, v4
	s_delay_alu instid0(VALU_DEP_2) | instskip(NEXT) | instid1(VALU_DEP_2)
	v_cmp_eq_u32_e32 vcc_lo, 0, v5
	v_cndmask_b32_e32 v51, v28, v4, vcc_lo
; %bb.299:                              ;   in Loop: Header=BB8_135 Depth=3
	s_or_b32 exec_lo, exec_lo, s76
	s_wait_loadcnt 0x2
	v_lshlrev_b32_e32 v4, 16, v36
	s_mov_b32 s76, exec_lo
                                        ; implicit-def: $vgpr52
	s_delay_alu instid0(VALU_DEP_1) | instskip(NEXT) | instid1(VALU_DEP_1)
	v_mul_f32_e32 v4, v104, v4
	v_and_b32_e32 v5, 0x7f800000, v4
	s_delay_alu instid0(VALU_DEP_1)
	v_cmpx_ne_u32_e32 0x7f800000, v5
	s_xor_b32 s76, exec_lo, s76
; %bb.300:                              ;   in Loop: Header=BB8_135 Depth=3
	v_bfe_u32 v5, v4, 16, 1
	s_delay_alu instid0(VALU_DEP_1)
	v_add3_u32 v52, v4, v5, 0x7fff
                                        ; implicit-def: $vgpr4
; %bb.301:                              ;   in Loop: Header=BB8_135 Depth=3
	s_and_not1_saveexec_b32 s76, s76
; %bb.302:                              ;   in Loop: Header=BB8_135 Depth=3
	v_and_b32_e32 v5, 0xffff, v4
	v_or_b32_e32 v28, 0x10000, v4
	s_delay_alu instid0(VALU_DEP_2) | instskip(NEXT) | instid1(VALU_DEP_2)
	v_cmp_eq_u32_e32 vcc_lo, 0, v5
	v_cndmask_b32_e32 v52, v28, v4, vcc_lo
; %bb.303:                              ;   in Loop: Header=BB8_135 Depth=3
	s_or_b32 exec_lo, exec_lo, s76
	v_and_b32_e32 v4, 0xffff0000, v36
	s_mov_b32 s76, exec_lo
                                        ; implicit-def: $vgpr36
	s_delay_alu instid0(VALU_DEP_1) | instskip(NEXT) | instid1(VALU_DEP_1)
	v_mul_f32_e32 v4, v104, v4
	v_and_b32_e32 v5, 0x7f800000, v4
	s_delay_alu instid0(VALU_DEP_1)
	v_cmpx_ne_u32_e32 0x7f800000, v5
	s_xor_b32 s76, exec_lo, s76
; %bb.304:                              ;   in Loop: Header=BB8_135 Depth=3
	v_bfe_u32 v5, v4, 16, 1
	s_delay_alu instid0(VALU_DEP_1)
	v_add3_u32 v36, v4, v5, 0x7fff
                                        ; implicit-def: $vgpr4
; %bb.305:                              ;   in Loop: Header=BB8_135 Depth=3
	s_and_not1_saveexec_b32 s76, s76
; %bb.306:                              ;   in Loop: Header=BB8_135 Depth=3
	v_and_b32_e32 v5, 0xffff, v4
	v_or_b32_e32 v28, 0x10000, v4
	s_delay_alu instid0(VALU_DEP_2) | instskip(NEXT) | instid1(VALU_DEP_2)
	v_cmp_eq_u32_e32 vcc_lo, 0, v5
	v_cndmask_b32_e32 v36, v28, v4, vcc_lo
; %bb.307:                              ;   in Loop: Header=BB8_135 Depth=3
	s_or_b32 exec_lo, exec_lo, s76
	v_lshlrev_b32_e32 v4, 16, v37
	s_mov_b32 s76, exec_lo
                                        ; implicit-def: $vgpr53
	s_delay_alu instid0(VALU_DEP_1) | instskip(NEXT) | instid1(VALU_DEP_1)
	v_mul_f32_e32 v4, v104, v4
	v_and_b32_e32 v5, 0x7f800000, v4
	s_delay_alu instid0(VALU_DEP_1)
	v_cmpx_ne_u32_e32 0x7f800000, v5
	s_xor_b32 s76, exec_lo, s76
; %bb.308:                              ;   in Loop: Header=BB8_135 Depth=3
	v_bfe_u32 v5, v4, 16, 1
	s_delay_alu instid0(VALU_DEP_1)
	v_add3_u32 v53, v4, v5, 0x7fff
                                        ; implicit-def: $vgpr4
; %bb.309:                              ;   in Loop: Header=BB8_135 Depth=3
	s_and_not1_saveexec_b32 s76, s76
; %bb.310:                              ;   in Loop: Header=BB8_135 Depth=3
	v_and_b32_e32 v5, 0xffff, v4
	v_or_b32_e32 v28, 0x10000, v4
	s_delay_alu instid0(VALU_DEP_2) | instskip(NEXT) | instid1(VALU_DEP_2)
	v_cmp_eq_u32_e32 vcc_lo, 0, v5
	v_cndmask_b32_e32 v53, v28, v4, vcc_lo
; %bb.311:                              ;   in Loop: Header=BB8_135 Depth=3
	s_or_b32 exec_lo, exec_lo, s76
	v_and_b32_e32 v4, 0xffff0000, v37
	s_mov_b32 s76, exec_lo
                                        ; implicit-def: $vgpr28
	s_delay_alu instid0(VALU_DEP_1) | instskip(NEXT) | instid1(VALU_DEP_1)
	v_mul_f32_e32 v4, v104, v4
	v_and_b32_e32 v5, 0x7f800000, v4
	s_delay_alu instid0(VALU_DEP_1)
	v_cmpx_ne_u32_e32 0x7f800000, v5
	s_xor_b32 s76, exec_lo, s76
; %bb.312:                              ;   in Loop: Header=BB8_135 Depth=3
	v_bfe_u32 v5, v4, 16, 1
	s_delay_alu instid0(VALU_DEP_1)
	v_add3_u32 v28, v4, v5, 0x7fff
                                        ; implicit-def: $vgpr4
; %bb.313:                              ;   in Loop: Header=BB8_135 Depth=3
	s_and_not1_saveexec_b32 s76, s76
; %bb.314:                              ;   in Loop: Header=BB8_135 Depth=3
	v_and_b32_e32 v5, 0xffff, v4
	v_or_b32_e32 v28, 0x10000, v4
	s_delay_alu instid0(VALU_DEP_2) | instskip(NEXT) | instid1(VALU_DEP_2)
	v_cmp_eq_u32_e32 vcc_lo, 0, v5
	v_cndmask_b32_e32 v28, v28, v4, vcc_lo
; %bb.315:                              ;   in Loop: Header=BB8_135 Depth=3
	s_or_b32 exec_lo, exec_lo, s76
	v_lshlrev_b32_e32 v4, 16, v38
	s_mov_b32 s76, exec_lo
                                        ; implicit-def: $vgpr29
	s_delay_alu instid0(VALU_DEP_1) | instskip(NEXT) | instid1(VALU_DEP_1)
	v_mul_f32_e32 v4, v104, v4
	v_and_b32_e32 v5, 0x7f800000, v4
	s_delay_alu instid0(VALU_DEP_1)
	v_cmpx_ne_u32_e32 0x7f800000, v5
	s_xor_b32 s76, exec_lo, s76
; %bb.316:                              ;   in Loop: Header=BB8_135 Depth=3
	v_bfe_u32 v5, v4, 16, 1
	s_delay_alu instid0(VALU_DEP_1)
	v_add3_u32 v29, v4, v5, 0x7fff
                                        ; implicit-def: $vgpr4
; %bb.317:                              ;   in Loop: Header=BB8_135 Depth=3
	s_and_not1_saveexec_b32 s76, s76
; %bb.318:                              ;   in Loop: Header=BB8_135 Depth=3
	v_and_b32_e32 v5, 0xffff, v4
	v_or_b32_e32 v29, 0x10000, v4
	s_delay_alu instid0(VALU_DEP_2) | instskip(NEXT) | instid1(VALU_DEP_2)
	v_cmp_eq_u32_e32 vcc_lo, 0, v5
	v_cndmask_b32_e32 v29, v29, v4, vcc_lo
; %bb.319:                              ;   in Loop: Header=BB8_135 Depth=3
	s_or_b32 exec_lo, exec_lo, s76
	v_and_b32_e32 v4, 0xffff0000, v38
	s_mov_b32 s76, exec_lo
                                        ; implicit-def: $vgpr37
	s_delay_alu instid0(VALU_DEP_1) | instskip(NEXT) | instid1(VALU_DEP_1)
	v_mul_f32_e32 v4, v104, v4
	v_and_b32_e32 v5, 0x7f800000, v4
	s_delay_alu instid0(VALU_DEP_1)
	v_cmpx_ne_u32_e32 0x7f800000, v5
	s_xor_b32 s76, exec_lo, s76
; %bb.320:                              ;   in Loop: Header=BB8_135 Depth=3
	v_bfe_u32 v5, v4, 16, 1
	s_delay_alu instid0(VALU_DEP_1)
	v_add3_u32 v37, v4, v5, 0x7fff
                                        ; implicit-def: $vgpr4
; %bb.321:                              ;   in Loop: Header=BB8_135 Depth=3
	s_and_not1_saveexec_b32 s76, s76
; %bb.322:                              ;   in Loop: Header=BB8_135 Depth=3
	v_and_b32_e32 v5, 0xffff, v4
	v_or_b32_e32 v37, 0x10000, v4
	s_delay_alu instid0(VALU_DEP_2) | instskip(NEXT) | instid1(VALU_DEP_2)
	v_cmp_eq_u32_e32 vcc_lo, 0, v5
	v_cndmask_b32_e32 v37, v37, v4, vcc_lo
; %bb.323:                              ;   in Loop: Header=BB8_135 Depth=3
	s_or_b32 exec_lo, exec_lo, s76
	v_lshlrev_b32_e32 v4, 16, v39
	s_mov_b32 s76, exec_lo
                                        ; implicit-def: $vgpr38
	s_delay_alu instid0(VALU_DEP_1) | instskip(NEXT) | instid1(VALU_DEP_1)
	v_mul_f32_e32 v4, v104, v4
	v_and_b32_e32 v5, 0x7f800000, v4
	s_delay_alu instid0(VALU_DEP_1)
	v_cmpx_ne_u32_e32 0x7f800000, v5
	s_xor_b32 s76, exec_lo, s76
; %bb.324:                              ;   in Loop: Header=BB8_135 Depth=3
	v_bfe_u32 v5, v4, 16, 1
	s_delay_alu instid0(VALU_DEP_1)
	v_add3_u32 v38, v4, v5, 0x7fff
                                        ; implicit-def: $vgpr4
; %bb.325:                              ;   in Loop: Header=BB8_135 Depth=3
	s_and_not1_saveexec_b32 s76, s76
; %bb.326:                              ;   in Loop: Header=BB8_135 Depth=3
	v_and_b32_e32 v5, 0xffff, v4
	v_or_b32_e32 v38, 0x10000, v4
	s_delay_alu instid0(VALU_DEP_2) | instskip(NEXT) | instid1(VALU_DEP_2)
	v_cmp_eq_u32_e32 vcc_lo, 0, v5
	v_cndmask_b32_e32 v38, v38, v4, vcc_lo
; %bb.327:                              ;   in Loop: Header=BB8_135 Depth=3
	s_or_b32 exec_lo, exec_lo, s76
	v_and_b32_e32 v4, 0xffff0000, v39
	s_mov_b32 s76, exec_lo
                                        ; implicit-def: $vgpr39
	s_delay_alu instid0(VALU_DEP_1) | instskip(NEXT) | instid1(VALU_DEP_1)
	v_mul_f32_e32 v4, v104, v4
	v_and_b32_e32 v5, 0x7f800000, v4
	s_delay_alu instid0(VALU_DEP_1)
	v_cmpx_ne_u32_e32 0x7f800000, v5
	s_xor_b32 s76, exec_lo, s76
; %bb.328:                              ;   in Loop: Header=BB8_135 Depth=3
	v_bfe_u32 v5, v4, 16, 1
	s_delay_alu instid0(VALU_DEP_1)
	v_add3_u32 v39, v4, v5, 0x7fff
                                        ; implicit-def: $vgpr4
; %bb.329:                              ;   in Loop: Header=BB8_135 Depth=3
	s_and_not1_saveexec_b32 s76, s76
; %bb.330:                              ;   in Loop: Header=BB8_135 Depth=3
	v_and_b32_e32 v5, 0xffff, v4
	v_or_b32_e32 v39, 0x10000, v4
	s_delay_alu instid0(VALU_DEP_2) | instskip(NEXT) | instid1(VALU_DEP_2)
	v_cmp_eq_u32_e32 vcc_lo, 0, v5
	v_cndmask_b32_e32 v39, v39, v4, vcc_lo
; %bb.331:                              ;   in Loop: Header=BB8_135 Depth=3
	s_or_b32 exec_lo, exec_lo, s76
	s_wait_loadcnt 0x1
	v_lshlrev_b32_e32 v4, 16, v24
	s_mov_b32 s76, exec_lo
                                        ; implicit-def: $vgpr54
	s_delay_alu instid0(VALU_DEP_1) | instskip(NEXT) | instid1(VALU_DEP_1)
	v_mul_f32_e32 v4, v104, v4
	v_and_b32_e32 v5, 0x7f800000, v4
	s_delay_alu instid0(VALU_DEP_1)
	v_cmpx_ne_u32_e32 0x7f800000, v5
	s_xor_b32 s76, exec_lo, s76
; %bb.332:                              ;   in Loop: Header=BB8_135 Depth=3
	v_bfe_u32 v5, v4, 16, 1
	s_delay_alu instid0(VALU_DEP_1)
	v_add3_u32 v54, v4, v5, 0x7fff
                                        ; implicit-def: $vgpr4
; %bb.333:                              ;   in Loop: Header=BB8_135 Depth=3
	s_and_not1_saveexec_b32 s76, s76
; %bb.334:                              ;   in Loop: Header=BB8_135 Depth=3
	v_and_b32_e32 v5, 0xffff, v4
	v_or_b32_e32 v54, 0x10000, v4
	s_delay_alu instid0(VALU_DEP_2) | instskip(NEXT) | instid1(VALU_DEP_2)
	v_cmp_eq_u32_e32 vcc_lo, 0, v5
	v_cndmask_b32_e32 v54, v54, v4, vcc_lo
; %bb.335:                              ;   in Loop: Header=BB8_135 Depth=3
	s_or_b32 exec_lo, exec_lo, s76
	v_and_b32_e32 v4, 0xffff0000, v24
	s_delay_alu instid0(VALU_DEP_1) | instskip(NEXT) | instid1(VALU_DEP_1)
	v_mul_f32_e32 v5, v104, v4
	v_and_b32_e32 v4, 0x7f800000, v5
	s_delay_alu instid0(VALU_DEP_1) | instskip(SKIP_1) | instid1(SALU_CYCLE_1)
	v_cmp_ne_u32_e32 vcc_lo, 0x7f800000, v4
                                        ; implicit-def: $vgpr4
	s_and_saveexec_b32 s76, vcc_lo
	s_xor_b32 s76, exec_lo, s76
; %bb.336:                              ;   in Loop: Header=BB8_135 Depth=3
	v_bfe_u32 v4, v5, 16, 1
	s_delay_alu instid0(VALU_DEP_1)
	v_add3_u32 v4, v5, v4, 0x7fff
                                        ; implicit-def: $vgpr5
; %bb.337:                              ;   in Loop: Header=BB8_135 Depth=3
	s_and_not1_saveexec_b32 s76, s76
; %bb.338:                              ;   in Loop: Header=BB8_135 Depth=3
	v_and_b32_e32 v4, 0xffff, v5
	v_or_b32_e32 v24, 0x10000, v5
	s_delay_alu instid0(VALU_DEP_2) | instskip(NEXT) | instid1(VALU_DEP_2)
	v_cmp_eq_u32_e32 vcc_lo, 0, v4
	v_cndmask_b32_e32 v4, v24, v5, vcc_lo
; %bb.339:                              ;   in Loop: Header=BB8_135 Depth=3
	s_or_b32 exec_lo, exec_lo, s76
	v_lshlrev_b32_e32 v5, 16, v25
	s_delay_alu instid0(VALU_DEP_1) | instskip(NEXT) | instid1(VALU_DEP_1)
	v_mul_f32_e32 v24, v104, v5
	v_and_b32_e32 v5, 0x7f800000, v24
	s_delay_alu instid0(VALU_DEP_1) | instskip(SKIP_1) | instid1(SALU_CYCLE_1)
	v_cmp_ne_u32_e32 vcc_lo, 0x7f800000, v5
                                        ; implicit-def: $vgpr5
	s_and_saveexec_b32 s76, vcc_lo
	s_xor_b32 s76, exec_lo, s76
; %bb.340:                              ;   in Loop: Header=BB8_135 Depth=3
	v_bfe_u32 v5, v24, 16, 1
	s_delay_alu instid0(VALU_DEP_1)
	v_add3_u32 v5, v24, v5, 0x7fff
                                        ; implicit-def: $vgpr24
; %bb.341:                              ;   in Loop: Header=BB8_135 Depth=3
	s_and_not1_saveexec_b32 s76, s76
; %bb.342:                              ;   in Loop: Header=BB8_135 Depth=3
	v_and_b32_e32 v5, 0xffff, v24
	v_or_b32_e32 v55, 0x10000, v24
	s_delay_alu instid0(VALU_DEP_2) | instskip(NEXT) | instid1(VALU_DEP_2)
	v_cmp_eq_u32_e32 vcc_lo, 0, v5
	v_cndmask_b32_e32 v5, v55, v24, vcc_lo
; %bb.343:                              ;   in Loop: Header=BB8_135 Depth=3
	s_or_b32 exec_lo, exec_lo, s76
	v_and_b32_e32 v24, 0xffff0000, v25
	s_delay_alu instid0(VALU_DEP_1) | instskip(NEXT) | instid1(VALU_DEP_1)
	v_mul_f32_e32 v25, v104, v24
	v_and_b32_e32 v24, 0x7f800000, v25
	s_delay_alu instid0(VALU_DEP_1) | instskip(SKIP_1) | instid1(SALU_CYCLE_1)
	v_cmp_ne_u32_e32 vcc_lo, 0x7f800000, v24
                                        ; implicit-def: $vgpr24
	s_and_saveexec_b32 s76, vcc_lo
	s_xor_b32 s76, exec_lo, s76
; %bb.344:                              ;   in Loop: Header=BB8_135 Depth=3
	v_bfe_u32 v24, v25, 16, 1
	s_delay_alu instid0(VALU_DEP_1)
	v_add3_u32 v24, v25, v24, 0x7fff
                                        ; implicit-def: $vgpr25
; %bb.345:                              ;   in Loop: Header=BB8_135 Depth=3
	s_and_not1_saveexec_b32 s76, s76
; %bb.346:                              ;   in Loop: Header=BB8_135 Depth=3
	v_and_b32_e32 v24, 0xffff, v25
	v_or_b32_e32 v55, 0x10000, v25
	s_delay_alu instid0(VALU_DEP_2) | instskip(NEXT) | instid1(VALU_DEP_2)
	v_cmp_eq_u32_e32 vcc_lo, 0, v24
	v_cndmask_b32_e32 v24, v55, v25, vcc_lo
; %bb.347:                              ;   in Loop: Header=BB8_135 Depth=3
	s_or_b32 exec_lo, exec_lo, s76
	v_lshlrev_b32_e32 v25, 16, v26
	s_delay_alu instid0(VALU_DEP_1) | instskip(NEXT) | instid1(VALU_DEP_1)
	v_mul_f32_e32 v55, v104, v25
	v_and_b32_e32 v25, 0x7f800000, v55
	s_delay_alu instid0(VALU_DEP_1) | instskip(SKIP_1) | instid1(SALU_CYCLE_1)
	v_cmp_ne_u32_e32 vcc_lo, 0x7f800000, v25
                                        ; implicit-def: $vgpr25
	s_and_saveexec_b32 s76, vcc_lo
	s_xor_b32 s76, exec_lo, s76
; %bb.348:                              ;   in Loop: Header=BB8_135 Depth=3
	v_bfe_u32 v25, v55, 16, 1
	s_delay_alu instid0(VALU_DEP_1)
	v_add3_u32 v25, v55, v25, 0x7fff
                                        ; implicit-def: $vgpr55
; %bb.349:                              ;   in Loop: Header=BB8_135 Depth=3
	s_and_not1_saveexec_b32 s76, s76
; %bb.350:                              ;   in Loop: Header=BB8_135 Depth=3
	v_and_b32_e32 v25, 0xffff, v55
	v_or_b32_e32 v96, 0x10000, v55
	s_delay_alu instid0(VALU_DEP_2) | instskip(NEXT) | instid1(VALU_DEP_2)
	v_cmp_eq_u32_e32 vcc_lo, 0, v25
	v_cndmask_b32_e32 v25, v96, v55, vcc_lo
; %bb.351:                              ;   in Loop: Header=BB8_135 Depth=3
	s_or_b32 exec_lo, exec_lo, s76
	v_and_b32_e32 v26, 0xffff0000, v26
	s_delay_alu instid0(VALU_DEP_1) | instskip(NEXT) | instid1(VALU_DEP_1)
	v_mul_f32_e32 v55, v104, v26
	v_and_b32_e32 v26, 0x7f800000, v55
	s_delay_alu instid0(VALU_DEP_1) | instskip(SKIP_1) | instid1(SALU_CYCLE_1)
	v_cmp_ne_u32_e32 vcc_lo, 0x7f800000, v26
                                        ; implicit-def: $vgpr26
	s_and_saveexec_b32 s76, vcc_lo
	s_xor_b32 s76, exec_lo, s76
; %bb.352:                              ;   in Loop: Header=BB8_135 Depth=3
	v_bfe_u32 v26, v55, 16, 1
	s_delay_alu instid0(VALU_DEP_1)
	v_add3_u32 v26, v55, v26, 0x7fff
                                        ; implicit-def: $vgpr55
; %bb.353:                              ;   in Loop: Header=BB8_135 Depth=3
	s_and_not1_saveexec_b32 s76, s76
; %bb.354:                              ;   in Loop: Header=BB8_135 Depth=3
	v_and_b32_e32 v26, 0xffff, v55
	v_or_b32_e32 v96, 0x10000, v55
	s_delay_alu instid0(VALU_DEP_2) | instskip(NEXT) | instid1(VALU_DEP_2)
	v_cmp_eq_u32_e32 vcc_lo, 0, v26
	v_cndmask_b32_e32 v26, v96, v55, vcc_lo
; %bb.355:                              ;   in Loop: Header=BB8_135 Depth=3
	s_or_b32 exec_lo, exec_lo, s76
	v_lshlrev_b32_e32 v55, 16, v27
	s_delay_alu instid0(VALU_DEP_1) | instskip(NEXT) | instid1(VALU_DEP_1)
	v_mul_f32_e32 v96, v104, v55
	v_and_b32_e32 v55, 0x7f800000, v96
	s_delay_alu instid0(VALU_DEP_1) | instskip(SKIP_1) | instid1(SALU_CYCLE_1)
	v_cmp_ne_u32_e32 vcc_lo, 0x7f800000, v55
                                        ; implicit-def: $vgpr55
	s_and_saveexec_b32 s76, vcc_lo
	s_xor_b32 s76, exec_lo, s76
; %bb.356:                              ;   in Loop: Header=BB8_135 Depth=3
	v_bfe_u32 v55, v96, 16, 1
	s_delay_alu instid0(VALU_DEP_1)
	v_add3_u32 v55, v96, v55, 0x7fff
                                        ; implicit-def: $vgpr96
; %bb.357:                              ;   in Loop: Header=BB8_135 Depth=3
	s_and_not1_saveexec_b32 s76, s76
; %bb.358:                              ;   in Loop: Header=BB8_135 Depth=3
	v_and_b32_e32 v55, 0xffff, v96
	v_or_b32_e32 v97, 0x10000, v96
	s_delay_alu instid0(VALU_DEP_2) | instskip(NEXT) | instid1(VALU_DEP_2)
	v_cmp_eq_u32_e32 vcc_lo, 0, v55
	v_cndmask_b32_e32 v55, v97, v96, vcc_lo
; %bb.359:                              ;   in Loop: Header=BB8_135 Depth=3
	s_or_b32 exec_lo, exec_lo, s76
	v_and_b32_e32 v27, 0xffff0000, v27
	s_delay_alu instid0(VALU_DEP_1) | instskip(NEXT) | instid1(VALU_DEP_1)
	v_mul_f32_e32 v96, v104, v27
	v_and_b32_e32 v27, 0x7f800000, v96
	s_delay_alu instid0(VALU_DEP_1) | instskip(SKIP_1) | instid1(SALU_CYCLE_1)
	v_cmp_ne_u32_e32 vcc_lo, 0x7f800000, v27
                                        ; implicit-def: $vgpr27
	s_and_saveexec_b32 s76, vcc_lo
	s_xor_b32 s76, exec_lo, s76
; %bb.360:                              ;   in Loop: Header=BB8_135 Depth=3
	v_bfe_u32 v27, v96, 16, 1
	s_delay_alu instid0(VALU_DEP_1)
	v_add3_u32 v27, v96, v27, 0x7fff
                                        ; implicit-def: $vgpr96
; %bb.361:                              ;   in Loop: Header=BB8_135 Depth=3
	s_and_not1_saveexec_b32 s76, s76
; %bb.362:                              ;   in Loop: Header=BB8_135 Depth=3
	v_and_b32_e32 v27, 0xffff, v96
	v_or_b32_e32 v97, 0x10000, v96
	s_delay_alu instid0(VALU_DEP_2) | instskip(NEXT) | instid1(VALU_DEP_2)
	v_cmp_eq_u32_e32 vcc_lo, 0, v27
	v_cndmask_b32_e32 v27, v97, v96, vcc_lo
; %bb.363:                              ;   in Loop: Header=BB8_135 Depth=3
	s_or_b32 exec_lo, exec_lo, s76
	s_wait_loadcnt 0x0
	v_lshlrev_b32_e32 v96, 16, v20
	s_mov_b32 s76, exec_lo
                                        ; implicit-def: $vgpr98
	s_delay_alu instid0(VALU_DEP_1) | instskip(NEXT) | instid1(VALU_DEP_1)
	v_mul_f32_e32 v96, v104, v96
	v_and_b32_e32 v97, 0x7f800000, v96
	s_delay_alu instid0(VALU_DEP_1)
	v_cmpx_ne_u32_e32 0x7f800000, v97
	s_xor_b32 s76, exec_lo, s76
; %bb.364:                              ;   in Loop: Header=BB8_135 Depth=3
	v_bfe_u32 v97, v96, 16, 1
	s_delay_alu instid0(VALU_DEP_1)
	v_add3_u32 v98, v96, v97, 0x7fff
                                        ; implicit-def: $vgpr96
; %bb.365:                              ;   in Loop: Header=BB8_135 Depth=3
	s_and_not1_saveexec_b32 s76, s76
; %bb.366:                              ;   in Loop: Header=BB8_135 Depth=3
	v_and_b32_e32 v97, 0xffff, v96
	v_or_b32_e32 v98, 0x10000, v96
	s_delay_alu instid0(VALU_DEP_2) | instskip(NEXT) | instid1(VALU_DEP_2)
	v_cmp_eq_u32_e32 vcc_lo, 0, v97
	v_cndmask_b32_e32 v98, v98, v96, vcc_lo
; %bb.367:                              ;   in Loop: Header=BB8_135 Depth=3
	s_or_b32 exec_lo, exec_lo, s76
	v_and_b32_e32 v20, 0xffff0000, v20
	s_delay_alu instid0(VALU_DEP_1) | instskip(NEXT) | instid1(VALU_DEP_1)
	v_mul_f32_e32 v96, v104, v20
	v_and_b32_e32 v20, 0x7f800000, v96
	s_delay_alu instid0(VALU_DEP_1) | instskip(SKIP_1) | instid1(SALU_CYCLE_1)
	v_cmp_ne_u32_e32 vcc_lo, 0x7f800000, v20
                                        ; implicit-def: $vgpr20
	s_and_saveexec_b32 s76, vcc_lo
	s_xor_b32 s76, exec_lo, s76
; %bb.368:                              ;   in Loop: Header=BB8_135 Depth=3
	v_bfe_u32 v20, v96, 16, 1
	s_delay_alu instid0(VALU_DEP_1)
	v_add3_u32 v20, v96, v20, 0x7fff
                                        ; implicit-def: $vgpr96
; %bb.369:                              ;   in Loop: Header=BB8_135 Depth=3
	s_and_not1_saveexec_b32 s76, s76
; %bb.370:                              ;   in Loop: Header=BB8_135 Depth=3
	v_and_b32_e32 v20, 0xffff, v96
	v_or_b32_e32 v97, 0x10000, v96
	s_delay_alu instid0(VALU_DEP_2) | instskip(NEXT) | instid1(VALU_DEP_2)
	v_cmp_eq_u32_e32 vcc_lo, 0, v20
	v_cndmask_b32_e32 v20, v97, v96, vcc_lo
; %bb.371:                              ;   in Loop: Header=BB8_135 Depth=3
	s_or_b32 exec_lo, exec_lo, s76
	v_lshlrev_b32_e32 v96, 16, v21
	s_mov_b32 s76, exec_lo
                                        ; implicit-def: $vgpr99
	s_delay_alu instid0(VALU_DEP_1) | instskip(NEXT) | instid1(VALU_DEP_1)
	v_mul_f32_e32 v96, v104, v96
	v_and_b32_e32 v97, 0x7f800000, v96
	s_delay_alu instid0(VALU_DEP_1)
	v_cmpx_ne_u32_e32 0x7f800000, v97
	s_xor_b32 s76, exec_lo, s76
; %bb.372:                              ;   in Loop: Header=BB8_135 Depth=3
	v_bfe_u32 v97, v96, 16, 1
	s_delay_alu instid0(VALU_DEP_1)
	v_add3_u32 v99, v96, v97, 0x7fff
                                        ; implicit-def: $vgpr96
; %bb.373:                              ;   in Loop: Header=BB8_135 Depth=3
	s_and_not1_saveexec_b32 s76, s76
; %bb.374:                              ;   in Loop: Header=BB8_135 Depth=3
	v_and_b32_e32 v97, 0xffff, v96
	v_or_b32_e32 v99, 0x10000, v96
	s_delay_alu instid0(VALU_DEP_2) | instskip(NEXT) | instid1(VALU_DEP_2)
	v_cmp_eq_u32_e32 vcc_lo, 0, v97
	v_cndmask_b32_e32 v99, v99, v96, vcc_lo
; %bb.375:                              ;   in Loop: Header=BB8_135 Depth=3
	s_or_b32 exec_lo, exec_lo, s76
	v_and_b32_e32 v21, 0xffff0000, v21
	s_delay_alu instid0(VALU_DEP_1) | instskip(NEXT) | instid1(VALU_DEP_1)
	v_mul_f32_e32 v96, v104, v21
	v_and_b32_e32 v21, 0x7f800000, v96
	s_delay_alu instid0(VALU_DEP_1) | instskip(SKIP_1) | instid1(SALU_CYCLE_1)
	v_cmp_ne_u32_e32 vcc_lo, 0x7f800000, v21
                                        ; implicit-def: $vgpr21
	s_and_saveexec_b32 s76, vcc_lo
	s_xor_b32 s76, exec_lo, s76
; %bb.376:                              ;   in Loop: Header=BB8_135 Depth=3
	v_bfe_u32 v21, v96, 16, 1
	s_delay_alu instid0(VALU_DEP_1)
	v_add3_u32 v21, v96, v21, 0x7fff
                                        ; implicit-def: $vgpr96
; %bb.377:                              ;   in Loop: Header=BB8_135 Depth=3
	s_and_not1_saveexec_b32 s76, s76
; %bb.378:                              ;   in Loop: Header=BB8_135 Depth=3
	v_and_b32_e32 v21, 0xffff, v96
	v_or_b32_e32 v97, 0x10000, v96
	s_delay_alu instid0(VALU_DEP_2) | instskip(NEXT) | instid1(VALU_DEP_2)
	v_cmp_eq_u32_e32 vcc_lo, 0, v21
	v_cndmask_b32_e32 v21, v97, v96, vcc_lo
; %bb.379:                              ;   in Loop: Header=BB8_135 Depth=3
	s_or_b32 exec_lo, exec_lo, s76
	v_lshlrev_b32_e32 v96, 16, v22
	s_mov_b32 s76, exec_lo
                                        ; implicit-def: $vgpr108
	s_delay_alu instid0(VALU_DEP_1) | instskip(NEXT) | instid1(VALU_DEP_1)
	v_mul_f32_e32 v96, v104, v96
	v_and_b32_e32 v97, 0x7f800000, v96
	s_delay_alu instid0(VALU_DEP_1)
	v_cmpx_ne_u32_e32 0x7f800000, v97
	s_xor_b32 s76, exec_lo, s76
; %bb.380:                              ;   in Loop: Header=BB8_135 Depth=3
	v_bfe_u32 v97, v96, 16, 1
	s_delay_alu instid0(VALU_DEP_1)
	v_add3_u32 v108, v96, v97, 0x7fff
                                        ; implicit-def: $vgpr96
; %bb.381:                              ;   in Loop: Header=BB8_135 Depth=3
	s_and_not1_saveexec_b32 s76, s76
; %bb.382:                              ;   in Loop: Header=BB8_135 Depth=3
	v_and_b32_e32 v97, 0xffff, v96
	v_or_b32_e32 v108, 0x10000, v96
	s_delay_alu instid0(VALU_DEP_2) | instskip(NEXT) | instid1(VALU_DEP_2)
	v_cmp_eq_u32_e32 vcc_lo, 0, v97
	v_cndmask_b32_e32 v108, v108, v96, vcc_lo
; %bb.383:                              ;   in Loop: Header=BB8_135 Depth=3
	s_or_b32 exec_lo, exec_lo, s76
	v_and_b32_e32 v22, 0xffff0000, v22
	s_delay_alu instid0(VALU_DEP_1) | instskip(NEXT) | instid1(VALU_DEP_1)
	v_mul_f32_e32 v96, v104, v22
	v_and_b32_e32 v22, 0x7f800000, v96
	s_delay_alu instid0(VALU_DEP_1) | instskip(SKIP_1) | instid1(SALU_CYCLE_1)
	v_cmp_ne_u32_e32 vcc_lo, 0x7f800000, v22
                                        ; implicit-def: $vgpr22
	s_and_saveexec_b32 s76, vcc_lo
	s_xor_b32 s76, exec_lo, s76
; %bb.384:                              ;   in Loop: Header=BB8_135 Depth=3
	v_bfe_u32 v22, v96, 16, 1
	s_delay_alu instid0(VALU_DEP_1)
	v_add3_u32 v22, v96, v22, 0x7fff
                                        ; implicit-def: $vgpr96
; %bb.385:                              ;   in Loop: Header=BB8_135 Depth=3
	s_and_not1_saveexec_b32 s76, s76
; %bb.386:                              ;   in Loop: Header=BB8_135 Depth=3
	v_and_b32_e32 v22, 0xffff, v96
	v_or_b32_e32 v97, 0x10000, v96
	s_delay_alu instid0(VALU_DEP_2) | instskip(NEXT) | instid1(VALU_DEP_2)
	v_cmp_eq_u32_e32 vcc_lo, 0, v22
	v_cndmask_b32_e32 v22, v97, v96, vcc_lo
; %bb.387:                              ;   in Loop: Header=BB8_135 Depth=3
	s_or_b32 exec_lo, exec_lo, s76
	v_lshlrev_b32_e32 v96, 16, v23
	s_mov_b32 s76, exec_lo
                                        ; implicit-def: $vgpr125
	s_delay_alu instid0(VALU_DEP_1) | instskip(NEXT) | instid1(VALU_DEP_1)
	v_mul_f32_e32 v96, v104, v96
	v_and_b32_e32 v97, 0x7f800000, v96
	s_delay_alu instid0(VALU_DEP_1)
	v_cmpx_ne_u32_e32 0x7f800000, v97
	s_xor_b32 s76, exec_lo, s76
; %bb.388:                              ;   in Loop: Header=BB8_135 Depth=3
	v_bfe_u32 v97, v96, 16, 1
	s_delay_alu instid0(VALU_DEP_1)
	v_add3_u32 v125, v96, v97, 0x7fff
                                        ; implicit-def: $vgpr96
; %bb.389:                              ;   in Loop: Header=BB8_135 Depth=3
	s_and_not1_saveexec_b32 s76, s76
; %bb.390:                              ;   in Loop: Header=BB8_135 Depth=3
	v_and_b32_e32 v97, 0xffff, v96
	v_or_b32_e32 v125, 0x10000, v96
	s_delay_alu instid0(VALU_DEP_2) | instskip(NEXT) | instid1(VALU_DEP_2)
	v_cmp_eq_u32_e32 vcc_lo, 0, v97
	v_cndmask_b32_e32 v125, v125, v96, vcc_lo
; %bb.391:                              ;   in Loop: Header=BB8_135 Depth=3
	s_or_b32 exec_lo, exec_lo, s76
	v_and_b32_e32 v23, 0xffff0000, v23
	s_delay_alu instid0(VALU_DEP_1) | instskip(NEXT) | instid1(VALU_DEP_1)
	v_mul_f32_e32 v96, v104, v23
	v_and_b32_e32 v23, 0x7f800000, v96
	s_delay_alu instid0(VALU_DEP_1) | instskip(SKIP_1) | instid1(SALU_CYCLE_1)
	v_cmp_ne_u32_e32 vcc_lo, 0x7f800000, v23
                                        ; implicit-def: $vgpr23
	s_and_saveexec_b32 s76, vcc_lo
	s_xor_b32 s76, exec_lo, s76
; %bb.392:                              ;   in Loop: Header=BB8_135 Depth=3
	v_bfe_u32 v23, v96, 16, 1
	s_delay_alu instid0(VALU_DEP_1)
	v_add3_u32 v23, v96, v23, 0x7fff
                                        ; implicit-def: $vgpr96
; %bb.393:                              ;   in Loop: Header=BB8_135 Depth=3
	s_and_not1_saveexec_b32 s76, s76
	s_cbranch_execz .LBB8_134
; %bb.394:                              ;   in Loop: Header=BB8_135 Depth=3
	v_and_b32_e32 v23, 0xffff, v96
	v_or_b32_e32 v97, 0x10000, v96
	s_delay_alu instid0(VALU_DEP_2) | instskip(NEXT) | instid1(VALU_DEP_2)
	v_cmp_eq_u32_e32 vcc_lo, 0, v23
	v_cndmask_b32_e32 v23, v97, v96, vcc_lo
	s_branch .LBB8_134
.LBB8_395:                              ;   in Loop: Header=BB8_57 Depth=2
	v_dual_mov_b32 v4, v0 :: v_dual_mov_b32 v13, v109
	s_and_saveexec_b32 s13, s40
	s_cbranch_execnz .LBB8_640
	s_branch .LBB8_768
.LBB8_396:                              ;   in Loop: Header=BB8_57 Depth=2
	s_or_b32 exec_lo, exec_lo, s41
	s_delay_alu instid0(SALU_CYCLE_1)
	s_and_b32 s41, s74, exec_lo
.LBB8_397:                              ;   in Loop: Header=BB8_57 Depth=2
	s_or_b32 exec_lo, exec_lo, s13
	s_and_saveexec_b32 s13, s41
	s_cbranch_execz .LBB8_527
; %bb.398:                              ;   in Loop: Header=BB8_57 Depth=2
	s_trap 2
	ds_load_b32 v4, v0
	s_mov_b32 s41, exec_lo
	s_wait_dscnt 0x0
	v_lshlrev_b32_e32 v21, 16, v4
	s_delay_alu instid0(VALU_DEP_1) | instskip(NEXT) | instid1(VALU_DEP_1)
	v_dual_lshlrev_b32 v20, 16, v32 :: v_dual_mov_b32 v4, v21
	v_pk_mul_f32 v[22:23], v[4:5], v[20:21]
                                        ; implicit-def: $vgpr20
	s_delay_alu instid0(VALU_DEP_1) | instskip(NEXT) | instid1(VALU_DEP_1)
	v_and_b32_e32 v4, 0x7f800000, v22
	v_cmpx_ne_u32_e32 0x7f800000, v4
	s_xor_b32 s41, exec_lo, s41
; %bb.399:                              ;   in Loop: Header=BB8_57 Depth=2
	v_bfe_u32 v4, v22, 16, 1
	s_delay_alu instid0(VALU_DEP_1)
	v_add3_u32 v20, v22, v4, 0x7fff
                                        ; implicit-def: $vgpr22_vgpr23
; %bb.400:                              ;   in Loop: Header=BB8_57 Depth=2
	s_and_not1_saveexec_b32 s41, s41
; %bb.401:                              ;   in Loop: Header=BB8_57 Depth=2
	v_and_b32_e32 v4, 0xffff, v22
	v_or_b32_e32 v5, 0x10000, v22
	s_delay_alu instid0(VALU_DEP_2) | instskip(NEXT) | instid1(VALU_DEP_2)
	v_cmp_eq_u32_e32 vcc_lo, 0, v4
	v_cndmask_b32_e32 v20, v5, v22, vcc_lo
; %bb.402:                              ;   in Loop: Header=BB8_57 Depth=2
	s_or_b32 exec_lo, exec_lo, s41
	v_and_b32_e32 v4, 0xffff0000, v32
	s_mov_b32 s41, exec_lo
                                        ; implicit-def: $vgpr22
	s_delay_alu instid0(VALU_DEP_1) | instskip(NEXT) | instid1(VALU_DEP_1)
	v_mul_f32_e32 v4, v21, v4
	v_and_b32_e32 v5, 0x7f800000, v4
	s_delay_alu instid0(VALU_DEP_1)
	v_cmpx_ne_u32_e32 0x7f800000, v5
	s_xor_b32 s41, exec_lo, s41
; %bb.403:                              ;   in Loop: Header=BB8_57 Depth=2
	v_bfe_u32 v5, v4, 16, 1
	s_delay_alu instid0(VALU_DEP_1)
	v_add3_u32 v22, v4, v5, 0x7fff
                                        ; implicit-def: $vgpr4
; %bb.404:                              ;   in Loop: Header=BB8_57 Depth=2
	s_and_not1_saveexec_b32 s41, s41
; %bb.405:                              ;   in Loop: Header=BB8_57 Depth=2
	v_and_b32_e32 v5, 0xffff, v4
	v_or_b32_e32 v22, 0x10000, v4
	s_delay_alu instid0(VALU_DEP_2) | instskip(NEXT) | instid1(VALU_DEP_2)
	v_cmp_eq_u32_e32 vcc_lo, 0, v5
	v_cndmask_b32_e32 v22, v22, v4, vcc_lo
; %bb.406:                              ;   in Loop: Header=BB8_57 Depth=2
	s_or_b32 exec_lo, exec_lo, s41
	v_lshlrev_b32_e32 v4, 16, v33
	s_mov_b32 s41, exec_lo
                                        ; implicit-def: $vgpr23
	s_delay_alu instid0(VALU_DEP_1) | instskip(NEXT) | instid1(VALU_DEP_1)
	v_mul_f32_e32 v4, v21, v4
	v_and_b32_e32 v5, 0x7f800000, v4
	s_delay_alu instid0(VALU_DEP_1)
	v_cmpx_ne_u32_e32 0x7f800000, v5
	s_xor_b32 s41, exec_lo, s41
; %bb.407:                              ;   in Loop: Header=BB8_57 Depth=2
	v_bfe_u32 v5, v4, 16, 1
	s_delay_alu instid0(VALU_DEP_1)
	v_add3_u32 v23, v4, v5, 0x7fff
                                        ; implicit-def: $vgpr4
; %bb.408:                              ;   in Loop: Header=BB8_57 Depth=2
	s_and_not1_saveexec_b32 s41, s41
; %bb.409:                              ;   in Loop: Header=BB8_57 Depth=2
	v_and_b32_e32 v5, 0xffff, v4
	v_or_b32_e32 v23, 0x10000, v4
	s_delay_alu instid0(VALU_DEP_2) | instskip(NEXT) | instid1(VALU_DEP_2)
	v_cmp_eq_u32_e32 vcc_lo, 0, v5
	v_cndmask_b32_e32 v23, v23, v4, vcc_lo
; %bb.410:                              ;   in Loop: Header=BB8_57 Depth=2
	s_or_b32 exec_lo, exec_lo, s41
	v_and_b32_e32 v4, 0xffff0000, v33
	s_mov_b32 s41, exec_lo
                                        ; implicit-def: $vgpr24
	s_delay_alu instid0(VALU_DEP_1) | instskip(NEXT) | instid1(VALU_DEP_1)
	v_mul_f32_e32 v4, v21, v4
	v_and_b32_e32 v5, 0x7f800000, v4
	s_delay_alu instid0(VALU_DEP_1)
	v_cmpx_ne_u32_e32 0x7f800000, v5
	s_xor_b32 s41, exec_lo, s41
; %bb.411:                              ;   in Loop: Header=BB8_57 Depth=2
	v_bfe_u32 v5, v4, 16, 1
	s_delay_alu instid0(VALU_DEP_1)
	v_add3_u32 v24, v4, v5, 0x7fff
                                        ; implicit-def: $vgpr4
; %bb.412:                              ;   in Loop: Header=BB8_57 Depth=2
	s_and_not1_saveexec_b32 s41, s41
; %bb.413:                              ;   in Loop: Header=BB8_57 Depth=2
	v_and_b32_e32 v5, 0xffff, v4
	v_or_b32_e32 v24, 0x10000, v4
	s_delay_alu instid0(VALU_DEP_2) | instskip(NEXT) | instid1(VALU_DEP_2)
	v_cmp_eq_u32_e32 vcc_lo, 0, v5
	v_cndmask_b32_e32 v24, v24, v4, vcc_lo
; %bb.414:                              ;   in Loop: Header=BB8_57 Depth=2
	s_or_b32 exec_lo, exec_lo, s41
	v_lshlrev_b32_e32 v4, 16, v34
	s_mov_b32 s41, exec_lo
                                        ; implicit-def: $vgpr25
	s_delay_alu instid0(VALU_DEP_1) | instskip(NEXT) | instid1(VALU_DEP_1)
	v_mul_f32_e32 v4, v21, v4
	v_and_b32_e32 v5, 0x7f800000, v4
	s_delay_alu instid0(VALU_DEP_1)
	v_cmpx_ne_u32_e32 0x7f800000, v5
	s_xor_b32 s41, exec_lo, s41
; %bb.415:                              ;   in Loop: Header=BB8_57 Depth=2
	v_bfe_u32 v5, v4, 16, 1
	s_delay_alu instid0(VALU_DEP_1)
	v_add3_u32 v25, v4, v5, 0x7fff
                                        ; implicit-def: $vgpr4
; %bb.416:                              ;   in Loop: Header=BB8_57 Depth=2
	s_and_not1_saveexec_b32 s41, s41
; %bb.417:                              ;   in Loop: Header=BB8_57 Depth=2
	v_and_b32_e32 v5, 0xffff, v4
	v_or_b32_e32 v25, 0x10000, v4
	s_delay_alu instid0(VALU_DEP_2) | instskip(NEXT) | instid1(VALU_DEP_2)
	v_cmp_eq_u32_e32 vcc_lo, 0, v5
	v_cndmask_b32_e32 v25, v25, v4, vcc_lo
; %bb.418:                              ;   in Loop: Header=BB8_57 Depth=2
	s_or_b32 exec_lo, exec_lo, s41
	v_and_b32_e32 v4, 0xffff0000, v34
	s_mov_b32 s41, exec_lo
                                        ; implicit-def: $vgpr26
	s_delay_alu instid0(VALU_DEP_1) | instskip(NEXT) | instid1(VALU_DEP_1)
	v_mul_f32_e32 v4, v21, v4
	v_and_b32_e32 v5, 0x7f800000, v4
	s_delay_alu instid0(VALU_DEP_1)
	v_cmpx_ne_u32_e32 0x7f800000, v5
	s_xor_b32 s41, exec_lo, s41
; %bb.419:                              ;   in Loop: Header=BB8_57 Depth=2
	v_bfe_u32 v5, v4, 16, 1
	s_delay_alu instid0(VALU_DEP_1)
	v_add3_u32 v26, v4, v5, 0x7fff
                                        ; implicit-def: $vgpr4
; %bb.420:                              ;   in Loop: Header=BB8_57 Depth=2
	s_and_not1_saveexec_b32 s41, s41
; %bb.421:                              ;   in Loop: Header=BB8_57 Depth=2
	v_and_b32_e32 v5, 0xffff, v4
	v_or_b32_e32 v26, 0x10000, v4
	s_delay_alu instid0(VALU_DEP_2) | instskip(NEXT) | instid1(VALU_DEP_2)
	v_cmp_eq_u32_e32 vcc_lo, 0, v5
	v_cndmask_b32_e32 v26, v26, v4, vcc_lo
; %bb.422:                              ;   in Loop: Header=BB8_57 Depth=2
	s_or_b32 exec_lo, exec_lo, s41
	v_lshlrev_b32_e32 v4, 16, v35
	s_mov_b32 s41, exec_lo
                                        ; implicit-def: $vgpr27
	s_delay_alu instid0(VALU_DEP_1) | instskip(NEXT) | instid1(VALU_DEP_1)
	v_mul_f32_e32 v4, v21, v4
	v_and_b32_e32 v5, 0x7f800000, v4
	s_delay_alu instid0(VALU_DEP_1)
	v_cmpx_ne_u32_e32 0x7f800000, v5
	s_xor_b32 s41, exec_lo, s41
; %bb.423:                              ;   in Loop: Header=BB8_57 Depth=2
	v_bfe_u32 v5, v4, 16, 1
	s_delay_alu instid0(VALU_DEP_1)
	v_add3_u32 v27, v4, v5, 0x7fff
                                        ; implicit-def: $vgpr4
; %bb.424:                              ;   in Loop: Header=BB8_57 Depth=2
	s_and_not1_saveexec_b32 s41, s41
; %bb.425:                              ;   in Loop: Header=BB8_57 Depth=2
	v_and_b32_e32 v5, 0xffff, v4
	v_or_b32_e32 v27, 0x10000, v4
	s_delay_alu instid0(VALU_DEP_2) | instskip(NEXT) | instid1(VALU_DEP_2)
	v_cmp_eq_u32_e32 vcc_lo, 0, v5
	v_cndmask_b32_e32 v27, v27, v4, vcc_lo
; %bb.426:                              ;   in Loop: Header=BB8_57 Depth=2
	s_or_b32 exec_lo, exec_lo, s41
	v_and_b32_e32 v4, 0xffff0000, v35
	s_mov_b32 s41, exec_lo
                                        ; implicit-def: $vgpr32
	s_delay_alu instid0(VALU_DEP_1) | instskip(NEXT) | instid1(VALU_DEP_1)
	v_mul_f32_e32 v4, v21, v4
	v_and_b32_e32 v5, 0x7f800000, v4
	s_delay_alu instid0(VALU_DEP_1)
	v_cmpx_ne_u32_e32 0x7f800000, v5
	s_xor_b32 s41, exec_lo, s41
; %bb.427:                              ;   in Loop: Header=BB8_57 Depth=2
	v_bfe_u32 v5, v4, 16, 1
	s_delay_alu instid0(VALU_DEP_1)
	v_add3_u32 v32, v4, v5, 0x7fff
                                        ; implicit-def: $vgpr4
; %bb.428:                              ;   in Loop: Header=BB8_57 Depth=2
	s_and_not1_saveexec_b32 s41, s41
; %bb.429:                              ;   in Loop: Header=BB8_57 Depth=2
	v_and_b32_e32 v5, 0xffff, v4
	v_or_b32_e32 v28, 0x10000, v4
	s_delay_alu instid0(VALU_DEP_2) | instskip(NEXT) | instid1(VALU_DEP_2)
	v_cmp_eq_u32_e32 vcc_lo, 0, v5
	v_cndmask_b32_e32 v32, v28, v4, vcc_lo
; %bb.430:                              ;   in Loop: Header=BB8_57 Depth=2
	s_or_b32 exec_lo, exec_lo, s41
	v_lshlrev_b32_e32 v4, 16, v16
	s_mov_b32 s41, exec_lo
                                        ; implicit-def: $vgpr33
	s_delay_alu instid0(VALU_DEP_1) | instskip(NEXT) | instid1(VALU_DEP_1)
	v_mul_f32_e32 v4, v21, v4
	v_and_b32_e32 v5, 0x7f800000, v4
	s_delay_alu instid0(VALU_DEP_1)
	v_cmpx_ne_u32_e32 0x7f800000, v5
	s_xor_b32 s41, exec_lo, s41
; %bb.431:                              ;   in Loop: Header=BB8_57 Depth=2
	v_bfe_u32 v5, v4, 16, 1
	s_delay_alu instid0(VALU_DEP_1)
	v_add3_u32 v33, v4, v5, 0x7fff
                                        ; implicit-def: $vgpr4
; %bb.432:                              ;   in Loop: Header=BB8_57 Depth=2
	s_and_not1_saveexec_b32 s41, s41
; %bb.433:                              ;   in Loop: Header=BB8_57 Depth=2
	v_and_b32_e32 v5, 0xffff, v4
	v_or_b32_e32 v28, 0x10000, v4
	s_delay_alu instid0(VALU_DEP_2) | instskip(NEXT) | instid1(VALU_DEP_2)
	v_cmp_eq_u32_e32 vcc_lo, 0, v5
	v_cndmask_b32_e32 v33, v28, v4, vcc_lo
; %bb.434:                              ;   in Loop: Header=BB8_57 Depth=2
	s_or_b32 exec_lo, exec_lo, s41
	v_and_b32_e32 v4, 0xffff0000, v16
	s_mov_b32 s41, exec_lo
                                        ; implicit-def: $vgpr16
	s_delay_alu instid0(VALU_DEP_1) | instskip(NEXT) | instid1(VALU_DEP_1)
	v_mul_f32_e32 v4, v21, v4
	v_and_b32_e32 v5, 0x7f800000, v4
	s_delay_alu instid0(VALU_DEP_1)
	v_cmpx_ne_u32_e32 0x7f800000, v5
	s_xor_b32 s41, exec_lo, s41
; %bb.435:                              ;   in Loop: Header=BB8_57 Depth=2
	v_bfe_u32 v5, v4, 16, 1
	s_delay_alu instid0(VALU_DEP_1)
	v_add3_u32 v16, v4, v5, 0x7fff
                                        ; implicit-def: $vgpr4
; %bb.436:                              ;   in Loop: Header=BB8_57 Depth=2
	s_and_not1_saveexec_b32 s41, s41
; %bb.437:                              ;   in Loop: Header=BB8_57 Depth=2
	v_and_b32_e32 v5, 0xffff, v4
	v_or_b32_e32 v16, 0x10000, v4
	s_delay_alu instid0(VALU_DEP_2) | instskip(NEXT) | instid1(VALU_DEP_2)
	v_cmp_eq_u32_e32 vcc_lo, 0, v5
	v_cndmask_b32_e32 v16, v16, v4, vcc_lo
; %bb.438:                              ;   in Loop: Header=BB8_57 Depth=2
	s_or_b32 exec_lo, exec_lo, s41
	v_lshlrev_b32_e32 v4, 16, v17
	s_mov_b32 s41, exec_lo
                                        ; implicit-def: $vgpr34
	s_delay_alu instid0(VALU_DEP_1) | instskip(NEXT) | instid1(VALU_DEP_1)
	v_mul_f32_e32 v4, v21, v4
	v_and_b32_e32 v5, 0x7f800000, v4
	s_delay_alu instid0(VALU_DEP_1)
	v_cmpx_ne_u32_e32 0x7f800000, v5
	s_xor_b32 s41, exec_lo, s41
; %bb.439:                              ;   in Loop: Header=BB8_57 Depth=2
	v_bfe_u32 v5, v4, 16, 1
	s_delay_alu instid0(VALU_DEP_1)
	v_add3_u32 v34, v4, v5, 0x7fff
                                        ; implicit-def: $vgpr4
; %bb.440:                              ;   in Loop: Header=BB8_57 Depth=2
	s_and_not1_saveexec_b32 s41, s41
; %bb.441:                              ;   in Loop: Header=BB8_57 Depth=2
	v_and_b32_e32 v5, 0xffff, v4
	v_or_b32_e32 v28, 0x10000, v4
	s_delay_alu instid0(VALU_DEP_2) | instskip(NEXT) | instid1(VALU_DEP_2)
	v_cmp_eq_u32_e32 vcc_lo, 0, v5
	v_cndmask_b32_e32 v34, v28, v4, vcc_lo
; %bb.442:                              ;   in Loop: Header=BB8_57 Depth=2
	s_or_b32 exec_lo, exec_lo, s41
	v_and_b32_e32 v4, 0xffff0000, v17
	s_mov_b32 s41, exec_lo
                                        ; implicit-def: $vgpr17
	s_delay_alu instid0(VALU_DEP_1) | instskip(NEXT) | instid1(VALU_DEP_1)
	v_mul_f32_e32 v4, v21, v4
	v_and_b32_e32 v5, 0x7f800000, v4
	s_delay_alu instid0(VALU_DEP_1)
	v_cmpx_ne_u32_e32 0x7f800000, v5
	s_xor_b32 s41, exec_lo, s41
; %bb.443:                              ;   in Loop: Header=BB8_57 Depth=2
	v_bfe_u32 v5, v4, 16, 1
	s_delay_alu instid0(VALU_DEP_1)
	v_add3_u32 v17, v4, v5, 0x7fff
                                        ; implicit-def: $vgpr4
; %bb.444:                              ;   in Loop: Header=BB8_57 Depth=2
	s_and_not1_saveexec_b32 s41, s41
; %bb.445:                              ;   in Loop: Header=BB8_57 Depth=2
	v_and_b32_e32 v5, 0xffff, v4
	v_or_b32_e32 v17, 0x10000, v4
	s_delay_alu instid0(VALU_DEP_2) | instskip(NEXT) | instid1(VALU_DEP_2)
	v_cmp_eq_u32_e32 vcc_lo, 0, v5
	v_cndmask_b32_e32 v17, v17, v4, vcc_lo
; %bb.446:                              ;   in Loop: Header=BB8_57 Depth=2
	s_or_b32 exec_lo, exec_lo, s41
	v_lshlrev_b32_e32 v4, 16, v18
	s_mov_b32 s41, exec_lo
                                        ; implicit-def: $vgpr28
	s_delay_alu instid0(VALU_DEP_1) | instskip(NEXT) | instid1(VALU_DEP_1)
	v_mul_f32_e32 v4, v21, v4
	v_and_b32_e32 v5, 0x7f800000, v4
	s_delay_alu instid0(VALU_DEP_1)
	v_cmpx_ne_u32_e32 0x7f800000, v5
	s_xor_b32 s41, exec_lo, s41
; %bb.447:                              ;   in Loop: Header=BB8_57 Depth=2
	v_bfe_u32 v5, v4, 16, 1
	s_delay_alu instid0(VALU_DEP_1)
	v_add3_u32 v28, v4, v5, 0x7fff
                                        ; implicit-def: $vgpr4
; %bb.448:                              ;   in Loop: Header=BB8_57 Depth=2
	s_and_not1_saveexec_b32 s41, s41
; %bb.449:                              ;   in Loop: Header=BB8_57 Depth=2
	v_and_b32_e32 v5, 0xffff, v4
	v_or_b32_e32 v28, 0x10000, v4
	s_delay_alu instid0(VALU_DEP_2) | instskip(NEXT) | instid1(VALU_DEP_2)
	v_cmp_eq_u32_e32 vcc_lo, 0, v5
	v_cndmask_b32_e32 v28, v28, v4, vcc_lo
; %bb.450:                              ;   in Loop: Header=BB8_57 Depth=2
	s_or_b32 exec_lo, exec_lo, s41
	v_and_b32_e32 v4, 0xffff0000, v18
	s_mov_b32 s41, exec_lo
                                        ; implicit-def: $vgpr18
	s_delay_alu instid0(VALU_DEP_1) | instskip(NEXT) | instid1(VALU_DEP_1)
	v_mul_f32_e32 v4, v21, v4
	v_and_b32_e32 v5, 0x7f800000, v4
	s_delay_alu instid0(VALU_DEP_1)
	v_cmpx_ne_u32_e32 0x7f800000, v5
	s_xor_b32 s41, exec_lo, s41
; %bb.451:                              ;   in Loop: Header=BB8_57 Depth=2
	v_bfe_u32 v5, v4, 16, 1
	s_delay_alu instid0(VALU_DEP_1)
	v_add3_u32 v18, v4, v5, 0x7fff
                                        ; implicit-def: $vgpr4
; %bb.452:                              ;   in Loop: Header=BB8_57 Depth=2
	s_and_not1_saveexec_b32 s41, s41
; %bb.453:                              ;   in Loop: Header=BB8_57 Depth=2
	v_and_b32_e32 v5, 0xffff, v4
	v_or_b32_e32 v18, 0x10000, v4
	s_delay_alu instid0(VALU_DEP_2) | instskip(NEXT) | instid1(VALU_DEP_2)
	v_cmp_eq_u32_e32 vcc_lo, 0, v5
	v_cndmask_b32_e32 v18, v18, v4, vcc_lo
; %bb.454:                              ;   in Loop: Header=BB8_57 Depth=2
	s_or_b32 exec_lo, exec_lo, s41
	v_lshlrev_b32_e32 v4, 16, v19
	s_mov_b32 s41, exec_lo
                                        ; implicit-def: $vgpr29
	s_delay_alu instid0(VALU_DEP_1) | instskip(NEXT) | instid1(VALU_DEP_1)
	v_mul_f32_e32 v4, v21, v4
	v_and_b32_e32 v5, 0x7f800000, v4
	s_delay_alu instid0(VALU_DEP_1)
	v_cmpx_ne_u32_e32 0x7f800000, v5
	s_xor_b32 s41, exec_lo, s41
; %bb.455:                              ;   in Loop: Header=BB8_57 Depth=2
	v_bfe_u32 v5, v4, 16, 1
	s_delay_alu instid0(VALU_DEP_1)
	v_add3_u32 v29, v4, v5, 0x7fff
                                        ; implicit-def: $vgpr4
; %bb.456:                              ;   in Loop: Header=BB8_57 Depth=2
	s_and_not1_saveexec_b32 s41, s41
; %bb.457:                              ;   in Loop: Header=BB8_57 Depth=2
	v_and_b32_e32 v5, 0xffff, v4
	v_or_b32_e32 v29, 0x10000, v4
	s_delay_alu instid0(VALU_DEP_2) | instskip(NEXT) | instid1(VALU_DEP_2)
	v_cmp_eq_u32_e32 vcc_lo, 0, v5
	v_cndmask_b32_e32 v29, v29, v4, vcc_lo
; %bb.458:                              ;   in Loop: Header=BB8_57 Depth=2
	s_or_b32 exec_lo, exec_lo, s41
	v_and_b32_e32 v4, 0xffff0000, v19
	s_mov_b32 s41, exec_lo
                                        ; implicit-def: $vgpr19
	s_delay_alu instid0(VALU_DEP_1) | instskip(NEXT) | instid1(VALU_DEP_1)
	v_mul_f32_e32 v4, v21, v4
	v_and_b32_e32 v5, 0x7f800000, v4
	s_delay_alu instid0(VALU_DEP_1)
	v_cmpx_ne_u32_e32 0x7f800000, v5
	s_xor_b32 s41, exec_lo, s41
; %bb.459:                              ;   in Loop: Header=BB8_57 Depth=2
	v_bfe_u32 v5, v4, 16, 1
	s_delay_alu instid0(VALU_DEP_1)
	v_add3_u32 v19, v4, v5, 0x7fff
                                        ; implicit-def: $vgpr4
; %bb.460:                              ;   in Loop: Header=BB8_57 Depth=2
	s_and_not1_saveexec_b32 s41, s41
; %bb.461:                              ;   in Loop: Header=BB8_57 Depth=2
	v_and_b32_e32 v5, 0xffff, v4
	v_or_b32_e32 v19, 0x10000, v4
	s_delay_alu instid0(VALU_DEP_2) | instskip(NEXT) | instid1(VALU_DEP_2)
	v_cmp_eq_u32_e32 vcc_lo, 0, v5
	v_cndmask_b32_e32 v19, v19, v4, vcc_lo
; %bb.462:                              ;   in Loop: Header=BB8_57 Depth=2
	s_or_b32 exec_lo, exec_lo, s41
	v_lshlrev_b32_e32 v4, 16, v12
	s_mov_b32 s41, exec_lo
                                        ; implicit-def: $vgpr35
	s_delay_alu instid0(VALU_DEP_1) | instskip(NEXT) | instid1(VALU_DEP_1)
	v_mul_f32_e32 v4, v21, v4
	v_and_b32_e32 v5, 0x7f800000, v4
	s_delay_alu instid0(VALU_DEP_1)
	v_cmpx_ne_u32_e32 0x7f800000, v5
	s_xor_b32 s41, exec_lo, s41
; %bb.463:                              ;   in Loop: Header=BB8_57 Depth=2
	v_bfe_u32 v5, v4, 16, 1
	s_delay_alu instid0(VALU_DEP_1)
	v_add3_u32 v35, v4, v5, 0x7fff
                                        ; implicit-def: $vgpr4
; %bb.464:                              ;   in Loop: Header=BB8_57 Depth=2
	s_and_not1_saveexec_b32 s41, s41
; %bb.465:                              ;   in Loop: Header=BB8_57 Depth=2
	v_and_b32_e32 v5, 0xffff, v4
	v_or_b32_e32 v35, 0x10000, v4
	s_delay_alu instid0(VALU_DEP_2) | instskip(NEXT) | instid1(VALU_DEP_2)
	v_cmp_eq_u32_e32 vcc_lo, 0, v5
	v_cndmask_b32_e32 v35, v35, v4, vcc_lo
; %bb.466:                              ;   in Loop: Header=BB8_57 Depth=2
	s_or_b32 exec_lo, exec_lo, s41
	v_and_b32_e32 v4, 0xffff0000, v12
	s_delay_alu instid0(VALU_DEP_1) | instskip(NEXT) | instid1(VALU_DEP_1)
	v_mul_f32_e32 v5, v21, v4
	v_and_b32_e32 v4, 0x7f800000, v5
	s_delay_alu instid0(VALU_DEP_1) | instskip(SKIP_1) | instid1(SALU_CYCLE_1)
	v_cmp_ne_u32_e32 vcc_lo, 0x7f800000, v4
                                        ; implicit-def: $vgpr4
	s_and_saveexec_b32 s41, vcc_lo
	s_xor_b32 s41, exec_lo, s41
; %bb.467:                              ;   in Loop: Header=BB8_57 Depth=2
	v_bfe_u32 v4, v5, 16, 1
	s_delay_alu instid0(VALU_DEP_1)
	v_add3_u32 v4, v5, v4, 0x7fff
                                        ; implicit-def: $vgpr5
; %bb.468:                              ;   in Loop: Header=BB8_57 Depth=2
	s_and_not1_saveexec_b32 s41, s41
; %bb.469:                              ;   in Loop: Header=BB8_57 Depth=2
	v_and_b32_e32 v4, 0xffff, v5
	v_or_b32_e32 v12, 0x10000, v5
	s_delay_alu instid0(VALU_DEP_2) | instskip(NEXT) | instid1(VALU_DEP_2)
	v_cmp_eq_u32_e32 vcc_lo, 0, v4
	v_cndmask_b32_e32 v4, v12, v5, vcc_lo
; %bb.470:                              ;   in Loop: Header=BB8_57 Depth=2
	s_or_b32 exec_lo, exec_lo, s41
	v_lshlrev_b32_e32 v5, 16, v13
	s_delay_alu instid0(VALU_DEP_1) | instskip(NEXT) | instid1(VALU_DEP_1)
	v_mul_f32_e32 v12, v21, v5
	v_and_b32_e32 v5, 0x7f800000, v12
	s_delay_alu instid0(VALU_DEP_1) | instskip(SKIP_1) | instid1(SALU_CYCLE_1)
	v_cmp_ne_u32_e32 vcc_lo, 0x7f800000, v5
                                        ; implicit-def: $vgpr5
	s_and_saveexec_b32 s41, vcc_lo
	s_xor_b32 s41, exec_lo, s41
; %bb.471:                              ;   in Loop: Header=BB8_57 Depth=2
	v_bfe_u32 v5, v12, 16, 1
	s_delay_alu instid0(VALU_DEP_1)
	v_add3_u32 v5, v12, v5, 0x7fff
                                        ; implicit-def: $vgpr12
; %bb.472:                              ;   in Loop: Header=BB8_57 Depth=2
	s_and_not1_saveexec_b32 s41, s41
; %bb.473:                              ;   in Loop: Header=BB8_57 Depth=2
	v_and_b32_e32 v5, 0xffff, v12
	v_or_b32_e32 v36, 0x10000, v12
	s_delay_alu instid0(VALU_DEP_2) | instskip(NEXT) | instid1(VALU_DEP_2)
	v_cmp_eq_u32_e32 vcc_lo, 0, v5
	v_cndmask_b32_e32 v5, v36, v12, vcc_lo
; %bb.474:                              ;   in Loop: Header=BB8_57 Depth=2
	s_or_b32 exec_lo, exec_lo, s41
	v_and_b32_e32 v12, 0xffff0000, v13
	s_delay_alu instid0(VALU_DEP_1) | instskip(NEXT) | instid1(VALU_DEP_1)
	v_mul_f32_e32 v13, v21, v12
	v_and_b32_e32 v12, 0x7f800000, v13
	s_delay_alu instid0(VALU_DEP_1) | instskip(SKIP_1) | instid1(SALU_CYCLE_1)
	v_cmp_ne_u32_e32 vcc_lo, 0x7f800000, v12
                                        ; implicit-def: $vgpr12
	s_and_saveexec_b32 s41, vcc_lo
	s_xor_b32 s41, exec_lo, s41
; %bb.475:                              ;   in Loop: Header=BB8_57 Depth=2
	v_bfe_u32 v12, v13, 16, 1
	s_delay_alu instid0(VALU_DEP_1)
	v_add3_u32 v12, v13, v12, 0x7fff
                                        ; implicit-def: $vgpr13
; %bb.476:                              ;   in Loop: Header=BB8_57 Depth=2
	s_and_not1_saveexec_b32 s41, s41
; %bb.477:                              ;   in Loop: Header=BB8_57 Depth=2
	v_and_b32_e32 v12, 0xffff, v13
	v_or_b32_e32 v36, 0x10000, v13
	s_delay_alu instid0(VALU_DEP_2) | instskip(NEXT) | instid1(VALU_DEP_2)
	v_cmp_eq_u32_e32 vcc_lo, 0, v12
	v_cndmask_b32_e32 v12, v36, v13, vcc_lo
; %bb.478:                              ;   in Loop: Header=BB8_57 Depth=2
	s_or_b32 exec_lo, exec_lo, s41
	v_lshlrev_b32_e32 v13, 16, v14
	s_delay_alu instid0(VALU_DEP_1) | instskip(NEXT) | instid1(VALU_DEP_1)
	v_mul_f32_e32 v36, v21, v13
	v_and_b32_e32 v13, 0x7f800000, v36
	s_delay_alu instid0(VALU_DEP_1) | instskip(SKIP_1) | instid1(SALU_CYCLE_1)
	v_cmp_ne_u32_e32 vcc_lo, 0x7f800000, v13
                                        ; implicit-def: $vgpr13
	s_and_saveexec_b32 s41, vcc_lo
	s_xor_b32 s41, exec_lo, s41
; %bb.479:                              ;   in Loop: Header=BB8_57 Depth=2
	v_bfe_u32 v13, v36, 16, 1
	s_delay_alu instid0(VALU_DEP_1)
	v_add3_u32 v13, v36, v13, 0x7fff
                                        ; implicit-def: $vgpr36
; %bb.480:                              ;   in Loop: Header=BB8_57 Depth=2
	s_and_not1_saveexec_b32 s41, s41
; %bb.481:                              ;   in Loop: Header=BB8_57 Depth=2
	v_and_b32_e32 v13, 0xffff, v36
	v_or_b32_e32 v37, 0x10000, v36
	s_delay_alu instid0(VALU_DEP_2) | instskip(NEXT) | instid1(VALU_DEP_2)
	v_cmp_eq_u32_e32 vcc_lo, 0, v13
	v_cndmask_b32_e32 v13, v37, v36, vcc_lo
; %bb.482:                              ;   in Loop: Header=BB8_57 Depth=2
	s_or_b32 exec_lo, exec_lo, s41
	v_and_b32_e32 v14, 0xffff0000, v14
	s_delay_alu instid0(VALU_DEP_1) | instskip(NEXT) | instid1(VALU_DEP_1)
	v_mul_f32_e32 v36, v21, v14
	v_and_b32_e32 v14, 0x7f800000, v36
	s_delay_alu instid0(VALU_DEP_1) | instskip(SKIP_1) | instid1(SALU_CYCLE_1)
	v_cmp_ne_u32_e32 vcc_lo, 0x7f800000, v14
                                        ; implicit-def: $vgpr14
	s_and_saveexec_b32 s41, vcc_lo
	s_xor_b32 s41, exec_lo, s41
; %bb.483:                              ;   in Loop: Header=BB8_57 Depth=2
	v_bfe_u32 v14, v36, 16, 1
	s_delay_alu instid0(VALU_DEP_1)
	v_add3_u32 v14, v36, v14, 0x7fff
                                        ; implicit-def: $vgpr36
; %bb.484:                              ;   in Loop: Header=BB8_57 Depth=2
	s_and_not1_saveexec_b32 s41, s41
; %bb.485:                              ;   in Loop: Header=BB8_57 Depth=2
	v_and_b32_e32 v14, 0xffff, v36
	v_or_b32_e32 v37, 0x10000, v36
	s_delay_alu instid0(VALU_DEP_2) | instskip(NEXT) | instid1(VALU_DEP_2)
	v_cmp_eq_u32_e32 vcc_lo, 0, v14
	v_cndmask_b32_e32 v14, v37, v36, vcc_lo
; %bb.486:                              ;   in Loop: Header=BB8_57 Depth=2
	s_or_b32 exec_lo, exec_lo, s41
	v_lshlrev_b32_e32 v36, 16, v15
	s_delay_alu instid0(VALU_DEP_1) | instskip(NEXT) | instid1(VALU_DEP_1)
	v_mul_f32_e32 v37, v21, v36
	v_and_b32_e32 v36, 0x7f800000, v37
	s_delay_alu instid0(VALU_DEP_1) | instskip(SKIP_1) | instid1(SALU_CYCLE_1)
	v_cmp_ne_u32_e32 vcc_lo, 0x7f800000, v36
                                        ; implicit-def: $vgpr36
	s_and_saveexec_b32 s41, vcc_lo
	s_xor_b32 s41, exec_lo, s41
; %bb.487:                              ;   in Loop: Header=BB8_57 Depth=2
	v_bfe_u32 v36, v37, 16, 1
	s_delay_alu instid0(VALU_DEP_1)
	v_add3_u32 v36, v37, v36, 0x7fff
                                        ; implicit-def: $vgpr37
; %bb.488:                              ;   in Loop: Header=BB8_57 Depth=2
	s_and_not1_saveexec_b32 s41, s41
; %bb.489:                              ;   in Loop: Header=BB8_57 Depth=2
	v_and_b32_e32 v36, 0xffff, v37
	v_or_b32_e32 v38, 0x10000, v37
	s_delay_alu instid0(VALU_DEP_2) | instskip(NEXT) | instid1(VALU_DEP_2)
	v_cmp_eq_u32_e32 vcc_lo, 0, v36
	v_cndmask_b32_e32 v36, v38, v37, vcc_lo
; %bb.490:                              ;   in Loop: Header=BB8_57 Depth=2
	s_or_b32 exec_lo, exec_lo, s41
	v_and_b32_e32 v15, 0xffff0000, v15
	s_delay_alu instid0(VALU_DEP_1) | instskip(NEXT) | instid1(VALU_DEP_1)
	v_mul_f32_e32 v37, v21, v15
	v_and_b32_e32 v15, 0x7f800000, v37
	s_delay_alu instid0(VALU_DEP_1) | instskip(SKIP_1) | instid1(SALU_CYCLE_1)
	v_cmp_ne_u32_e32 vcc_lo, 0x7f800000, v15
                                        ; implicit-def: $vgpr15
	s_and_saveexec_b32 s41, vcc_lo
	s_xor_b32 s41, exec_lo, s41
; %bb.491:                              ;   in Loop: Header=BB8_57 Depth=2
	v_bfe_u32 v15, v37, 16, 1
	s_delay_alu instid0(VALU_DEP_1)
	v_add3_u32 v15, v37, v15, 0x7fff
                                        ; implicit-def: $vgpr37
; %bb.492:                              ;   in Loop: Header=BB8_57 Depth=2
	s_and_not1_saveexec_b32 s41, s41
; %bb.493:                              ;   in Loop: Header=BB8_57 Depth=2
	v_and_b32_e32 v15, 0xffff, v37
	v_or_b32_e32 v38, 0x10000, v37
	s_delay_alu instid0(VALU_DEP_2) | instskip(NEXT) | instid1(VALU_DEP_2)
	v_cmp_eq_u32_e32 vcc_lo, 0, v15
	v_cndmask_b32_e32 v15, v38, v37, vcc_lo
; %bb.494:                              ;   in Loop: Header=BB8_57 Depth=2
	s_or_b32 exec_lo, exec_lo, s41
	v_lshlrev_b32_e32 v37, 16, v8
	s_delay_alu instid0(VALU_DEP_1) | instskip(NEXT) | instid1(VALU_DEP_1)
	v_mul_f32_e32 v38, v21, v37
	v_and_b32_e32 v37, 0x7f800000, v38
	s_delay_alu instid0(VALU_DEP_1) | instskip(SKIP_1) | instid1(SALU_CYCLE_1)
	v_cmp_ne_u32_e32 vcc_lo, 0x7f800000, v37
                                        ; implicit-def: $vgpr37
	s_and_saveexec_b32 s41, vcc_lo
	s_xor_b32 s41, exec_lo, s41
; %bb.495:                              ;   in Loop: Header=BB8_57 Depth=2
	v_bfe_u32 v37, v38, 16, 1
	s_delay_alu instid0(VALU_DEP_1)
	v_add3_u32 v37, v38, v37, 0x7fff
                                        ; implicit-def: $vgpr38
; %bb.496:                              ;   in Loop: Header=BB8_57 Depth=2
	s_and_not1_saveexec_b32 s41, s41
; %bb.497:                              ;   in Loop: Header=BB8_57 Depth=2
	v_and_b32_e32 v37, 0xffff, v38
	v_or_b32_e32 v39, 0x10000, v38
	s_delay_alu instid0(VALU_DEP_2) | instskip(NEXT) | instid1(VALU_DEP_2)
	v_cmp_eq_u32_e32 vcc_lo, 0, v37
	v_cndmask_b32_e32 v37, v39, v38, vcc_lo
; %bb.498:                              ;   in Loop: Header=BB8_57 Depth=2
	s_or_b32 exec_lo, exec_lo, s41
	v_and_b32_e32 v8, 0xffff0000, v8
	s_delay_alu instid0(VALU_DEP_1) | instskip(NEXT) | instid1(VALU_DEP_1)
	v_mul_f32_e32 v38, v21, v8
	v_and_b32_e32 v8, 0x7f800000, v38
	s_delay_alu instid0(VALU_DEP_1) | instskip(SKIP_1) | instid1(SALU_CYCLE_1)
	v_cmp_ne_u32_e32 vcc_lo, 0x7f800000, v8
                                        ; implicit-def: $vgpr8
	s_and_saveexec_b32 s41, vcc_lo
	s_xor_b32 s41, exec_lo, s41
; %bb.499:                              ;   in Loop: Header=BB8_57 Depth=2
	v_bfe_u32 v8, v38, 16, 1
	s_delay_alu instid0(VALU_DEP_1)
	v_add3_u32 v8, v38, v8, 0x7fff
                                        ; implicit-def: $vgpr38
; %bb.500:                              ;   in Loop: Header=BB8_57 Depth=2
	s_and_not1_saveexec_b32 s41, s41
; %bb.501:                              ;   in Loop: Header=BB8_57 Depth=2
	v_and_b32_e32 v8, 0xffff, v38
	v_or_b32_e32 v39, 0x10000, v38
	s_delay_alu instid0(VALU_DEP_2) | instskip(NEXT) | instid1(VALU_DEP_2)
	v_cmp_eq_u32_e32 vcc_lo, 0, v8
	v_cndmask_b32_e32 v8, v39, v38, vcc_lo
; %bb.502:                              ;   in Loop: Header=BB8_57 Depth=2
	s_or_b32 exec_lo, exec_lo, s41
	v_lshlrev_b32_e32 v38, 16, v9
	s_delay_alu instid0(VALU_DEP_1) | instskip(NEXT) | instid1(VALU_DEP_1)
	v_mul_f32_e32 v39, v21, v38
	v_and_b32_e32 v38, 0x7f800000, v39
	s_delay_alu instid0(VALU_DEP_1) | instskip(SKIP_1) | instid1(SALU_CYCLE_1)
	v_cmp_ne_u32_e32 vcc_lo, 0x7f800000, v38
                                        ; implicit-def: $vgpr38
	s_and_saveexec_b32 s41, vcc_lo
	s_xor_b32 s41, exec_lo, s41
; %bb.503:                              ;   in Loop: Header=BB8_57 Depth=2
	v_bfe_u32 v38, v39, 16, 1
	s_delay_alu instid0(VALU_DEP_1)
	v_add3_u32 v38, v39, v38, 0x7fff
                                        ; implicit-def: $vgpr39
; %bb.504:                              ;   in Loop: Header=BB8_57 Depth=2
	s_and_not1_saveexec_b32 s41, s41
; %bb.505:                              ;   in Loop: Header=BB8_57 Depth=2
	v_and_b32_e32 v38, 0xffff, v39
	v_or_b32_e32 v48, 0x10000, v39
	s_delay_alu instid0(VALU_DEP_2) | instskip(NEXT) | instid1(VALU_DEP_2)
	v_cmp_eq_u32_e32 vcc_lo, 0, v38
	v_cndmask_b32_e32 v38, v48, v39, vcc_lo
; %bb.506:                              ;   in Loop: Header=BB8_57 Depth=2
	s_or_b32 exec_lo, exec_lo, s41
	v_and_b32_e32 v9, 0xffff0000, v9
	s_delay_alu instid0(VALU_DEP_1) | instskip(NEXT) | instid1(VALU_DEP_1)
	v_mul_f32_e32 v39, v21, v9
	v_and_b32_e32 v9, 0x7f800000, v39
	s_delay_alu instid0(VALU_DEP_1) | instskip(SKIP_1) | instid1(SALU_CYCLE_1)
	v_cmp_ne_u32_e32 vcc_lo, 0x7f800000, v9
                                        ; implicit-def: $vgpr9
	s_and_saveexec_b32 s41, vcc_lo
	s_xor_b32 s41, exec_lo, s41
; %bb.507:                              ;   in Loop: Header=BB8_57 Depth=2
	v_bfe_u32 v9, v39, 16, 1
	s_delay_alu instid0(VALU_DEP_1)
	v_add3_u32 v9, v39, v9, 0x7fff
                                        ; implicit-def: $vgpr39
; %bb.508:                              ;   in Loop: Header=BB8_57 Depth=2
	s_and_not1_saveexec_b32 s41, s41
; %bb.509:                              ;   in Loop: Header=BB8_57 Depth=2
	v_and_b32_e32 v9, 0xffff, v39
	v_or_b32_e32 v48, 0x10000, v39
	s_delay_alu instid0(VALU_DEP_2) | instskip(NEXT) | instid1(VALU_DEP_2)
	v_cmp_eq_u32_e32 vcc_lo, 0, v9
	v_cndmask_b32_e32 v9, v48, v39, vcc_lo
; %bb.510:                              ;   in Loop: Header=BB8_57 Depth=2
	s_or_b32 exec_lo, exec_lo, s41
	v_lshlrev_b32_e32 v39, 16, v10
	s_delay_alu instid0(VALU_DEP_1) | instskip(NEXT) | instid1(VALU_DEP_1)
	v_mul_f32_e32 v48, v21, v39
	v_and_b32_e32 v39, 0x7f800000, v48
	s_delay_alu instid0(VALU_DEP_1) | instskip(SKIP_1) | instid1(SALU_CYCLE_1)
	v_cmp_ne_u32_e32 vcc_lo, 0x7f800000, v39
                                        ; implicit-def: $vgpr39
	s_and_saveexec_b32 s41, vcc_lo
	s_xor_b32 s41, exec_lo, s41
; %bb.511:                              ;   in Loop: Header=BB8_57 Depth=2
	v_bfe_u32 v39, v48, 16, 1
	s_delay_alu instid0(VALU_DEP_1)
	v_add3_u32 v39, v48, v39, 0x7fff
                                        ; implicit-def: $vgpr48
; %bb.512:                              ;   in Loop: Header=BB8_57 Depth=2
	s_and_not1_saveexec_b32 s41, s41
; %bb.513:                              ;   in Loop: Header=BB8_57 Depth=2
	v_and_b32_e32 v39, 0xffff, v48
	v_or_b32_e32 v49, 0x10000, v48
	s_delay_alu instid0(VALU_DEP_2) | instskip(NEXT) | instid1(VALU_DEP_2)
	v_cmp_eq_u32_e32 vcc_lo, 0, v39
	v_cndmask_b32_e32 v39, v49, v48, vcc_lo
; %bb.514:                              ;   in Loop: Header=BB8_57 Depth=2
	s_or_b32 exec_lo, exec_lo, s41
	v_and_b32_e32 v10, 0xffff0000, v10
	s_delay_alu instid0(VALU_DEP_1) | instskip(NEXT) | instid1(VALU_DEP_1)
	v_mul_f32_e32 v48, v21, v10
	v_and_b32_e32 v10, 0x7f800000, v48
	s_delay_alu instid0(VALU_DEP_1) | instskip(SKIP_1) | instid1(SALU_CYCLE_1)
	v_cmp_ne_u32_e32 vcc_lo, 0x7f800000, v10
                                        ; implicit-def: $vgpr10
	s_and_saveexec_b32 s41, vcc_lo
	s_xor_b32 s41, exec_lo, s41
; %bb.515:                              ;   in Loop: Header=BB8_57 Depth=2
	v_bfe_u32 v10, v48, 16, 1
	s_delay_alu instid0(VALU_DEP_1)
	v_add3_u32 v10, v48, v10, 0x7fff
                                        ; implicit-def: $vgpr48
; %bb.516:                              ;   in Loop: Header=BB8_57 Depth=2
	s_and_not1_saveexec_b32 s41, s41
; %bb.517:                              ;   in Loop: Header=BB8_57 Depth=2
	v_and_b32_e32 v10, 0xffff, v48
	v_or_b32_e32 v49, 0x10000, v48
	s_delay_alu instid0(VALU_DEP_2) | instskip(NEXT) | instid1(VALU_DEP_2)
	v_cmp_eq_u32_e32 vcc_lo, 0, v10
	v_cndmask_b32_e32 v10, v49, v48, vcc_lo
; %bb.518:                              ;   in Loop: Header=BB8_57 Depth=2
	s_or_b32 exec_lo, exec_lo, s41
	v_lshlrev_b32_e32 v48, 16, v11
	s_delay_alu instid0(VALU_DEP_1) | instskip(NEXT) | instid1(VALU_DEP_1)
	v_mul_f32_e32 v49, v21, v48
	v_and_b32_e32 v48, 0x7f800000, v49
	s_delay_alu instid0(VALU_DEP_1) | instskip(SKIP_1) | instid1(SALU_CYCLE_1)
	v_cmp_ne_u32_e32 vcc_lo, 0x7f800000, v48
                                        ; implicit-def: $vgpr48
	s_and_saveexec_b32 s41, vcc_lo
	s_xor_b32 s41, exec_lo, s41
; %bb.519:                              ;   in Loop: Header=BB8_57 Depth=2
	v_bfe_u32 v48, v49, 16, 1
	s_delay_alu instid0(VALU_DEP_1)
	v_add3_u32 v48, v49, v48, 0x7fff
                                        ; implicit-def: $vgpr49
; %bb.520:                              ;   in Loop: Header=BB8_57 Depth=2
	s_and_not1_saveexec_b32 s41, s41
; %bb.521:                              ;   in Loop: Header=BB8_57 Depth=2
	v_and_b32_e32 v48, 0xffff, v49
	v_or_b32_e32 v50, 0x10000, v49
	s_delay_alu instid0(VALU_DEP_2) | instskip(NEXT) | instid1(VALU_DEP_2)
	v_cmp_eq_u32_e32 vcc_lo, 0, v48
	v_cndmask_b32_e32 v48, v50, v49, vcc_lo
; %bb.522:                              ;   in Loop: Header=BB8_57 Depth=2
	s_or_b32 exec_lo, exec_lo, s41
	v_and_b32_e32 v11, 0xffff0000, v11
	s_delay_alu instid0(VALU_DEP_1) | instskip(NEXT) | instid1(VALU_DEP_1)
	v_mul_f32_e32 v21, v21, v11
	v_and_b32_e32 v11, 0x7f800000, v21
	s_delay_alu instid0(VALU_DEP_1) | instskip(SKIP_1) | instid1(SALU_CYCLE_1)
	v_cmp_ne_u32_e32 vcc_lo, 0x7f800000, v11
                                        ; implicit-def: $vgpr11
	s_and_saveexec_b32 s41, vcc_lo
	s_xor_b32 s41, exec_lo, s41
; %bb.523:                              ;   in Loop: Header=BB8_57 Depth=2
	v_bfe_u32 v11, v21, 16, 1
	s_delay_alu instid0(VALU_DEP_1)
	v_add3_u32 v11, v21, v11, 0x7fff
                                        ; implicit-def: $vgpr21
; %bb.524:                              ;   in Loop: Header=BB8_57 Depth=2
	s_and_not1_saveexec_b32 s41, s41
; %bb.525:                              ;   in Loop: Header=BB8_57 Depth=2
	v_and_b32_e32 v11, 0xffff, v21
	v_or_b32_e32 v49, 0x10000, v21
	s_delay_alu instid0(VALU_DEP_2) | instskip(NEXT) | instid1(VALU_DEP_2)
	v_cmp_eq_u32_e32 vcc_lo, 0, v11
	v_cndmask_b32_e32 v11, v49, v21, vcc_lo
; %bb.526:                              ;   in Loop: Header=BB8_57 Depth=2
	s_or_b32 exec_lo, exec_lo, s41
	v_dual_lshrrev_b32 v5, 16, v5 :: v_dual_lshrrev_b32 v21, 16, v35
	v_dual_lshrrev_b32 v35, 16, v13 :: v_dual_lshrrev_b32 v36, 16, v36
	v_lshrrev_b32_e32 v34, 16, v34
	s_delay_alu instid0(VALU_DEP_3) | instskip(SKIP_4) | instid1(VALU_DEP_4)
	v_and_or_b32 v13, 0xffff0000, v12, v5
	v_lshrrev_b32_e32 v5, 16, v33
	v_and_or_b32 v12, 0xffff0000, v4, v21
	v_dual_lshrrev_b32 v4, 16, v28 :: v_dual_lshrrev_b32 v21, 16, v23
	v_lshrrev_b32_e32 v20, 16, v20
	v_and_or_b32 v16, 0xffff0000, v16, v5
	v_lshrrev_b32_e32 v5, 16, v29
	v_lshrrev_b32_e32 v23, 16, v25
	v_and_or_b32 v18, 0xffff0000, v18, v4
	v_lshrrev_b32_e32 v4, 16, v27
	v_and_or_b32 v21, 0xffff0000, v24, v21
	v_and_or_b32 v19, 0xffff0000, v19, v5
	;; [unrolled: 1-line block ×4, first 2 shown]
	v_dual_lshrrev_b32 v5, 16, v38 :: v_dual_lshrrev_b32 v24, 16, v37
	v_dual_lshrrev_b32 v25, 16, v39 :: v_dual_lshrrev_b32 v26, 16, v48
	v_and_or_b32 v23, 0xffff0000, v32, v4
	v_and_or_b32 v17, 0xffff0000, v17, v34
	;; [unrolled: 1-line block ×8, first 2 shown]
	s_clause 0x3
	global_store_b128 v[90:91], v[20:23], off th:TH_STORE_NT
	global_store_b128 v[90:91], v[16:19], off offset:512 th:TH_STORE_NT
	global_store_b128 v[90:91], v[12:15], off offset:1024 th:TH_STORE_NT
	;; [unrolled: 1-line block ×3, first 2 shown]
.LBB8_527:                              ;   in Loop: Header=BB8_57 Depth=2
	s_wait_xcnt 0x0
	s_or_b32 exec_lo, exec_lo, s13
	v_lshlrev_b32_e32 v20, 11, v75
	s_mov_b32 s41, exec_lo
                                        ; implicit-def: $vgpr12
                                        ; implicit-def: $vgpr4
                                        ; implicit-def: $vgpr13
	s_delay_alu instid0(VALU_DEP_1)
	v_cmpx_ne_u32_e64 v73, v20
	s_cbranch_execz .LBB8_639
; %bb.528:                              ;   in Loop: Header=BB8_57 Depth=2
	v_lshlrev_b32_e32 v4, 5, v95
	s_mov_b32 s75, 0
	s_mov_b32 s74, exec_lo
	v_sub_nc_u32_e32 v8, v73, v20
	s_delay_alu instid0(VALU_DEP_2) | instskip(NEXT) | instid1(VALU_DEP_1)
	v_sub_nc_u32_e32 v4, v109, v4
	v_ashrrev_i32_e32 v5, 31, v4
	s_delay_alu instid0(VALU_DEP_1) | instskip(NEXT) | instid1(VALU_DEP_1)
	v_lshrrev_b32_e32 v5, 27, v5
	v_add_nc_u32_e32 v5, v4, v5
	s_delay_alu instid0(VALU_DEP_1) | instskip(SKIP_1) | instid1(VALU_DEP_2)
	v_and_b32_e32 v9, 0xffffffe0, v5
	v_ashrrev_i32_e32 v5, 5, v5
	v_dual_sub_nc_u32 v21, v4, v9 :: v_dual_ashrrev_i32 v10, 31, v8
	s_delay_alu instid0(VALU_DEP_1) | instskip(NEXT) | instid1(VALU_DEP_1)
	v_lshlrev_b32_e32 v9, 4, v21
	v_lshl_add_u32 v9, v5, 9, v9
	s_delay_alu instid0(VALU_DEP_1) | instskip(NEXT) | instid1(VALU_DEP_1)
	v_dual_lshrrev_b32 v4, 23, v10 :: v_dual_add_nc_u32 v10, v9, v20
	v_dual_add_nc_u32 v4, v8, v4 :: v_dual_sub_nc_u32 v25, v8, v9
	s_delay_alu instid0(VALU_DEP_2) | instskip(NEXT) | instid1(VALU_DEP_2)
	v_ashrrev_i32_e32 v11, 31, v10
	v_and_b32_e32 v22, 0xfffffe00, v4
	s_delay_alu instid0(VALU_DEP_2) | instskip(NEXT) | instid1(VALU_DEP_2)
	v_add_nc_u64_e32 v[16:17], v[10:11], v[88:89]
	v_dual_sub_nc_u32 v23, v8, v22 :: v_dual_ashrrev_i32 v4, 9, v4
                                        ; implicit-def: $vgpr8_vgpr9
	s_delay_alu instid0(VALU_DEP_1) | instskip(NEXT) | instid1(VALU_DEP_2)
	v_cmp_lt_i32_e32 vcc_lo, 15, v23
	v_add_co_ci_u32_e64 v4, null, 0, v4, vcc_lo
	s_delay_alu instid0(VALU_DEP_1)
	v_sub_nc_u32_e32 v24, v4, v5
	v_cmpx_lt_i32_e32 15, v25
	s_cbranch_execz .LBB8_602
; %bb.529:                              ;   in Loop: Header=BB8_57 Depth=2
	s_trap 2
	ds_load_b32 v4, v0
	v_add_nc_u64_e32 v[18:19], v[10:11], v[78:79]
	s_mov_b32 s77, 0
                                        ; implicit-def: $sgpr76
                                        ; implicit-def: $vgpr8_vgpr9
	s_wait_dscnt 0x0
	v_lshlrev_b32_e32 v26, 16, v4
	s_branch .LBB8_531
.LBB8_530:                              ;   in Loop: Header=BB8_531 Depth=3
	s_or_b32 exec_lo, exec_lo, s13
	s_delay_alu instid0(VALU_DEP_1) | instskip(SKIP_3) | instid1(SALU_CYCLE_1)
	v_cmp_gt_i32_e64 s13, 16, v25
	s_or_b32 s75, s13, s75
	s_and_not1_b32 s13, s76, exec_lo
	s_and_b32 s76, s77, exec_lo
	s_or_b32 s76, s13, s76
	s_and_not1_b32 exec_lo, exec_lo, s75
	s_cbranch_execz .LBB8_601
.LBB8_531:                              ;   Parent Loop BB8_47 Depth=1
                                        ;     Parent Loop BB8_57 Depth=2
                                        ; =>    This Inner Loop Header: Depth=3
	global_load_b128 v[12:15], v[18:19], off th:TH_LOAD_NT
	s_wait_xcnt 0x0
	s_and_saveexec_b32 s78, s77
	s_cbranch_execz .LBB8_565
; %bb.532:                              ;   in Loop: Header=BB8_531 Depth=3
	v_lshlrev_b32_e32 v4, 16, v8
	s_delay_alu instid0(VALU_DEP_1) | instskip(NEXT) | instid1(VALU_DEP_1)
	v_mul_f32_e32 v5, v26, v4
	v_and_b32_e32 v4, 0x7f800000, v5
	s_delay_alu instid0(VALU_DEP_1) | instskip(SKIP_1) | instid1(SALU_CYCLE_1)
	v_cmp_ne_u32_e64 s13, 0x7f800000, v4
                                        ; implicit-def: $vgpr4
	s_and_saveexec_b32 s77, s13
	s_xor_b32 s13, exec_lo, s77
; %bb.533:                              ;   in Loop: Header=BB8_531 Depth=3
	v_bfe_u32 v4, v5, 16, 1
	s_delay_alu instid0(VALU_DEP_1)
	v_add3_u32 v4, v5, v4, 0x7fff
                                        ; implicit-def: $vgpr5
; %bb.534:                              ;   in Loop: Header=BB8_531 Depth=3
	s_and_not1_saveexec_b32 s77, s13
; %bb.535:                              ;   in Loop: Header=BB8_531 Depth=3
	v_and_b32_e32 v4, 0xffff, v5
	v_or_b32_e32 v27, 0x10000, v5
	s_delay_alu instid0(VALU_DEP_2) | instskip(NEXT) | instid1(VALU_DEP_1)
	v_cmp_eq_u32_e64 s13, 0, v4
	v_cndmask_b32_e64 v4, v27, v5, s13
; %bb.536:                              ;   in Loop: Header=BB8_531 Depth=3
	s_or_b32 exec_lo, exec_lo, s77
	v_and_b32_e32 v5, 0xffff0000, v8
	s_delay_alu instid0(VALU_DEP_1) | instskip(NEXT) | instid1(VALU_DEP_1)
	v_mul_f32_e32 v8, v26, v5
	v_and_b32_e32 v5, 0x7f800000, v8
	s_delay_alu instid0(VALU_DEP_1) | instskip(SKIP_1) | instid1(SALU_CYCLE_1)
	v_cmp_ne_u32_e64 s13, 0x7f800000, v5
                                        ; implicit-def: $vgpr5
	s_and_saveexec_b32 s77, s13
	s_xor_b32 s13, exec_lo, s77
; %bb.537:                              ;   in Loop: Header=BB8_531 Depth=3
	v_bfe_u32 v5, v8, 16, 1
	s_delay_alu instid0(VALU_DEP_1)
	v_add3_u32 v5, v8, v5, 0x7fff
                                        ; implicit-def: $vgpr8
; %bb.538:                              ;   in Loop: Header=BB8_531 Depth=3
	s_and_not1_saveexec_b32 s77, s13
; %bb.539:                              ;   in Loop: Header=BB8_531 Depth=3
	v_and_b32_e32 v5, 0xffff, v8
	v_or_b32_e32 v27, 0x10000, v8
	s_delay_alu instid0(VALU_DEP_2) | instskip(NEXT) | instid1(VALU_DEP_1)
	v_cmp_eq_u32_e64 s13, 0, v5
	v_cndmask_b32_e64 v5, v27, v8, s13
; %bb.540:                              ;   in Loop: Header=BB8_531 Depth=3
	s_or_b32 exec_lo, exec_lo, s77
	v_lshlrev_b32_e32 v8, 16, v9
	s_delay_alu instid0(VALU_DEP_1) | instskip(NEXT) | instid1(VALU_DEP_1)
	v_mul_f32_e32 v27, v26, v8
	v_and_b32_e32 v8, 0x7f800000, v27
	s_delay_alu instid0(VALU_DEP_1) | instskip(SKIP_1) | instid1(SALU_CYCLE_1)
	v_cmp_ne_u32_e64 s13, 0x7f800000, v8
                                        ; implicit-def: $vgpr8
	s_and_saveexec_b32 s77, s13
	s_xor_b32 s13, exec_lo, s77
; %bb.541:                              ;   in Loop: Header=BB8_531 Depth=3
	v_bfe_u32 v8, v27, 16, 1
	s_delay_alu instid0(VALU_DEP_1)
	v_add3_u32 v8, v27, v8, 0x7fff
                                        ; implicit-def: $vgpr27
; %bb.542:                              ;   in Loop: Header=BB8_531 Depth=3
	s_and_not1_saveexec_b32 s77, s13
; %bb.543:                              ;   in Loop: Header=BB8_531 Depth=3
	v_and_b32_e32 v8, 0xffff, v27
	v_or_b32_e32 v28, 0x10000, v27
	s_delay_alu instid0(VALU_DEP_2) | instskip(NEXT) | instid1(VALU_DEP_1)
	v_cmp_eq_u32_e64 s13, 0, v8
	v_cndmask_b32_e64 v8, v28, v27, s13
; %bb.544:                              ;   in Loop: Header=BB8_531 Depth=3
	s_or_b32 exec_lo, exec_lo, s77
	v_and_b32_e32 v9, 0xffff0000, v9
	s_delay_alu instid0(VALU_DEP_1) | instskip(NEXT) | instid1(VALU_DEP_1)
	v_mul_f32_e32 v27, v26, v9
	v_and_b32_e32 v9, 0x7f800000, v27
	s_delay_alu instid0(VALU_DEP_1) | instskip(SKIP_1) | instid1(SALU_CYCLE_1)
	v_cmp_ne_u32_e64 s13, 0x7f800000, v9
                                        ; implicit-def: $vgpr9
	s_and_saveexec_b32 s77, s13
	s_xor_b32 s13, exec_lo, s77
; %bb.545:                              ;   in Loop: Header=BB8_531 Depth=3
	v_bfe_u32 v9, v27, 16, 1
	s_delay_alu instid0(VALU_DEP_1)
	v_add3_u32 v9, v27, v9, 0x7fff
                                        ; implicit-def: $vgpr27
; %bb.546:                              ;   in Loop: Header=BB8_531 Depth=3
	s_and_not1_saveexec_b32 s77, s13
; %bb.547:                              ;   in Loop: Header=BB8_531 Depth=3
	v_and_b32_e32 v9, 0xffff, v27
	v_or_b32_e32 v28, 0x10000, v27
	s_delay_alu instid0(VALU_DEP_2) | instskip(NEXT) | instid1(VALU_DEP_1)
	v_cmp_eq_u32_e64 s13, 0, v9
	v_cndmask_b32_e64 v9, v28, v27, s13
; %bb.548:                              ;   in Loop: Header=BB8_531 Depth=3
	s_or_b32 exec_lo, exec_lo, s77
	v_lshlrev_b32_e32 v27, 16, v10
	s_delay_alu instid0(VALU_DEP_1) | instskip(NEXT) | instid1(VALU_DEP_1)
	v_mul_f32_e32 v28, v26, v27
	v_and_b32_e32 v27, 0x7f800000, v28
	s_delay_alu instid0(VALU_DEP_1) | instskip(SKIP_1) | instid1(SALU_CYCLE_1)
	v_cmp_ne_u32_e64 s13, 0x7f800000, v27
                                        ; implicit-def: $vgpr27
	s_and_saveexec_b32 s77, s13
	s_xor_b32 s13, exec_lo, s77
; %bb.549:                              ;   in Loop: Header=BB8_531 Depth=3
	v_bfe_u32 v27, v28, 16, 1
	s_delay_alu instid0(VALU_DEP_1)
	v_add3_u32 v27, v28, v27, 0x7fff
                                        ; implicit-def: $vgpr28
; %bb.550:                              ;   in Loop: Header=BB8_531 Depth=3
	s_and_not1_saveexec_b32 s77, s13
; %bb.551:                              ;   in Loop: Header=BB8_531 Depth=3
	v_and_b32_e32 v27, 0xffff, v28
	v_or_b32_e32 v29, 0x10000, v28
	s_delay_alu instid0(VALU_DEP_2) | instskip(NEXT) | instid1(VALU_DEP_1)
	v_cmp_eq_u32_e64 s13, 0, v27
	v_cndmask_b32_e64 v27, v29, v28, s13
; %bb.552:                              ;   in Loop: Header=BB8_531 Depth=3
	s_or_b32 exec_lo, exec_lo, s77
	v_and_b32_e32 v10, 0xffff0000, v10
	s_delay_alu instid0(VALU_DEP_1) | instskip(NEXT) | instid1(VALU_DEP_1)
	v_mul_f32_e32 v28, v26, v10
	v_and_b32_e32 v10, 0x7f800000, v28
	s_delay_alu instid0(VALU_DEP_1) | instskip(SKIP_1) | instid1(SALU_CYCLE_1)
	v_cmp_ne_u32_e64 s13, 0x7f800000, v10
                                        ; implicit-def: $vgpr10
	s_and_saveexec_b32 s77, s13
	s_xor_b32 s13, exec_lo, s77
; %bb.553:                              ;   in Loop: Header=BB8_531 Depth=3
	v_bfe_u32 v10, v28, 16, 1
	s_delay_alu instid0(VALU_DEP_1)
	v_add3_u32 v10, v28, v10, 0x7fff
                                        ; implicit-def: $vgpr28
; %bb.554:                              ;   in Loop: Header=BB8_531 Depth=3
	s_and_not1_saveexec_b32 s77, s13
; %bb.555:                              ;   in Loop: Header=BB8_531 Depth=3
	v_and_b32_e32 v10, 0xffff, v28
	v_or_b32_e32 v29, 0x10000, v28
	s_delay_alu instid0(VALU_DEP_2) | instskip(NEXT) | instid1(VALU_DEP_1)
	v_cmp_eq_u32_e64 s13, 0, v10
	v_cndmask_b32_e64 v10, v29, v28, s13
; %bb.556:                              ;   in Loop: Header=BB8_531 Depth=3
	s_or_b32 exec_lo, exec_lo, s77
	v_lshlrev_b32_e32 v28, 16, v11
	s_delay_alu instid0(VALU_DEP_1) | instskip(NEXT) | instid1(VALU_DEP_1)
	v_mul_f32_e32 v29, v26, v28
	v_and_b32_e32 v28, 0x7f800000, v29
	s_delay_alu instid0(VALU_DEP_1) | instskip(SKIP_1) | instid1(SALU_CYCLE_1)
	v_cmp_ne_u32_e64 s13, 0x7f800000, v28
                                        ; implicit-def: $vgpr28
	s_and_saveexec_b32 s77, s13
	s_xor_b32 s13, exec_lo, s77
; %bb.557:                              ;   in Loop: Header=BB8_531 Depth=3
	v_bfe_u32 v28, v29, 16, 1
	s_delay_alu instid0(VALU_DEP_1)
	v_add3_u32 v28, v29, v28, 0x7fff
                                        ; implicit-def: $vgpr29
; %bb.558:                              ;   in Loop: Header=BB8_531 Depth=3
	s_and_not1_saveexec_b32 s77, s13
; %bb.559:                              ;   in Loop: Header=BB8_531 Depth=3
	v_and_b32_e32 v28, 0xffff, v29
	v_or_b32_e32 v32, 0x10000, v29
	s_delay_alu instid0(VALU_DEP_2) | instskip(NEXT) | instid1(VALU_DEP_1)
	v_cmp_eq_u32_e64 s13, 0, v28
	v_cndmask_b32_e64 v28, v32, v29, s13
; %bb.560:                              ;   in Loop: Header=BB8_531 Depth=3
	s_or_b32 exec_lo, exec_lo, s77
	v_and_b32_e32 v11, 0xffff0000, v11
	s_delay_alu instid0(VALU_DEP_1) | instskip(NEXT) | instid1(VALU_DEP_1)
	v_mul_f32_e32 v29, v26, v11
	v_and_b32_e32 v11, 0x7f800000, v29
	s_delay_alu instid0(VALU_DEP_1) | instskip(SKIP_1) | instid1(SALU_CYCLE_1)
	v_cmp_ne_u32_e64 s13, 0x7f800000, v11
                                        ; implicit-def: $vgpr11
	s_and_saveexec_b32 s77, s13
	s_xor_b32 s13, exec_lo, s77
; %bb.561:                              ;   in Loop: Header=BB8_531 Depth=3
	v_bfe_u32 v11, v29, 16, 1
	s_delay_alu instid0(VALU_DEP_1)
	v_add3_u32 v11, v29, v11, 0x7fff
                                        ; implicit-def: $vgpr29
; %bb.562:                              ;   in Loop: Header=BB8_531 Depth=3
	s_and_not1_saveexec_b32 s77, s13
; %bb.563:                              ;   in Loop: Header=BB8_531 Depth=3
	v_and_b32_e32 v11, 0xffff, v29
	v_or_b32_e32 v32, 0x10000, v29
	s_delay_alu instid0(VALU_DEP_2) | instskip(NEXT) | instid1(VALU_DEP_1)
	v_cmp_eq_u32_e64 s13, 0, v11
	v_cndmask_b32_e64 v11, v32, v29, s13
; %bb.564:                              ;   in Loop: Header=BB8_531 Depth=3
	s_or_b32 exec_lo, exec_lo, s77
	v_dual_lshrrev_b32 v8, 16, v8 :: v_dual_lshrrev_b32 v27, 16, v27
	v_lshrrev_b32_e32 v4, 16, v4
	v_lshrrev_b32_e32 v28, 16, v28
	s_delay_alu instid0(VALU_DEP_3) | instskip(NEXT) | instid1(VALU_DEP_4)
	v_and_or_b32 v9, 0xffff0000, v9, v8
	v_and_or_b32 v10, 0xffff0000, v10, v27
	s_delay_alu instid0(VALU_DEP_4) | instskip(NEXT) | instid1(VALU_DEP_4)
	v_and_or_b32 v8, 0xffff0000, v5, v4
	v_and_or_b32 v11, 0xffff0000, v11, v28
	global_store_b128 v[16:17], v[8:11], off th:TH_STORE_NT
	s_wait_xcnt 0x0
	v_add_nc_u64_e32 v[16:17], v[16:17], v[44:45]
.LBB8_565:                              ;   in Loop: Header=BB8_531 Depth=3
	s_or_b32 exec_lo, exec_lo, s78
	v_sub_nc_u32_e32 v25, v25, v122
	v_add_nc_u64_e32 v[18:19], v[18:19], v[44:45]
	s_delay_alu instid0(VALU_DEP_2)
	v_cmp_lt_i32_e64 s77, 15, v25
	s_and_saveexec_b32 s13, s77
	s_cbranch_execz .LBB8_567
; %bb.566:                              ;   in Loop: Header=BB8_531 Depth=3
	global_load_b128 v[8:11], v[18:19], off th:TH_LOAD_NT
	s_wait_xcnt 0x0
	v_add_nc_u64_e32 v[18:19], 0x200, v[18:19]
.LBB8_567:                              ;   in Loop: Header=BB8_531 Depth=3
	s_or_b32 exec_lo, exec_lo, s13
	s_wait_loadcnt 0x0
	v_lshlrev_b32_e32 v4, 16, v12
	s_delay_alu instid0(VALU_DEP_1) | instskip(NEXT) | instid1(VALU_DEP_1)
	v_mul_f32_e32 v5, v26, v4
	v_and_b32_e32 v4, 0x7f800000, v5
	s_delay_alu instid0(VALU_DEP_1) | instskip(SKIP_1) | instid1(SALU_CYCLE_1)
	v_cmp_ne_u32_e64 s13, 0x7f800000, v4
                                        ; implicit-def: $vgpr4
	s_and_saveexec_b32 s78, s13
	s_xor_b32 s13, exec_lo, s78
; %bb.568:                              ;   in Loop: Header=BB8_531 Depth=3
	v_bfe_u32 v4, v5, 16, 1
	s_delay_alu instid0(VALU_DEP_1)
	v_add3_u32 v4, v5, v4, 0x7fff
                                        ; implicit-def: $vgpr5
; %bb.569:                              ;   in Loop: Header=BB8_531 Depth=3
	s_and_not1_saveexec_b32 s78, s13
; %bb.570:                              ;   in Loop: Header=BB8_531 Depth=3
	v_and_b32_e32 v4, 0xffff, v5
	v_or_b32_e32 v27, 0x10000, v5
	s_delay_alu instid0(VALU_DEP_2) | instskip(NEXT) | instid1(VALU_DEP_1)
	v_cmp_eq_u32_e64 s13, 0, v4
	v_cndmask_b32_e64 v4, v27, v5, s13
; %bb.571:                              ;   in Loop: Header=BB8_531 Depth=3
	s_or_b32 exec_lo, exec_lo, s78
	v_and_b32_e32 v5, 0xffff0000, v12
	s_delay_alu instid0(VALU_DEP_1) | instskip(NEXT) | instid1(VALU_DEP_1)
	v_mul_f32_e32 v12, v26, v5
	v_and_b32_e32 v5, 0x7f800000, v12
	s_delay_alu instid0(VALU_DEP_1) | instskip(SKIP_1) | instid1(SALU_CYCLE_1)
	v_cmp_ne_u32_e64 s13, 0x7f800000, v5
                                        ; implicit-def: $vgpr5
	s_and_saveexec_b32 s78, s13
	s_xor_b32 s13, exec_lo, s78
; %bb.572:                              ;   in Loop: Header=BB8_531 Depth=3
	v_bfe_u32 v5, v12, 16, 1
	s_delay_alu instid0(VALU_DEP_1)
	v_add3_u32 v5, v12, v5, 0x7fff
                                        ; implicit-def: $vgpr12
; %bb.573:                              ;   in Loop: Header=BB8_531 Depth=3
	s_and_not1_saveexec_b32 s78, s13
; %bb.574:                              ;   in Loop: Header=BB8_531 Depth=3
	v_and_b32_e32 v5, 0xffff, v12
	v_or_b32_e32 v27, 0x10000, v12
	s_delay_alu instid0(VALU_DEP_2) | instskip(NEXT) | instid1(VALU_DEP_1)
	v_cmp_eq_u32_e64 s13, 0, v5
	v_cndmask_b32_e64 v5, v27, v12, s13
; %bb.575:                              ;   in Loop: Header=BB8_531 Depth=3
	s_or_b32 exec_lo, exec_lo, s78
	v_lshlrev_b32_e32 v12, 16, v13
	s_delay_alu instid0(VALU_DEP_1) | instskip(NEXT) | instid1(VALU_DEP_1)
	v_mul_f32_e32 v27, v26, v12
	v_and_b32_e32 v12, 0x7f800000, v27
	s_delay_alu instid0(VALU_DEP_1) | instskip(SKIP_1) | instid1(SALU_CYCLE_1)
	v_cmp_ne_u32_e64 s13, 0x7f800000, v12
                                        ; implicit-def: $vgpr12
	s_and_saveexec_b32 s78, s13
	s_xor_b32 s13, exec_lo, s78
; %bb.576:                              ;   in Loop: Header=BB8_531 Depth=3
	v_bfe_u32 v12, v27, 16, 1
	s_delay_alu instid0(VALU_DEP_1)
	v_add3_u32 v12, v27, v12, 0x7fff
                                        ; implicit-def: $vgpr27
; %bb.577:                              ;   in Loop: Header=BB8_531 Depth=3
	s_and_not1_saveexec_b32 s78, s13
; %bb.578:                              ;   in Loop: Header=BB8_531 Depth=3
	v_and_b32_e32 v12, 0xffff, v27
	v_or_b32_e32 v28, 0x10000, v27
	s_delay_alu instid0(VALU_DEP_2) | instskip(NEXT) | instid1(VALU_DEP_1)
	v_cmp_eq_u32_e64 s13, 0, v12
	v_cndmask_b32_e64 v12, v28, v27, s13
; %bb.579:                              ;   in Loop: Header=BB8_531 Depth=3
	s_or_b32 exec_lo, exec_lo, s78
	v_and_b32_e32 v13, 0xffff0000, v13
	s_delay_alu instid0(VALU_DEP_1) | instskip(NEXT) | instid1(VALU_DEP_1)
	v_mul_f32_e32 v27, v26, v13
	v_and_b32_e32 v13, 0x7f800000, v27
	s_delay_alu instid0(VALU_DEP_1) | instskip(SKIP_1) | instid1(SALU_CYCLE_1)
	v_cmp_ne_u32_e64 s13, 0x7f800000, v13
                                        ; implicit-def: $vgpr13
	s_and_saveexec_b32 s78, s13
	s_xor_b32 s13, exec_lo, s78
; %bb.580:                              ;   in Loop: Header=BB8_531 Depth=3
	v_bfe_u32 v13, v27, 16, 1
	s_delay_alu instid0(VALU_DEP_1)
	v_add3_u32 v13, v27, v13, 0x7fff
                                        ; implicit-def: $vgpr27
; %bb.581:                              ;   in Loop: Header=BB8_531 Depth=3
	s_and_not1_saveexec_b32 s78, s13
; %bb.582:                              ;   in Loop: Header=BB8_531 Depth=3
	v_and_b32_e32 v13, 0xffff, v27
	v_or_b32_e32 v28, 0x10000, v27
	s_delay_alu instid0(VALU_DEP_2) | instskip(NEXT) | instid1(VALU_DEP_1)
	v_cmp_eq_u32_e64 s13, 0, v13
	v_cndmask_b32_e64 v13, v28, v27, s13
; %bb.583:                              ;   in Loop: Header=BB8_531 Depth=3
	s_or_b32 exec_lo, exec_lo, s78
	v_lshlrev_b32_e32 v27, 16, v14
	s_delay_alu instid0(VALU_DEP_1) | instskip(NEXT) | instid1(VALU_DEP_1)
	v_mul_f32_e32 v28, v26, v27
	v_and_b32_e32 v27, 0x7f800000, v28
	s_delay_alu instid0(VALU_DEP_1) | instskip(SKIP_1) | instid1(SALU_CYCLE_1)
	v_cmp_ne_u32_e64 s13, 0x7f800000, v27
                                        ; implicit-def: $vgpr27
	s_and_saveexec_b32 s78, s13
	s_xor_b32 s13, exec_lo, s78
; %bb.584:                              ;   in Loop: Header=BB8_531 Depth=3
	v_bfe_u32 v27, v28, 16, 1
	s_delay_alu instid0(VALU_DEP_1)
	v_add3_u32 v27, v28, v27, 0x7fff
                                        ; implicit-def: $vgpr28
; %bb.585:                              ;   in Loop: Header=BB8_531 Depth=3
	s_and_not1_saveexec_b32 s78, s13
; %bb.586:                              ;   in Loop: Header=BB8_531 Depth=3
	v_and_b32_e32 v27, 0xffff, v28
	v_or_b32_e32 v29, 0x10000, v28
	s_delay_alu instid0(VALU_DEP_2) | instskip(NEXT) | instid1(VALU_DEP_1)
	v_cmp_eq_u32_e64 s13, 0, v27
	v_cndmask_b32_e64 v27, v29, v28, s13
; %bb.587:                              ;   in Loop: Header=BB8_531 Depth=3
	s_or_b32 exec_lo, exec_lo, s78
	v_and_b32_e32 v14, 0xffff0000, v14
	s_delay_alu instid0(VALU_DEP_1) | instskip(NEXT) | instid1(VALU_DEP_1)
	v_mul_f32_e32 v28, v26, v14
	v_and_b32_e32 v14, 0x7f800000, v28
	s_delay_alu instid0(VALU_DEP_1) | instskip(SKIP_1) | instid1(SALU_CYCLE_1)
	v_cmp_ne_u32_e64 s13, 0x7f800000, v14
                                        ; implicit-def: $vgpr14
	s_and_saveexec_b32 s78, s13
	s_xor_b32 s13, exec_lo, s78
; %bb.588:                              ;   in Loop: Header=BB8_531 Depth=3
	v_bfe_u32 v14, v28, 16, 1
	s_delay_alu instid0(VALU_DEP_1)
	v_add3_u32 v14, v28, v14, 0x7fff
                                        ; implicit-def: $vgpr28
; %bb.589:                              ;   in Loop: Header=BB8_531 Depth=3
	s_and_not1_saveexec_b32 s78, s13
; %bb.590:                              ;   in Loop: Header=BB8_531 Depth=3
	v_and_b32_e32 v14, 0xffff, v28
	v_or_b32_e32 v29, 0x10000, v28
	s_delay_alu instid0(VALU_DEP_2) | instskip(NEXT) | instid1(VALU_DEP_1)
	v_cmp_eq_u32_e64 s13, 0, v14
	v_cndmask_b32_e64 v14, v29, v28, s13
; %bb.591:                              ;   in Loop: Header=BB8_531 Depth=3
	s_or_b32 exec_lo, exec_lo, s78
	v_lshlrev_b32_e32 v28, 16, v15
	s_delay_alu instid0(VALU_DEP_1) | instskip(NEXT) | instid1(VALU_DEP_1)
	v_mul_f32_e32 v29, v26, v28
	v_and_b32_e32 v28, 0x7f800000, v29
	s_delay_alu instid0(VALU_DEP_1) | instskip(SKIP_1) | instid1(SALU_CYCLE_1)
	v_cmp_ne_u32_e64 s13, 0x7f800000, v28
                                        ; implicit-def: $vgpr28
	s_and_saveexec_b32 s78, s13
	s_xor_b32 s13, exec_lo, s78
; %bb.592:                              ;   in Loop: Header=BB8_531 Depth=3
	v_bfe_u32 v28, v29, 16, 1
	s_delay_alu instid0(VALU_DEP_1)
	v_add3_u32 v28, v29, v28, 0x7fff
                                        ; implicit-def: $vgpr29
; %bb.593:                              ;   in Loop: Header=BB8_531 Depth=3
	s_and_not1_saveexec_b32 s78, s13
; %bb.594:                              ;   in Loop: Header=BB8_531 Depth=3
	v_and_b32_e32 v28, 0xffff, v29
	v_or_b32_e32 v32, 0x10000, v29
	s_delay_alu instid0(VALU_DEP_2) | instskip(NEXT) | instid1(VALU_DEP_1)
	v_cmp_eq_u32_e64 s13, 0, v28
	v_cndmask_b32_e64 v28, v32, v29, s13
; %bb.595:                              ;   in Loop: Header=BB8_531 Depth=3
	s_or_b32 exec_lo, exec_lo, s78
	v_and_b32_e32 v15, 0xffff0000, v15
	s_delay_alu instid0(VALU_DEP_1) | instskip(NEXT) | instid1(VALU_DEP_1)
	v_mul_f32_e32 v29, v26, v15
	v_and_b32_e32 v15, 0x7f800000, v29
	s_delay_alu instid0(VALU_DEP_1) | instskip(SKIP_1) | instid1(SALU_CYCLE_1)
	v_cmp_ne_u32_e64 s13, 0x7f800000, v15
                                        ; implicit-def: $vgpr15
	s_and_saveexec_b32 s78, s13
	s_xor_b32 s13, exec_lo, s78
; %bb.596:                              ;   in Loop: Header=BB8_531 Depth=3
	v_bfe_u32 v15, v29, 16, 1
	s_delay_alu instid0(VALU_DEP_1)
	v_add3_u32 v15, v29, v15, 0x7fff
                                        ; implicit-def: $vgpr29
; %bb.597:                              ;   in Loop: Header=BB8_531 Depth=3
	s_and_not1_saveexec_b32 s78, s13
; %bb.598:                              ;   in Loop: Header=BB8_531 Depth=3
	v_and_b32_e32 v15, 0xffff, v29
	v_or_b32_e32 v32, 0x10000, v29
	s_delay_alu instid0(VALU_DEP_2) | instskip(NEXT) | instid1(VALU_DEP_1)
	v_cmp_eq_u32_e64 s13, 0, v15
	v_cndmask_b32_e64 v15, v32, v29, s13
; %bb.599:                              ;   in Loop: Header=BB8_531 Depth=3
	s_or_b32 exec_lo, exec_lo, s78
	v_dual_lshrrev_b32 v12, 16, v12 :: v_dual_lshrrev_b32 v27, 16, v27
	v_lshrrev_b32_e32 v4, 16, v4
	v_lshrrev_b32_e32 v28, 16, v28
	v_sub_nc_u32_e32 v24, v24, v84
	s_delay_alu instid0(VALU_DEP_4)
	v_and_or_b32 v13, 0xffff0000, v13, v12
	v_and_or_b32 v14, 0xffff0000, v14, v27
	;; [unrolled: 1-line block ×4, first 2 shown]
	global_store_b128 v[16:17], v[12:15], off th:TH_STORE_NT
	s_wait_xcnt 0x0
	v_add_nc_u64_e32 v[16:17], 0x200, v[16:17]
	s_and_saveexec_b32 s13, s77
	s_cbranch_execz .LBB8_530
; %bb.600:                              ;   in Loop: Header=BB8_531 Depth=3
	v_add_nc_u64_e32 v[18:19], v[18:19], v[116:117]
	s_delay_alu instid0(VALU_DEP_2)
	v_add_nc_u64_e32 v[16:17], v[16:17], v[116:117]
	v_dual_sub_nc_u32 v24, v24, v84 :: v_dual_sub_nc_u32 v25, v25, v122
	s_branch .LBB8_530
.LBB8_601:                              ;   in Loop: Header=BB8_57 Depth=2
	s_or_b32 exec_lo, exec_lo, s75
	s_delay_alu instid0(SALU_CYCLE_1)
	s_and_b32 s75, s76, exec_lo
.LBB8_602:                              ;   in Loop: Header=BB8_57 Depth=2
	s_or_b32 exec_lo, exec_lo, s74
	s_and_saveexec_b32 s74, s75
	s_cbranch_execz .LBB8_636
; %bb.603:                              ;   in Loop: Header=BB8_57 Depth=2
	s_trap 2
	ds_load_b32 v4, v0
	s_wait_dscnt 0x0
	v_lshlrev_b32_e32 v13, 16, v4
	s_delay_alu instid0(VALU_DEP_1) | instskip(NEXT) | instid1(VALU_DEP_1)
	v_dual_lshlrev_b32 v12, 16, v8 :: v_dual_mov_b32 v4, v13
	v_pk_mul_f32 v[14:15], v[4:5], v[12:13]
	s_delay_alu instid0(VALU_DEP_1) | instskip(NEXT) | instid1(VALU_DEP_1)
	v_and_b32_e32 v4, 0x7f800000, v14
	v_cmp_ne_u32_e64 s13, 0x7f800000, v4
                                        ; implicit-def: $vgpr4
	s_and_saveexec_b32 s75, s13
	s_delay_alu instid0(SALU_CYCLE_1)
	s_xor_b32 s13, exec_lo, s75
; %bb.604:                              ;   in Loop: Header=BB8_57 Depth=2
	v_bfe_u32 v4, v14, 16, 1
	s_delay_alu instid0(VALU_DEP_1)
	v_add3_u32 v4, v14, v4, 0x7fff
                                        ; implicit-def: $vgpr14_vgpr15
; %bb.605:                              ;   in Loop: Header=BB8_57 Depth=2
	s_and_not1_saveexec_b32 s75, s13
; %bb.606:                              ;   in Loop: Header=BB8_57 Depth=2
	v_and_b32_e32 v4, 0xffff, v14
	v_or_b32_e32 v5, 0x10000, v14
	s_delay_alu instid0(VALU_DEP_2) | instskip(NEXT) | instid1(VALU_DEP_1)
	v_cmp_eq_u32_e64 s13, 0, v4
	v_cndmask_b32_e64 v4, v5, v14, s13
; %bb.607:                              ;   in Loop: Header=BB8_57 Depth=2
	s_or_b32 exec_lo, exec_lo, s75
	v_and_b32_e32 v5, 0xffff0000, v8
	s_delay_alu instid0(VALU_DEP_1) | instskip(NEXT) | instid1(VALU_DEP_1)
	v_mul_f32_e32 v8, v13, v5
	v_and_b32_e32 v5, 0x7f800000, v8
	s_delay_alu instid0(VALU_DEP_1) | instskip(SKIP_1) | instid1(SALU_CYCLE_1)
	v_cmp_ne_u32_e64 s13, 0x7f800000, v5
                                        ; implicit-def: $vgpr5
	s_and_saveexec_b32 s75, s13
	s_xor_b32 s13, exec_lo, s75
; %bb.608:                              ;   in Loop: Header=BB8_57 Depth=2
	v_bfe_u32 v5, v8, 16, 1
	s_delay_alu instid0(VALU_DEP_1)
	v_add3_u32 v5, v8, v5, 0x7fff
                                        ; implicit-def: $vgpr8
; %bb.609:                              ;   in Loop: Header=BB8_57 Depth=2
	s_and_not1_saveexec_b32 s75, s13
; %bb.610:                              ;   in Loop: Header=BB8_57 Depth=2
	v_and_b32_e32 v5, 0xffff, v8
	v_or_b32_e32 v12, 0x10000, v8
	s_delay_alu instid0(VALU_DEP_2) | instskip(NEXT) | instid1(VALU_DEP_1)
	v_cmp_eq_u32_e64 s13, 0, v5
	v_cndmask_b32_e64 v5, v12, v8, s13
; %bb.611:                              ;   in Loop: Header=BB8_57 Depth=2
	s_or_b32 exec_lo, exec_lo, s75
	v_lshlrev_b32_e32 v8, 16, v9
	s_delay_alu instid0(VALU_DEP_1) | instskip(NEXT) | instid1(VALU_DEP_1)
	v_mul_f32_e32 v12, v13, v8
	v_and_b32_e32 v8, 0x7f800000, v12
	s_delay_alu instid0(VALU_DEP_1) | instskip(SKIP_1) | instid1(SALU_CYCLE_1)
	v_cmp_ne_u32_e64 s13, 0x7f800000, v8
                                        ; implicit-def: $vgpr8
	s_and_saveexec_b32 s75, s13
	s_xor_b32 s13, exec_lo, s75
; %bb.612:                              ;   in Loop: Header=BB8_57 Depth=2
	v_bfe_u32 v8, v12, 16, 1
	s_delay_alu instid0(VALU_DEP_1)
	v_add3_u32 v8, v12, v8, 0x7fff
                                        ; implicit-def: $vgpr12
; %bb.613:                              ;   in Loop: Header=BB8_57 Depth=2
	s_and_not1_saveexec_b32 s75, s13
; %bb.614:                              ;   in Loop: Header=BB8_57 Depth=2
	v_and_b32_e32 v8, 0xffff, v12
	v_or_b32_e32 v14, 0x10000, v12
	s_delay_alu instid0(VALU_DEP_2) | instskip(NEXT) | instid1(VALU_DEP_1)
	v_cmp_eq_u32_e64 s13, 0, v8
	v_cndmask_b32_e64 v8, v14, v12, s13
; %bb.615:                              ;   in Loop: Header=BB8_57 Depth=2
	s_or_b32 exec_lo, exec_lo, s75
	v_and_b32_e32 v9, 0xffff0000, v9
	s_delay_alu instid0(VALU_DEP_1) | instskip(NEXT) | instid1(VALU_DEP_1)
	v_mul_f32_e32 v12, v13, v9
	v_and_b32_e32 v9, 0x7f800000, v12
	s_delay_alu instid0(VALU_DEP_1) | instskip(SKIP_1) | instid1(SALU_CYCLE_1)
	v_cmp_ne_u32_e64 s13, 0x7f800000, v9
                                        ; implicit-def: $vgpr9
	s_and_saveexec_b32 s75, s13
	s_xor_b32 s13, exec_lo, s75
; %bb.616:                              ;   in Loop: Header=BB8_57 Depth=2
	v_bfe_u32 v9, v12, 16, 1
	s_delay_alu instid0(VALU_DEP_1)
	v_add3_u32 v9, v12, v9, 0x7fff
                                        ; implicit-def: $vgpr12
; %bb.617:                              ;   in Loop: Header=BB8_57 Depth=2
	s_and_not1_saveexec_b32 s75, s13
; %bb.618:                              ;   in Loop: Header=BB8_57 Depth=2
	v_and_b32_e32 v9, 0xffff, v12
	v_or_b32_e32 v14, 0x10000, v12
	s_delay_alu instid0(VALU_DEP_2) | instskip(NEXT) | instid1(VALU_DEP_1)
	v_cmp_eq_u32_e64 s13, 0, v9
	v_cndmask_b32_e64 v9, v14, v12, s13
; %bb.619:                              ;   in Loop: Header=BB8_57 Depth=2
	s_or_b32 exec_lo, exec_lo, s75
	v_lshlrev_b32_e32 v12, 16, v10
	s_delay_alu instid0(VALU_DEP_1) | instskip(NEXT) | instid1(VALU_DEP_1)
	v_mul_f32_e32 v14, v13, v12
	v_and_b32_e32 v12, 0x7f800000, v14
	s_delay_alu instid0(VALU_DEP_1) | instskip(SKIP_1) | instid1(SALU_CYCLE_1)
	v_cmp_ne_u32_e64 s13, 0x7f800000, v12
                                        ; implicit-def: $vgpr12
	s_and_saveexec_b32 s75, s13
	s_xor_b32 s13, exec_lo, s75
; %bb.620:                              ;   in Loop: Header=BB8_57 Depth=2
	v_bfe_u32 v12, v14, 16, 1
	s_delay_alu instid0(VALU_DEP_1)
	v_add3_u32 v12, v14, v12, 0x7fff
                                        ; implicit-def: $vgpr14
; %bb.621:                              ;   in Loop: Header=BB8_57 Depth=2
	s_and_not1_saveexec_b32 s75, s13
; %bb.622:                              ;   in Loop: Header=BB8_57 Depth=2
	v_and_b32_e32 v12, 0xffff, v14
	v_or_b32_e32 v15, 0x10000, v14
	s_delay_alu instid0(VALU_DEP_2) | instskip(NEXT) | instid1(VALU_DEP_1)
	v_cmp_eq_u32_e64 s13, 0, v12
	v_cndmask_b32_e64 v12, v15, v14, s13
; %bb.623:                              ;   in Loop: Header=BB8_57 Depth=2
	s_or_b32 exec_lo, exec_lo, s75
	v_and_b32_e32 v10, 0xffff0000, v10
	s_delay_alu instid0(VALU_DEP_1) | instskip(NEXT) | instid1(VALU_DEP_1)
	v_mul_f32_e32 v14, v13, v10
	v_and_b32_e32 v10, 0x7f800000, v14
	s_delay_alu instid0(VALU_DEP_1) | instskip(SKIP_1) | instid1(SALU_CYCLE_1)
	v_cmp_ne_u32_e64 s13, 0x7f800000, v10
                                        ; implicit-def: $vgpr10
	s_and_saveexec_b32 s75, s13
	s_xor_b32 s13, exec_lo, s75
; %bb.624:                              ;   in Loop: Header=BB8_57 Depth=2
	v_bfe_u32 v10, v14, 16, 1
	s_delay_alu instid0(VALU_DEP_1)
	v_add3_u32 v10, v14, v10, 0x7fff
                                        ; implicit-def: $vgpr14
; %bb.625:                              ;   in Loop: Header=BB8_57 Depth=2
	s_and_not1_saveexec_b32 s75, s13
; %bb.626:                              ;   in Loop: Header=BB8_57 Depth=2
	v_and_b32_e32 v10, 0xffff, v14
	v_or_b32_e32 v15, 0x10000, v14
	s_delay_alu instid0(VALU_DEP_2) | instskip(NEXT) | instid1(VALU_DEP_1)
	v_cmp_eq_u32_e64 s13, 0, v10
	v_cndmask_b32_e64 v10, v15, v14, s13
; %bb.627:                              ;   in Loop: Header=BB8_57 Depth=2
	s_or_b32 exec_lo, exec_lo, s75
	v_lshlrev_b32_e32 v14, 16, v11
	s_delay_alu instid0(VALU_DEP_1) | instskip(NEXT) | instid1(VALU_DEP_1)
	v_mul_f32_e32 v15, v13, v14
	v_and_b32_e32 v14, 0x7f800000, v15
	s_delay_alu instid0(VALU_DEP_1) | instskip(SKIP_1) | instid1(SALU_CYCLE_1)
	v_cmp_ne_u32_e64 s13, 0x7f800000, v14
                                        ; implicit-def: $vgpr14
	s_and_saveexec_b32 s75, s13
	s_xor_b32 s13, exec_lo, s75
; %bb.628:                              ;   in Loop: Header=BB8_57 Depth=2
	v_bfe_u32 v14, v15, 16, 1
	s_delay_alu instid0(VALU_DEP_1)
	v_add3_u32 v14, v15, v14, 0x7fff
                                        ; implicit-def: $vgpr15
; %bb.629:                              ;   in Loop: Header=BB8_57 Depth=2
	s_and_not1_saveexec_b32 s75, s13
; %bb.630:                              ;   in Loop: Header=BB8_57 Depth=2
	v_and_b32_e32 v14, 0xffff, v15
	v_or_b32_e32 v18, 0x10000, v15
	s_delay_alu instid0(VALU_DEP_2) | instskip(NEXT) | instid1(VALU_DEP_1)
	v_cmp_eq_u32_e64 s13, 0, v14
	v_cndmask_b32_e64 v14, v18, v15, s13
; %bb.631:                              ;   in Loop: Header=BB8_57 Depth=2
	s_or_b32 exec_lo, exec_lo, s75
	v_and_b32_e32 v11, 0xffff0000, v11
	s_delay_alu instid0(VALU_DEP_1) | instskip(NEXT) | instid1(VALU_DEP_1)
	v_mul_f32_e32 v13, v13, v11
	v_and_b32_e32 v11, 0x7f800000, v13
	s_delay_alu instid0(VALU_DEP_1) | instskip(SKIP_1) | instid1(SALU_CYCLE_1)
	v_cmp_ne_u32_e64 s13, 0x7f800000, v11
                                        ; implicit-def: $vgpr11
	s_and_saveexec_b32 s75, s13
	s_xor_b32 s13, exec_lo, s75
; %bb.632:                              ;   in Loop: Header=BB8_57 Depth=2
	v_bfe_u32 v11, v13, 16, 1
	s_delay_alu instid0(VALU_DEP_1)
	v_add3_u32 v11, v13, v11, 0x7fff
                                        ; implicit-def: $vgpr13
; %bb.633:                              ;   in Loop: Header=BB8_57 Depth=2
	s_and_not1_saveexec_b32 s75, s13
; %bb.634:                              ;   in Loop: Header=BB8_57 Depth=2
	v_and_b32_e32 v11, 0xffff, v13
	v_or_b32_e32 v15, 0x10000, v13
	s_delay_alu instid0(VALU_DEP_2) | instskip(NEXT) | instid1(VALU_DEP_1)
	v_cmp_eq_u32_e64 s13, 0, v11
	v_cndmask_b32_e64 v11, v15, v13, s13
; %bb.635:                              ;   in Loop: Header=BB8_57 Depth=2
	s_or_b32 exec_lo, exec_lo, s75
	v_dual_lshrrev_b32 v8, 16, v8 :: v_dual_lshrrev_b32 v13, 16, v14
	v_lshrrev_b32_e32 v4, 16, v4
	v_lshrrev_b32_e32 v12, 16, v12
	s_delay_alu instid0(VALU_DEP_3) | instskip(NEXT) | instid1(VALU_DEP_4)
	v_and_or_b32 v9, 0xffff0000, v9, v8
	v_and_or_b32 v11, 0xffff0000, v11, v13
	s_delay_alu instid0(VALU_DEP_4) | instskip(NEXT) | instid1(VALU_DEP_4)
	v_and_or_b32 v8, 0xffff0000, v5, v4
	v_and_or_b32 v10, 0xffff0000, v10, v12
	global_store_b128 v[16:17], v[8:11], off th:TH_STORE_NT
.LBB8_636:                              ;   in Loop: Header=BB8_57 Depth=2
	s_wait_xcnt 0x0
	s_or_b32 exec_lo, exec_lo, s74
	v_and_b32_e32 v5, 14, v73
	s_mov_b32 s75, s40
	s_mov_b32 s74, exec_lo
                                        ; implicit-def: $vgpr12
                                        ; implicit-def: $vgpr4
                                        ; implicit-def: $vgpr13
	s_delay_alu instid0(VALU_DEP_1) | instskip(NEXT) | instid1(VALU_DEP_1)
	v_cndmask_b32_e32 v73, v23, v5, vcc_lo
	v_cmpx_ne_u32_e32 0, v73
	s_cbranch_execz .LBB8_638
; %bb.637:                              ;   in Loop: Header=BB8_57 Depth=2
	v_cmp_lt_i32_e64 s13, 0, v24
	s_or_b32 s75, s40, exec_lo
	v_dual_sub_nc_u32 v5, v23, v5 :: v_dual_cndmask_b32 v4, 0, v84, s13
	s_delay_alu instid0(VALU_DEP_1) | instskip(NEXT) | instid1(VALU_DEP_1)
	v_dual_cndmask_b32 v5, 0, v5 :: v_dual_sub_nc_u32 v4, v4, v24
	v_add3_u32 v12, v22, v20, v5
	s_delay_alu instid0(VALU_DEP_2) | instskip(NEXT) | instid1(VALU_DEP_1)
	v_lshl_add_u32 v4, v4, 5, v21
	v_ashrrev_i32_e32 v8, 31, v4
	s_delay_alu instid0(VALU_DEP_1) | instskip(NEXT) | instid1(VALU_DEP_1)
	v_lshrrev_b32_e32 v8, 27, v8
	v_add_nc_u32_e32 v8, v4, v8
	s_delay_alu instid0(VALU_DEP_1) | instskip(NEXT) | instid1(VALU_DEP_1)
	v_and_b32_e32 v8, 0xffffffe0, v8
	v_sub_nc_u32_e32 v13, v4, v8
.LBB8_638:                              ;   in Loop: Header=BB8_57 Depth=2
	s_or_b32 exec_lo, exec_lo, s74
	s_delay_alu instid0(SALU_CYCLE_1) | instskip(SKIP_1) | instid1(SALU_CYCLE_1)
	s_and_not1_b32 s13, s40, exec_lo
	s_and_b32 s40, s75, exec_lo
	s_or_b32 s40, s13, s40
.LBB8_639:                              ;   in Loop: Header=BB8_57 Depth=2
	s_or_b32 exec_lo, exec_lo, s41
	s_and_saveexec_b32 s13, s40
	s_cbranch_execz .LBB8_768
.LBB8_640:                              ;   in Loop: Header=BB8_57 Depth=2
	s_delay_alu instid0(VALU_DEP_1) | instskip(SKIP_2) | instid1(VALU_DEP_3)
	v_dual_ashrrev_i32 v5, 31, v4 :: v_dual_ashrrev_i32 v8, 31, v73
	v_dual_mov_b32 v23, 0 :: v_dual_mov_b32 v22, 0
	v_dual_mov_b32 v20, 0 :: v_dual_mov_b32 v19, 0
	v_dual_mov_b32 v16, 0 :: v_dual_lshrrev_b32 v5, 27, v5
	s_mov_b32 s41, 0
	s_mov_b32 s40, exec_lo
	s_delay_alu instid0(VALU_DEP_1) | instskip(SKIP_1) | instid1(VALU_DEP_2)
	v_dual_mov_b32 v27, 0 :: v_dual_add_nc_u32 v4, v4, v5
	v_dual_lshrrev_b32 v5, 23, v8 :: v_dual_mov_b32 v25, 0
	v_dual_ashrrev_i32 v4, 5, v4 :: v_dual_lshlrev_b32 v8, 1, v13
	s_delay_alu instid0(VALU_DEP_1) | instskip(NEXT) | instid1(VALU_DEP_1)
	v_dual_add_nc_u32 v5, v73, v5 :: v_dual_lshlrev_b32 v9, 9, v4
	v_ashrrev_i32_e32 v14, 9, v5
	s_delay_alu instid0(VALU_DEP_2) | instskip(NEXT) | instid1(VALU_DEP_2)
	v_add3_u32 v10, v12, v8, v9
	v_dual_mov_b32 v4, 0 :: v_dual_sub_nc_u32 v15, v14, v4
	s_delay_alu instid0(VALU_DEP_2) | instskip(NEXT) | instid1(VALU_DEP_1)
	v_ashrrev_i32_e32 v11, 31, v10
	v_add_nc_u64_e32 v[8:9], v[88:89], v[10:11]
	s_delay_alu instid0(VALU_DEP_3)
	v_cmpx_lt_i32_e32 0, v15
	s_cbranch_execz .LBB8_712
; %bb.641:                              ;   in Loop: Header=BB8_57 Depth=2
	s_trap 2
	ds_load_b32 v4, v0
	v_add_nc_u64_e32 v[10:11], v[10:11], v[78:79]
	s_mov_b32 s75, 0
	s_mov_b32 s74, 0
                                        ; implicit-def: $sgpr41
                                        ; implicit-def: $vgpr28
                                        ; implicit-def: $vgpr26
                                        ; implicit-def: $vgpr5
                                        ; implicit-def: $vgpr24
                                        ; implicit-def: $vgpr21
                                        ; implicit-def: $vgpr19
                                        ; implicit-def: $vgpr18
                                        ; implicit-def: $vgpr17
	s_wait_dscnt 0x0
	v_lshlrev_b32_e32 v16, 16, v4
	s_branch .LBB8_643
.LBB8_642:                              ;   in Loop: Header=BB8_643 Depth=3
	s_or_b32 exec_lo, exec_lo, s76
	v_dual_cndmask_b32 v33, 0, v84, s75 :: v_dual_cndmask_b32 v35, 0, v117, s75
	v_cndmask_b32_e64 v37, 0, v45, s75
	v_cndmask_b32_e64 v36, 0x200, v44, s75
	s_clause 0x7
	flat_store_d16_hi_b16 v[8:9], v32 th:TH_STORE_NT
	flat_store_d16_hi_b16 v[8:9], v29 offset:64 th:TH_STORE_NT
	flat_store_d16_hi_b16 v[8:9], v27 offset:128 th:TH_STORE_NT
	;; [unrolled: 1-line block ×7, first 2 shown]
	v_dual_sub_nc_u32 v15, v15, v33 :: v_dual_cndmask_b32 v34, 0, v116, s75
	s_wait_xcnt 0x0
	v_add_nc_u64_e32 v[8:9], v[8:9], v[36:37]
	s_delay_alu instid0(VALU_DEP_2) | instskip(NEXT) | instid1(VALU_DEP_3)
	v_cmp_gt_i32_e32 vcc_lo, 1, v15
	v_add_nc_u64_e32 v[10:11], v[10:11], v[34:35]
	s_or_b32 s74, vcc_lo, s74
	s_and_not1_b32 s41, s41, exec_lo
	s_and_b32 s76, s75, exec_lo
	s_delay_alu instid0(SALU_CYCLE_1)
	s_or_b32 s41, s41, s76
	s_and_not1_b32 exec_lo, exec_lo, s74
	s_cbranch_execz .LBB8_711
.LBB8_643:                              ;   Parent Loop BB8_47 Depth=1
                                        ;     Parent Loop BB8_57 Depth=2
                                        ; =>    This Inner Loop Header: Depth=3
	s_clause 0x7
	flat_load_u16 v32, v[10:11] th:TH_LOAD_NT
	flat_load_u16 v29, v[10:11] offset:64 th:TH_LOAD_NT
	flat_load_u16 v27, v[10:11] offset:128 th:TH_LOAD_NT
	;; [unrolled: 1-line block ×7, first 2 shown]
	s_wait_xcnt 0x0
	s_and_saveexec_b32 s76, s75
	s_cbranch_execz .LBB8_677
; %bb.644:                              ;   in Loop: Header=BB8_643 Depth=3
	v_lshlrev_b32_e32 v28, 16, v28
	s_delay_alu instid0(VALU_DEP_1) | instskip(NEXT) | instid1(VALU_DEP_1)
	v_mul_f32_e32 v33, v16, v28
	v_and_b32_e32 v28, 0x7f800000, v33
	s_delay_alu instid0(VALU_DEP_1) | instskip(SKIP_1) | instid1(SALU_CYCLE_1)
	v_cmp_ne_u32_e32 vcc_lo, 0x7f800000, v28
                                        ; implicit-def: $vgpr28
	s_and_saveexec_b32 s75, vcc_lo
	s_xor_b32 s75, exec_lo, s75
; %bb.645:                              ;   in Loop: Header=BB8_643 Depth=3
	v_bfe_u32 v28, v33, 16, 1
	s_delay_alu instid0(VALU_DEP_1)
	v_add3_u32 v28, v33, v28, 0x7fff
                                        ; implicit-def: $vgpr33
; %bb.646:                              ;   in Loop: Header=BB8_643 Depth=3
	s_and_not1_saveexec_b32 s75, s75
; %bb.647:                              ;   in Loop: Header=BB8_643 Depth=3
	v_and_b32_e32 v28, 0xffff, v33
	v_or_b32_e32 v34, 0x10000, v33
	s_delay_alu instid0(VALU_DEP_2) | instskip(NEXT) | instid1(VALU_DEP_2)
	v_cmp_eq_u32_e32 vcc_lo, 0, v28
	v_cndmask_b32_e32 v28, v34, v33, vcc_lo
; %bb.648:                              ;   in Loop: Header=BB8_643 Depth=3
	s_or_b32 exec_lo, exec_lo, s75
	v_lshlrev_b32_e32 v26, 16, v26
	s_delay_alu instid0(VALU_DEP_1) | instskip(NEXT) | instid1(VALU_DEP_1)
	v_mul_f32_e32 v33, v16, v26
	v_and_b32_e32 v26, 0x7f800000, v33
	s_delay_alu instid0(VALU_DEP_1) | instskip(SKIP_1) | instid1(SALU_CYCLE_1)
	v_cmp_ne_u32_e32 vcc_lo, 0x7f800000, v26
                                        ; implicit-def: $vgpr26
	s_and_saveexec_b32 s75, vcc_lo
	s_xor_b32 s75, exec_lo, s75
; %bb.649:                              ;   in Loop: Header=BB8_643 Depth=3
	v_bfe_u32 v26, v33, 16, 1
	s_delay_alu instid0(VALU_DEP_1)
	v_add3_u32 v26, v33, v26, 0x7fff
                                        ; implicit-def: $vgpr33
; %bb.650:                              ;   in Loop: Header=BB8_643 Depth=3
	s_and_not1_saveexec_b32 s75, s75
; %bb.651:                              ;   in Loop: Header=BB8_643 Depth=3
	v_and_b32_e32 v26, 0xffff, v33
	v_or_b32_e32 v34, 0x10000, v33
	s_delay_alu instid0(VALU_DEP_2) | instskip(NEXT) | instid1(VALU_DEP_2)
	v_cmp_eq_u32_e32 vcc_lo, 0, v26
	v_cndmask_b32_e32 v26, v34, v33, vcc_lo
; %bb.652:                              ;   in Loop: Header=BB8_643 Depth=3
	s_or_b32 exec_lo, exec_lo, s75
	v_lshlrev_b32_e32 v5, 16, v5
	s_delay_alu instid0(VALU_DEP_1) | instskip(NEXT) | instid1(VALU_DEP_1)
	v_mul_f32_e32 v33, v16, v5
	v_and_b32_e32 v5, 0x7f800000, v33
	s_delay_alu instid0(VALU_DEP_1) | instskip(SKIP_1) | instid1(SALU_CYCLE_1)
	v_cmp_ne_u32_e32 vcc_lo, 0x7f800000, v5
                                        ; implicit-def: $vgpr5
	s_and_saveexec_b32 s75, vcc_lo
	s_xor_b32 s75, exec_lo, s75
; %bb.653:                              ;   in Loop: Header=BB8_643 Depth=3
	v_bfe_u32 v5, v33, 16, 1
	s_delay_alu instid0(VALU_DEP_1)
	v_add3_u32 v5, v33, v5, 0x7fff
                                        ; implicit-def: $vgpr33
; %bb.654:                              ;   in Loop: Header=BB8_643 Depth=3
	s_and_not1_saveexec_b32 s75, s75
; %bb.655:                              ;   in Loop: Header=BB8_643 Depth=3
	v_and_b32_e32 v5, 0xffff, v33
	v_or_b32_e32 v34, 0x10000, v33
	s_delay_alu instid0(VALU_DEP_2) | instskip(NEXT) | instid1(VALU_DEP_2)
	v_cmp_eq_u32_e32 vcc_lo, 0, v5
	v_cndmask_b32_e32 v5, v34, v33, vcc_lo
; %bb.656:                              ;   in Loop: Header=BB8_643 Depth=3
	s_or_b32 exec_lo, exec_lo, s75
	v_lshlrev_b32_e32 v24, 16, v24
	s_delay_alu instid0(VALU_DEP_1) | instskip(NEXT) | instid1(VALU_DEP_1)
	v_mul_f32_e32 v33, v16, v24
	v_and_b32_e32 v24, 0x7f800000, v33
	s_delay_alu instid0(VALU_DEP_1) | instskip(SKIP_1) | instid1(SALU_CYCLE_1)
	v_cmp_ne_u32_e32 vcc_lo, 0x7f800000, v24
                                        ; implicit-def: $vgpr24
	s_and_saveexec_b32 s75, vcc_lo
	s_xor_b32 s75, exec_lo, s75
; %bb.657:                              ;   in Loop: Header=BB8_643 Depth=3
	v_bfe_u32 v24, v33, 16, 1
	s_delay_alu instid0(VALU_DEP_1)
	v_add3_u32 v24, v33, v24, 0x7fff
                                        ; implicit-def: $vgpr33
; %bb.658:                              ;   in Loop: Header=BB8_643 Depth=3
	s_and_not1_saveexec_b32 s75, s75
; %bb.659:                              ;   in Loop: Header=BB8_643 Depth=3
	v_and_b32_e32 v24, 0xffff, v33
	v_or_b32_e32 v34, 0x10000, v33
	s_delay_alu instid0(VALU_DEP_2) | instskip(NEXT) | instid1(VALU_DEP_2)
	v_cmp_eq_u32_e32 vcc_lo, 0, v24
	v_cndmask_b32_e32 v24, v34, v33, vcc_lo
; %bb.660:                              ;   in Loop: Header=BB8_643 Depth=3
	s_or_b32 exec_lo, exec_lo, s75
	v_lshlrev_b32_e32 v21, 16, v21
	s_delay_alu instid0(VALU_DEP_1) | instskip(NEXT) | instid1(VALU_DEP_1)
	v_mul_f32_e32 v33, v16, v21
	v_and_b32_e32 v21, 0x7f800000, v33
	s_delay_alu instid0(VALU_DEP_1) | instskip(SKIP_1) | instid1(SALU_CYCLE_1)
	v_cmp_ne_u32_e32 vcc_lo, 0x7f800000, v21
                                        ; implicit-def: $vgpr21
	s_and_saveexec_b32 s75, vcc_lo
	s_xor_b32 s75, exec_lo, s75
; %bb.661:                              ;   in Loop: Header=BB8_643 Depth=3
	v_bfe_u32 v21, v33, 16, 1
	s_delay_alu instid0(VALU_DEP_1)
	v_add3_u32 v21, v33, v21, 0x7fff
                                        ; implicit-def: $vgpr33
; %bb.662:                              ;   in Loop: Header=BB8_643 Depth=3
	s_and_not1_saveexec_b32 s75, s75
; %bb.663:                              ;   in Loop: Header=BB8_643 Depth=3
	v_and_b32_e32 v21, 0xffff, v33
	v_or_b32_e32 v34, 0x10000, v33
	s_delay_alu instid0(VALU_DEP_2) | instskip(NEXT) | instid1(VALU_DEP_2)
	v_cmp_eq_u32_e32 vcc_lo, 0, v21
	v_cndmask_b32_e32 v21, v34, v33, vcc_lo
; %bb.664:                              ;   in Loop: Header=BB8_643 Depth=3
	s_or_b32 exec_lo, exec_lo, s75
	v_lshlrev_b32_e32 v19, 16, v19
	s_delay_alu instid0(VALU_DEP_1) | instskip(NEXT) | instid1(VALU_DEP_1)
	v_mul_f32_e32 v33, v16, v19
	v_and_b32_e32 v19, 0x7f800000, v33
	s_delay_alu instid0(VALU_DEP_1) | instskip(SKIP_1) | instid1(SALU_CYCLE_1)
	v_cmp_ne_u32_e32 vcc_lo, 0x7f800000, v19
                                        ; implicit-def: $vgpr19
	s_and_saveexec_b32 s75, vcc_lo
	s_xor_b32 s75, exec_lo, s75
; %bb.665:                              ;   in Loop: Header=BB8_643 Depth=3
	v_bfe_u32 v19, v33, 16, 1
	s_delay_alu instid0(VALU_DEP_1)
	v_add3_u32 v19, v33, v19, 0x7fff
                                        ; implicit-def: $vgpr33
; %bb.666:                              ;   in Loop: Header=BB8_643 Depth=3
	s_and_not1_saveexec_b32 s75, s75
; %bb.667:                              ;   in Loop: Header=BB8_643 Depth=3
	v_and_b32_e32 v19, 0xffff, v33
	v_or_b32_e32 v34, 0x10000, v33
	s_delay_alu instid0(VALU_DEP_2) | instskip(NEXT) | instid1(VALU_DEP_2)
	v_cmp_eq_u32_e32 vcc_lo, 0, v19
	v_cndmask_b32_e32 v19, v34, v33, vcc_lo
; %bb.668:                              ;   in Loop: Header=BB8_643 Depth=3
	s_or_b32 exec_lo, exec_lo, s75
	v_lshlrev_b32_e32 v18, 16, v18
	s_delay_alu instid0(VALU_DEP_1) | instskip(NEXT) | instid1(VALU_DEP_1)
	v_mul_f32_e32 v33, v16, v18
	v_and_b32_e32 v18, 0x7f800000, v33
	s_delay_alu instid0(VALU_DEP_1) | instskip(SKIP_1) | instid1(SALU_CYCLE_1)
	v_cmp_ne_u32_e32 vcc_lo, 0x7f800000, v18
                                        ; implicit-def: $vgpr18
	s_and_saveexec_b32 s75, vcc_lo
	s_xor_b32 s75, exec_lo, s75
; %bb.669:                              ;   in Loop: Header=BB8_643 Depth=3
	v_bfe_u32 v18, v33, 16, 1
	s_delay_alu instid0(VALU_DEP_1)
	v_add3_u32 v18, v33, v18, 0x7fff
                                        ; implicit-def: $vgpr33
; %bb.670:                              ;   in Loop: Header=BB8_643 Depth=3
	s_and_not1_saveexec_b32 s75, s75
; %bb.671:                              ;   in Loop: Header=BB8_643 Depth=3
	v_and_b32_e32 v18, 0xffff, v33
	v_or_b32_e32 v34, 0x10000, v33
	s_delay_alu instid0(VALU_DEP_2) | instskip(NEXT) | instid1(VALU_DEP_2)
	v_cmp_eq_u32_e32 vcc_lo, 0, v18
	v_cndmask_b32_e32 v18, v34, v33, vcc_lo
; %bb.672:                              ;   in Loop: Header=BB8_643 Depth=3
	s_or_b32 exec_lo, exec_lo, s75
	v_lshlrev_b32_e32 v17, 16, v17
	s_delay_alu instid0(VALU_DEP_1) | instskip(NEXT) | instid1(VALU_DEP_1)
	v_mul_f32_e32 v33, v16, v17
	v_and_b32_e32 v17, 0x7f800000, v33
	s_delay_alu instid0(VALU_DEP_1) | instskip(SKIP_1) | instid1(SALU_CYCLE_1)
	v_cmp_ne_u32_e32 vcc_lo, 0x7f800000, v17
                                        ; implicit-def: $vgpr17
	s_and_saveexec_b32 s75, vcc_lo
	s_xor_b32 s75, exec_lo, s75
; %bb.673:                              ;   in Loop: Header=BB8_643 Depth=3
	v_bfe_u32 v17, v33, 16, 1
	s_delay_alu instid0(VALU_DEP_1)
	v_add3_u32 v17, v33, v17, 0x7fff
                                        ; implicit-def: $vgpr33
; %bb.674:                              ;   in Loop: Header=BB8_643 Depth=3
	s_and_not1_saveexec_b32 s75, s75
; %bb.675:                              ;   in Loop: Header=BB8_643 Depth=3
	v_and_b32_e32 v17, 0xffff, v33
	v_or_b32_e32 v34, 0x10000, v33
	s_delay_alu instid0(VALU_DEP_2) | instskip(NEXT) | instid1(VALU_DEP_2)
	v_cmp_eq_u32_e32 vcc_lo, 0, v17
	v_cndmask_b32_e32 v17, v34, v33, vcc_lo
; %bb.676:                              ;   in Loop: Header=BB8_643 Depth=3
	s_or_b32 exec_lo, exec_lo, s75
	v_dual_lshrrev_b32 v21, 16, v21 :: v_dual_lshrrev_b32 v28, 16, v28
	v_dual_lshrrev_b32 v26, 16, v26 :: v_dual_lshrrev_b32 v5, 16, v5
	s_delay_alu instid0(VALU_DEP_3)
	v_dual_lshrrev_b32 v24, 16, v24 :: v_dual_lshrrev_b32 v17, 16, v17
	v_dual_lshrrev_b32 v18, 16, v18 :: v_dual_lshrrev_b32 v19, 16, v19
	s_clause 0x7
	flat_store_b16 v[8:9], v28 th:TH_STORE_NT
	flat_store_b16 v[8:9], v26 offset:64 th:TH_STORE_NT
	flat_store_b16 v[8:9], v5 offset:128 th:TH_STORE_NT
	flat_store_b16 v[8:9], v24 offset:192 th:TH_STORE_NT
	flat_store_b16 v[8:9], v21 offset:256 th:TH_STORE_NT
	flat_store_b16 v[8:9], v19 offset:320 th:TH_STORE_NT
	flat_store_b16 v[8:9], v18 offset:384 th:TH_STORE_NT
	flat_store_b16 v[8:9], v17 offset:448 th:TH_STORE_NT
	s_wait_xcnt 0x0
	v_add_nc_u64_e32 v[8:9], v[8:9], v[44:45]
.LBB8_677:                              ;   in Loop: Header=BB8_643 Depth=3
	s_or_b32 exec_lo, exec_lo, s76
	v_sub_nc_u32_e32 v15, v15, v84
	v_add_nc_u64_e32 v[10:11], v[10:11], v[44:45]
	s_delay_alu instid0(VALU_DEP_2)
	v_cmp_lt_i32_e64 s75, 0, v15
	s_and_saveexec_b32 s76, s75
	s_cbranch_execz .LBB8_679
; %bb.678:                              ;   in Loop: Header=BB8_643 Depth=3
	s_clause 0x7
	flat_load_u16 v28, v[10:11] th:TH_LOAD_NT
	flat_load_u16 v26, v[10:11] offset:64 th:TH_LOAD_NT
	flat_load_u16 v5, v[10:11] offset:128 th:TH_LOAD_NT
	;; [unrolled: 1-line block ×7, first 2 shown]
	s_wait_xcnt 0x0
	v_add_nc_u64_e32 v[10:11], 0x200, v[10:11]
.LBB8_679:                              ;   in Loop: Header=BB8_643 Depth=3
	s_or_b32 exec_lo, exec_lo, s76
	s_wait_loadcnt_dscnt 0x707
	v_lshlrev_b32_e32 v32, 16, v32
	s_delay_alu instid0(VALU_DEP_1) | instskip(NEXT) | instid1(VALU_DEP_1)
	v_mul_f32_e32 v33, v16, v32
	v_and_b32_e32 v32, 0x7f800000, v33
	s_delay_alu instid0(VALU_DEP_1) | instskip(SKIP_1) | instid1(SALU_CYCLE_1)
	v_cmp_ne_u32_e32 vcc_lo, 0x7f800000, v32
                                        ; implicit-def: $vgpr32
	s_and_saveexec_b32 s76, vcc_lo
	s_xor_b32 s76, exec_lo, s76
; %bb.680:                              ;   in Loop: Header=BB8_643 Depth=3
	v_bfe_u32 v32, v33, 16, 1
	s_delay_alu instid0(VALU_DEP_1)
	v_add3_u32 v32, v33, v32, 0x7fff
                                        ; implicit-def: $vgpr33
; %bb.681:                              ;   in Loop: Header=BB8_643 Depth=3
	s_and_not1_saveexec_b32 s76, s76
; %bb.682:                              ;   in Loop: Header=BB8_643 Depth=3
	v_and_b32_e32 v32, 0xffff, v33
	v_or_b32_e32 v34, 0x10000, v33
	s_delay_alu instid0(VALU_DEP_2) | instskip(NEXT) | instid1(VALU_DEP_2)
	v_cmp_eq_u32_e32 vcc_lo, 0, v32
	v_cndmask_b32_e32 v32, v34, v33, vcc_lo
; %bb.683:                              ;   in Loop: Header=BB8_643 Depth=3
	s_or_b32 exec_lo, exec_lo, s76
	s_wait_loadcnt_dscnt 0x606
	v_lshlrev_b32_e32 v29, 16, v29
	s_delay_alu instid0(VALU_DEP_1) | instskip(NEXT) | instid1(VALU_DEP_1)
	v_mul_f32_e32 v33, v16, v29
	v_and_b32_e32 v29, 0x7f800000, v33
	s_delay_alu instid0(VALU_DEP_1) | instskip(SKIP_1) | instid1(SALU_CYCLE_1)
	v_cmp_ne_u32_e32 vcc_lo, 0x7f800000, v29
                                        ; implicit-def: $vgpr29
	s_and_saveexec_b32 s76, vcc_lo
	s_xor_b32 s76, exec_lo, s76
; %bb.684:                              ;   in Loop: Header=BB8_643 Depth=3
	v_bfe_u32 v29, v33, 16, 1
	s_delay_alu instid0(VALU_DEP_1)
	v_add3_u32 v29, v33, v29, 0x7fff
                                        ; implicit-def: $vgpr33
; %bb.685:                              ;   in Loop: Header=BB8_643 Depth=3
	s_and_not1_saveexec_b32 s76, s76
; %bb.686:                              ;   in Loop: Header=BB8_643 Depth=3
	v_and_b32_e32 v29, 0xffff, v33
	v_or_b32_e32 v34, 0x10000, v33
	s_delay_alu instid0(VALU_DEP_2) | instskip(NEXT) | instid1(VALU_DEP_2)
	v_cmp_eq_u32_e32 vcc_lo, 0, v29
	v_cndmask_b32_e32 v29, v34, v33, vcc_lo
; %bb.687:                              ;   in Loop: Header=BB8_643 Depth=3
	s_or_b32 exec_lo, exec_lo, s76
	s_wait_loadcnt_dscnt 0x505
	v_lshlrev_b32_e32 v27, 16, v27
	s_delay_alu instid0(VALU_DEP_1) | instskip(NEXT) | instid1(VALU_DEP_1)
	v_mul_f32_e32 v33, v16, v27
	v_and_b32_e32 v27, 0x7f800000, v33
	s_delay_alu instid0(VALU_DEP_1) | instskip(SKIP_1) | instid1(SALU_CYCLE_1)
	v_cmp_ne_u32_e32 vcc_lo, 0x7f800000, v27
                                        ; implicit-def: $vgpr27
	s_and_saveexec_b32 s76, vcc_lo
	s_xor_b32 s76, exec_lo, s76
; %bb.688:                              ;   in Loop: Header=BB8_643 Depth=3
	v_bfe_u32 v27, v33, 16, 1
	s_delay_alu instid0(VALU_DEP_1)
	v_add3_u32 v27, v33, v27, 0x7fff
                                        ; implicit-def: $vgpr33
; %bb.689:                              ;   in Loop: Header=BB8_643 Depth=3
	s_and_not1_saveexec_b32 s76, s76
; %bb.690:                              ;   in Loop: Header=BB8_643 Depth=3
	v_and_b32_e32 v27, 0xffff, v33
	v_or_b32_e32 v34, 0x10000, v33
	s_delay_alu instid0(VALU_DEP_2) | instskip(NEXT) | instid1(VALU_DEP_2)
	v_cmp_eq_u32_e32 vcc_lo, 0, v27
	v_cndmask_b32_e32 v27, v34, v33, vcc_lo
; %bb.691:                              ;   in Loop: Header=BB8_643 Depth=3
	s_or_b32 exec_lo, exec_lo, s76
	s_wait_loadcnt_dscnt 0x404
	v_lshlrev_b32_e32 v25, 16, v25
	s_delay_alu instid0(VALU_DEP_1) | instskip(NEXT) | instid1(VALU_DEP_1)
	v_mul_f32_e32 v33, v16, v25
	v_and_b32_e32 v25, 0x7f800000, v33
	s_delay_alu instid0(VALU_DEP_1) | instskip(SKIP_1) | instid1(SALU_CYCLE_1)
	v_cmp_ne_u32_e32 vcc_lo, 0x7f800000, v25
                                        ; implicit-def: $vgpr25
	s_and_saveexec_b32 s76, vcc_lo
	s_xor_b32 s76, exec_lo, s76
; %bb.692:                              ;   in Loop: Header=BB8_643 Depth=3
	v_bfe_u32 v25, v33, 16, 1
	s_delay_alu instid0(VALU_DEP_1)
	v_add3_u32 v25, v33, v25, 0x7fff
                                        ; implicit-def: $vgpr33
; %bb.693:                              ;   in Loop: Header=BB8_643 Depth=3
	s_and_not1_saveexec_b32 s76, s76
; %bb.694:                              ;   in Loop: Header=BB8_643 Depth=3
	v_and_b32_e32 v25, 0xffff, v33
	v_or_b32_e32 v34, 0x10000, v33
	s_delay_alu instid0(VALU_DEP_2) | instskip(NEXT) | instid1(VALU_DEP_2)
	v_cmp_eq_u32_e32 vcc_lo, 0, v25
	v_cndmask_b32_e32 v25, v34, v33, vcc_lo
; %bb.695:                              ;   in Loop: Header=BB8_643 Depth=3
	s_or_b32 exec_lo, exec_lo, s76
	s_wait_loadcnt_dscnt 0x303
	v_lshlrev_b32_e32 v4, 16, v4
	s_delay_alu instid0(VALU_DEP_1) | instskip(NEXT) | instid1(VALU_DEP_1)
	v_mul_f32_e32 v33, v16, v4
	v_and_b32_e32 v4, 0x7f800000, v33
	s_delay_alu instid0(VALU_DEP_1) | instskip(SKIP_1) | instid1(SALU_CYCLE_1)
	v_cmp_ne_u32_e32 vcc_lo, 0x7f800000, v4
                                        ; implicit-def: $vgpr4
	s_and_saveexec_b32 s76, vcc_lo
	s_xor_b32 s76, exec_lo, s76
; %bb.696:                              ;   in Loop: Header=BB8_643 Depth=3
	v_bfe_u32 v4, v33, 16, 1
	s_delay_alu instid0(VALU_DEP_1)
	v_add3_u32 v4, v33, v4, 0x7fff
                                        ; implicit-def: $vgpr33
; %bb.697:                              ;   in Loop: Header=BB8_643 Depth=3
	s_and_not1_saveexec_b32 s76, s76
; %bb.698:                              ;   in Loop: Header=BB8_643 Depth=3
	v_and_b32_e32 v4, 0xffff, v33
	v_or_b32_e32 v34, 0x10000, v33
	s_delay_alu instid0(VALU_DEP_2) | instskip(NEXT) | instid1(VALU_DEP_2)
	v_cmp_eq_u32_e32 vcc_lo, 0, v4
	v_cndmask_b32_e32 v4, v34, v33, vcc_lo
; %bb.699:                              ;   in Loop: Header=BB8_643 Depth=3
	s_or_b32 exec_lo, exec_lo, s76
	s_wait_loadcnt_dscnt 0x202
	v_lshlrev_b32_e32 v23, 16, v23
	s_delay_alu instid0(VALU_DEP_1) | instskip(NEXT) | instid1(VALU_DEP_1)
	v_mul_f32_e32 v33, v16, v23
	v_and_b32_e32 v23, 0x7f800000, v33
	s_delay_alu instid0(VALU_DEP_1) | instskip(SKIP_1) | instid1(SALU_CYCLE_1)
	v_cmp_ne_u32_e32 vcc_lo, 0x7f800000, v23
                                        ; implicit-def: $vgpr23
	s_and_saveexec_b32 s76, vcc_lo
	s_xor_b32 s76, exec_lo, s76
; %bb.700:                              ;   in Loop: Header=BB8_643 Depth=3
	v_bfe_u32 v23, v33, 16, 1
	s_delay_alu instid0(VALU_DEP_1)
	v_add3_u32 v23, v33, v23, 0x7fff
                                        ; implicit-def: $vgpr33
; %bb.701:                              ;   in Loop: Header=BB8_643 Depth=3
	s_and_not1_saveexec_b32 s76, s76
; %bb.702:                              ;   in Loop: Header=BB8_643 Depth=3
	v_and_b32_e32 v23, 0xffff, v33
	v_or_b32_e32 v34, 0x10000, v33
	s_delay_alu instid0(VALU_DEP_2) | instskip(NEXT) | instid1(VALU_DEP_2)
	v_cmp_eq_u32_e32 vcc_lo, 0, v23
	v_cndmask_b32_e32 v23, v34, v33, vcc_lo
; %bb.703:                              ;   in Loop: Header=BB8_643 Depth=3
	s_or_b32 exec_lo, exec_lo, s76
	s_wait_loadcnt_dscnt 0x101
	v_lshlrev_b32_e32 v22, 16, v22
	s_delay_alu instid0(VALU_DEP_1) | instskip(NEXT) | instid1(VALU_DEP_1)
	v_mul_f32_e32 v33, v16, v22
	v_and_b32_e32 v22, 0x7f800000, v33
	s_delay_alu instid0(VALU_DEP_1) | instskip(SKIP_1) | instid1(SALU_CYCLE_1)
	v_cmp_ne_u32_e32 vcc_lo, 0x7f800000, v22
                                        ; implicit-def: $vgpr22
	s_and_saveexec_b32 s76, vcc_lo
	s_xor_b32 s76, exec_lo, s76
; %bb.704:                              ;   in Loop: Header=BB8_643 Depth=3
	v_bfe_u32 v22, v33, 16, 1
	s_delay_alu instid0(VALU_DEP_1)
	v_add3_u32 v22, v33, v22, 0x7fff
                                        ; implicit-def: $vgpr33
; %bb.705:                              ;   in Loop: Header=BB8_643 Depth=3
	s_and_not1_saveexec_b32 s76, s76
; %bb.706:                              ;   in Loop: Header=BB8_643 Depth=3
	v_and_b32_e32 v22, 0xffff, v33
	v_or_b32_e32 v34, 0x10000, v33
	s_delay_alu instid0(VALU_DEP_2) | instskip(NEXT) | instid1(VALU_DEP_2)
	v_cmp_eq_u32_e32 vcc_lo, 0, v22
	v_cndmask_b32_e32 v22, v34, v33, vcc_lo
; %bb.707:                              ;   in Loop: Header=BB8_643 Depth=3
	s_or_b32 exec_lo, exec_lo, s76
	s_wait_loadcnt_dscnt 0x0
	v_lshlrev_b32_e32 v20, 16, v20
	s_delay_alu instid0(VALU_DEP_1) | instskip(NEXT) | instid1(VALU_DEP_1)
	v_mul_f32_e32 v33, v16, v20
	v_and_b32_e32 v20, 0x7f800000, v33
	s_delay_alu instid0(VALU_DEP_1) | instskip(SKIP_1) | instid1(SALU_CYCLE_1)
	v_cmp_ne_u32_e32 vcc_lo, 0x7f800000, v20
                                        ; implicit-def: $vgpr20
	s_and_saveexec_b32 s76, vcc_lo
	s_xor_b32 s76, exec_lo, s76
; %bb.708:                              ;   in Loop: Header=BB8_643 Depth=3
	v_bfe_u32 v20, v33, 16, 1
	s_delay_alu instid0(VALU_DEP_1)
	v_add3_u32 v20, v33, v20, 0x7fff
                                        ; implicit-def: $vgpr33
; %bb.709:                              ;   in Loop: Header=BB8_643 Depth=3
	s_and_not1_saveexec_b32 s76, s76
	s_cbranch_execz .LBB8_642
; %bb.710:                              ;   in Loop: Header=BB8_643 Depth=3
	v_and_b32_e32 v20, 0xffff, v33
	v_or_b32_e32 v34, 0x10000, v33
	s_delay_alu instid0(VALU_DEP_2) | instskip(NEXT) | instid1(VALU_DEP_2)
	v_cmp_eq_u32_e32 vcc_lo, 0, v20
	v_cndmask_b32_e32 v20, v34, v33, vcc_lo
	s_branch .LBB8_642
.LBB8_711:                              ;   in Loop: Header=BB8_57 Depth=2
	s_or_b32 exec_lo, exec_lo, s74
	v_dual_lshlrev_b32 v27, 16, v28 :: v_dual_lshlrev_b32 v25, 16, v26
	v_dual_lshlrev_b32 v23, 16, v5 :: v_dual_lshlrev_b32 v22, 16, v24
	;; [unrolled: 1-line block ×4, first 2 shown]
	s_and_b32 s41, s41, exec_lo
.LBB8_712:                              ;   in Loop: Header=BB8_57 Depth=2
	s_or_b32 exec_lo, exec_lo, s40
	s_and_saveexec_b32 s40, s41
	s_cbranch_execz .LBB8_746
; %bb.713:                              ;   in Loop: Header=BB8_57 Depth=2
	s_trap 2
	ds_load_b32 v5, v0
	s_wait_dscnt 0x0
	v_lshlrev_b32_e32 v10, 16, v5
	s_delay_alu instid0(VALU_DEP_1) | instskip(NEXT) | instid1(VALU_DEP_1)
	v_mul_f32_e32 v11, v27, v10
	v_and_b32_e32 v5, 0x7f800000, v11
	s_delay_alu instid0(VALU_DEP_1) | instskip(SKIP_1) | instid1(SALU_CYCLE_1)
	v_cmp_ne_u32_e32 vcc_lo, 0x7f800000, v5
                                        ; implicit-def: $vgpr5
	s_and_saveexec_b32 s41, vcc_lo
	s_xor_b32 s41, exec_lo, s41
; %bb.714:                              ;   in Loop: Header=BB8_57 Depth=2
	v_bfe_u32 v5, v11, 16, 1
	s_delay_alu instid0(VALU_DEP_1)
	v_add3_u32 v5, v11, v5, 0x7fff
                                        ; implicit-def: $vgpr11
; %bb.715:                              ;   in Loop: Header=BB8_57 Depth=2
	s_and_not1_saveexec_b32 s41, s41
; %bb.716:                              ;   in Loop: Header=BB8_57 Depth=2
	v_and_b32_e32 v5, 0xffff, v11
	v_or_b32_e32 v17, 0x10000, v11
	s_delay_alu instid0(VALU_DEP_2) | instskip(NEXT) | instid1(VALU_DEP_2)
	v_cmp_eq_u32_e32 vcc_lo, 0, v5
	v_cndmask_b32_e32 v5, v17, v11, vcc_lo
; %bb.717:                              ;   in Loop: Header=BB8_57 Depth=2
	s_or_b32 exec_lo, exec_lo, s41
	v_mul_f32_e32 v17, v25, v10
	s_delay_alu instid0(VALU_DEP_1) | instskip(NEXT) | instid1(VALU_DEP_1)
	v_and_b32_e32 v11, 0x7f800000, v17
	v_cmp_ne_u32_e32 vcc_lo, 0x7f800000, v11
                                        ; implicit-def: $vgpr11
	s_and_saveexec_b32 s41, vcc_lo
	s_delay_alu instid0(SALU_CYCLE_1)
	s_xor_b32 s41, exec_lo, s41
; %bb.718:                              ;   in Loop: Header=BB8_57 Depth=2
	v_bfe_u32 v11, v17, 16, 1
	s_delay_alu instid0(VALU_DEP_1)
	v_add3_u32 v11, v17, v11, 0x7fff
                                        ; implicit-def: $vgpr17
; %bb.719:                              ;   in Loop: Header=BB8_57 Depth=2
	s_and_not1_saveexec_b32 s41, s41
; %bb.720:                              ;   in Loop: Header=BB8_57 Depth=2
	v_and_b32_e32 v11, 0xffff, v17
	v_or_b32_e32 v18, 0x10000, v17
	s_delay_alu instid0(VALU_DEP_2) | instskip(NEXT) | instid1(VALU_DEP_2)
	v_cmp_eq_u32_e32 vcc_lo, 0, v11
	v_cndmask_b32_e32 v11, v18, v17, vcc_lo
; %bb.721:                              ;   in Loop: Header=BB8_57 Depth=2
	s_or_b32 exec_lo, exec_lo, s41
	v_mul_f32_e32 v18, v23, v10
	s_delay_alu instid0(VALU_DEP_1) | instskip(NEXT) | instid1(VALU_DEP_1)
	v_and_b32_e32 v17, 0x7f800000, v18
	v_cmp_ne_u32_e32 vcc_lo, 0x7f800000, v17
                                        ; implicit-def: $vgpr17
	s_and_saveexec_b32 s41, vcc_lo
	s_delay_alu instid0(SALU_CYCLE_1)
	s_xor_b32 s41, exec_lo, s41
; %bb.722:                              ;   in Loop: Header=BB8_57 Depth=2
	v_bfe_u32 v17, v18, 16, 1
	s_delay_alu instid0(VALU_DEP_1)
	v_add3_u32 v17, v18, v17, 0x7fff
                                        ; implicit-def: $vgpr18
; %bb.723:                              ;   in Loop: Header=BB8_57 Depth=2
	s_and_not1_saveexec_b32 s41, s41
; %bb.724:                              ;   in Loop: Header=BB8_57 Depth=2
	v_and_b32_e32 v17, 0xffff, v18
	v_or_b32_e32 v21, 0x10000, v18
	s_delay_alu instid0(VALU_DEP_2) | instskip(NEXT) | instid1(VALU_DEP_2)
	v_cmp_eq_u32_e32 vcc_lo, 0, v17
	v_cndmask_b32_e32 v17, v21, v18, vcc_lo
; %bb.725:                              ;   in Loop: Header=BB8_57 Depth=2
	s_or_b32 exec_lo, exec_lo, s41
	v_mul_f32_e32 v21, v22, v10
	s_delay_alu instid0(VALU_DEP_1) | instskip(NEXT) | instid1(VALU_DEP_1)
	v_and_b32_e32 v18, 0x7f800000, v21
	v_cmp_ne_u32_e32 vcc_lo, 0x7f800000, v18
                                        ; implicit-def: $vgpr18
	s_and_saveexec_b32 s41, vcc_lo
	s_delay_alu instid0(SALU_CYCLE_1)
	s_xor_b32 s41, exec_lo, s41
; %bb.726:                              ;   in Loop: Header=BB8_57 Depth=2
	v_bfe_u32 v18, v21, 16, 1
	s_delay_alu instid0(VALU_DEP_1)
	v_add3_u32 v18, v21, v18, 0x7fff
                                        ; implicit-def: $vgpr21
; %bb.727:                              ;   in Loop: Header=BB8_57 Depth=2
	s_and_not1_saveexec_b32 s41, s41
; %bb.728:                              ;   in Loop: Header=BB8_57 Depth=2
	v_and_b32_e32 v18, 0xffff, v21
	v_or_b32_e32 v22, 0x10000, v21
	s_delay_alu instid0(VALU_DEP_2) | instskip(NEXT) | instid1(VALU_DEP_2)
	v_cmp_eq_u32_e32 vcc_lo, 0, v18
	v_cndmask_b32_e32 v18, v22, v21, vcc_lo
; %bb.729:                              ;   in Loop: Header=BB8_57 Depth=2
	s_or_b32 exec_lo, exec_lo, s41
	v_mul_f32_e32 v21, v20, v10
	s_delay_alu instid0(VALU_DEP_1) | instskip(NEXT) | instid1(VALU_DEP_1)
	v_and_b32_e32 v20, 0x7f800000, v21
	v_cmp_ne_u32_e32 vcc_lo, 0x7f800000, v20
                                        ; implicit-def: $vgpr20
	s_and_saveexec_b32 s41, vcc_lo
	s_delay_alu instid0(SALU_CYCLE_1)
	s_xor_b32 s41, exec_lo, s41
; %bb.730:                              ;   in Loop: Header=BB8_57 Depth=2
	v_bfe_u32 v20, v21, 16, 1
	s_delay_alu instid0(VALU_DEP_1)
	v_add3_u32 v20, v21, v20, 0x7fff
                                        ; implicit-def: $vgpr21
; %bb.731:                              ;   in Loop: Header=BB8_57 Depth=2
	s_and_not1_saveexec_b32 s41, s41
; %bb.732:                              ;   in Loop: Header=BB8_57 Depth=2
	v_and_b32_e32 v20, 0xffff, v21
	v_or_b32_e32 v22, 0x10000, v21
	s_delay_alu instid0(VALU_DEP_2) | instskip(NEXT) | instid1(VALU_DEP_2)
	v_cmp_eq_u32_e32 vcc_lo, 0, v20
	v_cndmask_b32_e32 v20, v22, v21, vcc_lo
; %bb.733:                              ;   in Loop: Header=BB8_57 Depth=2
	s_or_b32 exec_lo, exec_lo, s41
	v_mul_f32_e32 v21, v19, v10
	s_delay_alu instid0(VALU_DEP_1) | instskip(NEXT) | instid1(VALU_DEP_1)
	v_and_b32_e32 v19, 0x7f800000, v21
	v_cmp_ne_u32_e32 vcc_lo, 0x7f800000, v19
                                        ; implicit-def: $vgpr19
	s_and_saveexec_b32 s41, vcc_lo
	s_delay_alu instid0(SALU_CYCLE_1)
	s_xor_b32 s41, exec_lo, s41
; %bb.734:                              ;   in Loop: Header=BB8_57 Depth=2
	v_bfe_u32 v19, v21, 16, 1
	s_delay_alu instid0(VALU_DEP_1)
	v_add3_u32 v19, v21, v19, 0x7fff
                                        ; implicit-def: $vgpr21
; %bb.735:                              ;   in Loop: Header=BB8_57 Depth=2
	s_and_not1_saveexec_b32 s41, s41
; %bb.736:                              ;   in Loop: Header=BB8_57 Depth=2
	v_and_b32_e32 v19, 0xffff, v21
	v_or_b32_e32 v22, 0x10000, v21
	s_delay_alu instid0(VALU_DEP_2) | instskip(NEXT) | instid1(VALU_DEP_2)
	v_cmp_eq_u32_e32 vcc_lo, 0, v19
	v_cndmask_b32_e32 v19, v22, v21, vcc_lo
; %bb.737:                              ;   in Loop: Header=BB8_57 Depth=2
	s_or_b32 exec_lo, exec_lo, s41
	v_mul_f32_e32 v21, v16, v10
	s_delay_alu instid0(VALU_DEP_1) | instskip(NEXT) | instid1(VALU_DEP_1)
	v_and_b32_e32 v16, 0x7f800000, v21
	v_cmp_ne_u32_e32 vcc_lo, 0x7f800000, v16
                                        ; implicit-def: $vgpr16
	s_and_saveexec_b32 s41, vcc_lo
	s_delay_alu instid0(SALU_CYCLE_1)
	s_xor_b32 s41, exec_lo, s41
; %bb.738:                              ;   in Loop: Header=BB8_57 Depth=2
	v_bfe_u32 v16, v21, 16, 1
	s_delay_alu instid0(VALU_DEP_1)
	v_add3_u32 v16, v21, v16, 0x7fff
                                        ; implicit-def: $vgpr21
; %bb.739:                              ;   in Loop: Header=BB8_57 Depth=2
	s_and_not1_saveexec_b32 s41, s41
; %bb.740:                              ;   in Loop: Header=BB8_57 Depth=2
	v_and_b32_e32 v16, 0xffff, v21
	v_or_b32_e32 v22, 0x10000, v21
	s_delay_alu instid0(VALU_DEP_2) | instskip(NEXT) | instid1(VALU_DEP_2)
	v_cmp_eq_u32_e32 vcc_lo, 0, v16
	v_cndmask_b32_e32 v16, v22, v21, vcc_lo
; %bb.741:                              ;   in Loop: Header=BB8_57 Depth=2
	s_or_b32 exec_lo, exec_lo, s41
	v_mul_f32_e32 v10, v4, v10
	s_delay_alu instid0(VALU_DEP_1) | instskip(NEXT) | instid1(VALU_DEP_1)
	v_and_b32_e32 v4, 0x7f800000, v10
	v_cmp_ne_u32_e32 vcc_lo, 0x7f800000, v4
                                        ; implicit-def: $vgpr4
	s_and_saveexec_b32 s41, vcc_lo
	s_delay_alu instid0(SALU_CYCLE_1)
	s_xor_b32 s41, exec_lo, s41
; %bb.742:                              ;   in Loop: Header=BB8_57 Depth=2
	v_bfe_u32 v4, v10, 16, 1
	s_delay_alu instid0(VALU_DEP_1)
	v_add3_u32 v4, v10, v4, 0x7fff
                                        ; implicit-def: $vgpr10
; %bb.743:                              ;   in Loop: Header=BB8_57 Depth=2
	s_and_not1_saveexec_b32 s41, s41
; %bb.744:                              ;   in Loop: Header=BB8_57 Depth=2
	v_and_b32_e32 v4, 0xffff, v10
	v_or_b32_e32 v21, 0x10000, v10
	s_delay_alu instid0(VALU_DEP_2) | instskip(NEXT) | instid1(VALU_DEP_2)
	v_cmp_eq_u32_e32 vcc_lo, 0, v4
	v_cndmask_b32_e32 v4, v21, v10, vcc_lo
; %bb.745:                              ;   in Loop: Header=BB8_57 Depth=2
	s_or_b32 exec_lo, exec_lo, s41
	s_clause 0x7
	flat_store_d16_hi_b16 v[8:9], v5 th:TH_STORE_NT
	flat_store_d16_hi_b16 v[8:9], v11 offset:64 th:TH_STORE_NT
	flat_store_d16_hi_b16 v[8:9], v17 offset:128 th:TH_STORE_NT
	;; [unrolled: 1-line block ×7, first 2 shown]
.LBB8_746:                              ;   in Loop: Header=BB8_57 Depth=2
	s_wait_xcnt 0x0
	s_or_b32 exec_lo, exec_lo, s40
	v_lshlrev_b32_e32 v4, 9, v14
	s_delay_alu instid0(VALU_DEP_1)
	v_cmp_ne_u32_e32 vcc_lo, v73, v4
	s_and_b32 exec_lo, exec_lo, vcc_lo
	s_cbranch_execz .LBB8_768
; %bb.747:                              ;   in Loop: Header=BB8_57 Depth=2
	v_lshlrev_b32_e32 v5, 5, v15
	s_delay_alu instid0(VALU_DEP_1) | instskip(NEXT) | instid1(VALU_DEP_1)
	v_sub_nc_u32_e32 v5, v13, v5
	v_ashrrev_i32_e32 v8, 31, v5
	s_delay_alu instid0(VALU_DEP_1) | instskip(NEXT) | instid1(VALU_DEP_1)
	v_lshrrev_b32_e32 v8, 27, v8
	v_add_nc_u32_e32 v8, v5, v8
	s_delay_alu instid0(VALU_DEP_1) | instskip(NEXT) | instid1(VALU_DEP_1)
	v_and_b32_e32 v9, 0x7fffffe0, v8
	v_dual_lshlrev_b32 v8, 1, v8 :: v_dual_sub_nc_u32 v5, v5, v9
	s_delay_alu instid0(VALU_DEP_1) | instskip(NEXT) | instid1(VALU_DEP_2)
	v_and_b32_e32 v8, 0xffffffc0, v8
	v_lshlrev_b32_e32 v5, 1, v5
	s_delay_alu instid0(VALU_DEP_1) | instskip(NEXT) | instid1(VALU_DEP_1)
	v_add3_u32 v4, v8, v5, v4
	v_sub_nc_u32_e32 v13, v73, v4
	s_delay_alu instid0(VALU_DEP_1)
	v_cmp_lt_i32_e32 vcc_lo, 1, v13
	s_and_b32 exec_lo, exec_lo, vcc_lo
	s_cbranch_execz .LBB8_768
; %bb.748:                              ;   in Loop: Header=BB8_57 Depth=2
	s_trap 2
	ds_load_b32 v14, v0
	v_add_nc_u32_e32 v4, v4, v12
	s_mov_b32 s74, 0
	s_mov_b32 s40, 0
                                        ; implicit-def: $sgpr41
	s_delay_alu instid0(VALU_DEP_1) | instskip(NEXT) | instid1(VALU_DEP_1)
	v_ashrrev_i32_e32 v5, 31, v4
	v_add_nc_u64_e32 v[8:9], v[88:89], v[4:5]
	v_add_nc_u64_e32 v[10:11], v[4:5], v[78:79]
                                        ; implicit-def: $vgpr5
	s_wait_dscnt 0x0
	v_lshlrev_b32_e32 v4, 16, v14
	s_branch .LBB8_750
.LBB8_749:                              ;   in Loop: Header=BB8_750 Depth=3
	s_or_b32 exec_lo, exec_lo, s75
	v_dual_cndmask_b32 v14, 0, v123, s74 :: v_dual_cndmask_b32 v16, 64, v46, s74
	flat_store_d16_hi_b16 v[8:9], v12 th:TH_STORE_NT
	v_cndmask_b32_e64 v15, 0, v119, s74
	v_dual_cndmask_b32 v17, 0, v47, s74 :: v_dual_sub_nc_u32 v13, v13, v14
	v_cndmask_b32_e64 v14, 0, v118, s74
	s_wait_xcnt 0x0
	s_delay_alu instid0(VALU_DEP_2) | instskip(NEXT) | instid1(VALU_DEP_3)
	v_add_nc_u64_e32 v[8:9], v[8:9], v[16:17]
	v_cmp_gt_i32_e32 vcc_lo, 2, v13
	s_delay_alu instid0(VALU_DEP_3) | instskip(SKIP_3) | instid1(SALU_CYCLE_1)
	v_add_nc_u64_e32 v[10:11], v[10:11], v[14:15]
	s_or_b32 s40, vcc_lo, s40
	s_and_not1_b32 s41, s41, exec_lo
	s_and_b32 s75, s74, exec_lo
	s_or_b32 s41, s41, s75
	s_and_not1_b32 exec_lo, exec_lo, s40
	s_cbranch_execz .LBB8_762
.LBB8_750:                              ;   Parent Loop BB8_47 Depth=1
                                        ;     Parent Loop BB8_57 Depth=2
                                        ; =>    This Inner Loop Header: Depth=3
	flat_load_u16 v12, v[10:11] th:TH_LOAD_NT
	s_wait_xcnt 0x0
	s_and_saveexec_b32 s75, s74
	s_cbranch_execz .LBB8_756
; %bb.751:                              ;   in Loop: Header=BB8_750 Depth=3
	v_lshlrev_b32_e32 v5, 16, v5
	s_delay_alu instid0(VALU_DEP_1) | instskip(NEXT) | instid1(VALU_DEP_1)
	v_mul_f32_e32 v5, v4, v5
	v_and_b32_e32 v14, 0x7f800000, v5
	s_delay_alu instid0(VALU_DEP_1) | instskip(SKIP_1) | instid1(SALU_CYCLE_1)
	v_cmp_ne_u32_e32 vcc_lo, 0x7f800000, v14
                                        ; implicit-def: $vgpr14
	s_and_saveexec_b32 s74, vcc_lo
	s_xor_b32 s74, exec_lo, s74
; %bb.752:                              ;   in Loop: Header=BB8_750 Depth=3
	v_bfe_u32 v14, v5, 16, 1
	s_delay_alu instid0(VALU_DEP_1)
	v_add3_u32 v14, v5, v14, 0x7fff
                                        ; implicit-def: $vgpr5
; %bb.753:                              ;   in Loop: Header=BB8_750 Depth=3
	s_and_not1_saveexec_b32 s74, s74
; %bb.754:                              ;   in Loop: Header=BB8_750 Depth=3
	v_and_b32_e32 v14, 0xffff, v5
	v_or_b32_e32 v15, 0x10000, v5
	s_delay_alu instid0(VALU_DEP_2) | instskip(NEXT) | instid1(VALU_DEP_2)
	v_cmp_eq_u32_e32 vcc_lo, 0, v14
	v_cndmask_b32_e32 v14, v15, v5, vcc_lo
; %bb.755:                              ;   in Loop: Header=BB8_750 Depth=3
	s_or_b32 exec_lo, exec_lo, s74
	s_delay_alu instid0(VALU_DEP_1)
	v_lshrrev_b32_e32 v5, 16, v14
	flat_store_b16 v[8:9], v5 th:TH_STORE_NT
	s_wait_xcnt 0x0
	v_add_nc_u64_e32 v[8:9], v[8:9], v[46:47]
.LBB8_756:                              ;   in Loop: Header=BB8_750 Depth=3
	s_or_b32 exec_lo, exec_lo, s75
	v_sub_nc_u32_e32 v13, v13, v123
	v_add_nc_u64_e32 v[10:11], v[10:11], v[46:47]
	s_delay_alu instid0(VALU_DEP_2)
	v_cmp_lt_i32_e64 s74, 1, v13
	s_and_saveexec_b32 s75, s74
	s_cbranch_execz .LBB8_758
; %bb.757:                              ;   in Loop: Header=BB8_750 Depth=3
	flat_load_u16 v5, v[10:11] th:TH_LOAD_NT
	s_wait_xcnt 0x0
	v_add_nc_u64_e32 v[10:11], 64, v[10:11]
.LBB8_758:                              ;   in Loop: Header=BB8_750 Depth=3
	s_or_b32 exec_lo, exec_lo, s75
	s_wait_loadcnt_dscnt 0x0
	v_lshlrev_b32_e32 v12, 16, v12
	s_delay_alu instid0(VALU_DEP_1) | instskip(NEXT) | instid1(VALU_DEP_1)
	v_mul_f32_e32 v14, v4, v12
	v_and_b32_e32 v12, 0x7f800000, v14
	s_delay_alu instid0(VALU_DEP_1) | instskip(SKIP_1) | instid1(SALU_CYCLE_1)
	v_cmp_ne_u32_e32 vcc_lo, 0x7f800000, v12
                                        ; implicit-def: $vgpr12
	s_and_saveexec_b32 s75, vcc_lo
	s_xor_b32 s75, exec_lo, s75
; %bb.759:                              ;   in Loop: Header=BB8_750 Depth=3
	v_bfe_u32 v12, v14, 16, 1
	s_delay_alu instid0(VALU_DEP_1)
	v_add3_u32 v12, v14, v12, 0x7fff
                                        ; implicit-def: $vgpr14
; %bb.760:                              ;   in Loop: Header=BB8_750 Depth=3
	s_and_not1_saveexec_b32 s75, s75
	s_cbranch_execz .LBB8_749
; %bb.761:                              ;   in Loop: Header=BB8_750 Depth=3
	v_and_b32_e32 v12, 0xffff, v14
	v_or_b32_e32 v15, 0x10000, v14
	s_delay_alu instid0(VALU_DEP_2) | instskip(NEXT) | instid1(VALU_DEP_2)
	v_cmp_eq_u32_e32 vcc_lo, 0, v12
	v_cndmask_b32_e32 v12, v15, v14, vcc_lo
	s_branch .LBB8_749
.LBB8_762:                              ;   in Loop: Header=BB8_57 Depth=2
	s_or_b32 exec_lo, exec_lo, s40
	s_delay_alu instid0(SALU_CYCLE_1)
	s_and_b32 exec_lo, exec_lo, s41
	s_cbranch_execz .LBB8_768
; %bb.763:                              ;   in Loop: Header=BB8_57 Depth=2
	v_lshlrev_b32_e32 v5, 16, v5
	s_delay_alu instid0(VALU_DEP_1) | instskip(NEXT) | instid1(VALU_DEP_1)
	v_mul_f32_e32 v4, v4, v5
	v_and_b32_e32 v5, 0x7f800000, v4
	s_delay_alu instid0(VALU_DEP_1) | instskip(SKIP_1) | instid1(SALU_CYCLE_1)
	v_cmp_ne_u32_e32 vcc_lo, 0x7f800000, v5
                                        ; implicit-def: $vgpr5
	s_and_saveexec_b32 s40, vcc_lo
	s_xor_b32 s40, exec_lo, s40
; %bb.764:                              ;   in Loop: Header=BB8_57 Depth=2
	v_bfe_u32 v5, v4, 16, 1
	s_delay_alu instid0(VALU_DEP_1)
	v_add3_u32 v5, v4, v5, 0x7fff
                                        ; implicit-def: $vgpr4
; %bb.765:                              ;   in Loop: Header=BB8_57 Depth=2
	s_and_not1_saveexec_b32 s40, s40
; %bb.766:                              ;   in Loop: Header=BB8_57 Depth=2
	v_and_b32_e32 v5, 0xffff, v4
	v_or_b32_e32 v10, 0x10000, v4
	s_delay_alu instid0(VALU_DEP_2) | instskip(NEXT) | instid1(VALU_DEP_2)
	v_cmp_eq_u32_e32 vcc_lo, 0, v5
	v_cndmask_b32_e32 v5, v10, v4, vcc_lo
; %bb.767:                              ;   in Loop: Header=BB8_57 Depth=2
	s_or_b32 exec_lo, exec_lo, s40
	flat_store_d16_hi_b16 v[8:9], v5 th:TH_STORE_NT
.LBB8_768:                              ;   in Loop: Header=BB8_57 Depth=2
	s_wait_xcnt 0x0
	s_or_b32 exec_lo, exec_lo, s13
	v_cmp_lt_i32_e64 s13, 0, v2
	s_and_saveexec_b32 s40, s2
	s_cbranch_execz .LBB8_787
.LBB8_769:                              ;   in Loop: Header=BB8_57 Depth=2
	s_and_saveexec_b32 s41, s3
	s_delay_alu instid0(SALU_CYCLE_1)
	s_xor_b32 s41, exec_lo, s41
	s_cbranch_execz .LBB8_784
; %bb.770:                              ;   in Loop: Header=BB8_57 Depth=2
	s_and_saveexec_b32 s74, s6
	s_cbranch_execz .LBB8_783
; %bb.771:                              ;   in Loop: Header=BB8_57 Depth=2
	s_mov_b32 s76, exec_lo
	s_mov_b32 s75, exec_lo
	v_mbcnt_lo_u32_b32 v2, s76, 0
	global_wb scope:SCOPE_DEV
	s_wait_storecnt 0x0
	s_wait_loadcnt_dscnt 0x0
	global_inv scope:SCOPE_DEV
	v_cmpx_eq_u32_e32 0, v2
	s_cbranch_execz .LBB8_773
; %bb.772:                              ;   in Loop: Header=BB8_57 Depth=2
	s_bcnt1_i32_b32 s76, s76
	s_delay_alu instid0(SALU_CYCLE_1)
	v_mov_b32_e32 v2, s76
	s_wait_loadcnt 0x0
	ds_add_u64 v0, v[2:3]
	s_trap 2
.LBB8_773:                              ;   in Loop: Header=BB8_57 Depth=2
	s_or_b32 exec_lo, exec_lo, s75
	s_trap 2
	ds_load_b64 v[4:5], v0
	s_wait_dscnt 0x0
	v_add_nc_u64_e32 v[80:81], v[80:81], v[84:85]
	s_mov_b32 s75, exec_lo
	s_delay_alu instid0(VALU_DEP_1)
	v_cmpx_lt_u64_e64 v[4:5], v[80:81]
	s_cbranch_execz .LBB8_782
; %bb.774:                              ;   in Loop: Header=BB8_57 Depth=2
	s_mov_b32 s76, 0
	s_mov_b32 s79, 0
                                        ; implicit-def: $sgpr77
                                        ; implicit-def: $sgpr78
	s_branch .LBB8_776
.LBB8_775:                              ;   in Loop: Header=BB8_776 Depth=3
	s_or_b32 exec_lo, exec_lo, s89
	s_delay_alu instid0(SALU_CYCLE_1) | instskip(NEXT) | instid1(SALU_CYCLE_1)
	s_and_b32 s88, exec_lo, s90
	s_or_b32 s76, s88, s76
	s_and_not1_b32 s77, s77, exec_lo
	s_and_b32 s88, s78, exec_lo
	s_delay_alu instid0(SALU_CYCLE_1)
	s_or_b32 s77, s77, s88
	s_and_not1_b32 exec_lo, exec_lo, s76
	s_cbranch_execz .LBB8_780
.LBB8_776:                              ;   Parent Loop BB8_47 Depth=1
                                        ;     Parent Loop BB8_57 Depth=2
                                        ; =>    This Inner Loop Header: Depth=3
	s_add_co_i32 s79, s79, 1
	s_delay_alu instid0(SALU_CYCLE_1) | instskip(SKIP_1) | instid1(SALU_CYCLE_1)
	s_cmp_lg_u32 s79, 0x2710
	s_cselect_b32 s88, -1, 0
	s_and_b32 vcc_lo, exec_lo, s88
	s_cbranch_vccz .LBB8_778
; %bb.777:                              ;   in Loop: Header=BB8_776 Depth=3
	s_mov_b32 s90, -1
	s_or_b32 s78, s78, exec_lo
	s_and_saveexec_b32 s89, s88
	s_cbranch_execz .LBB8_775
	s_branch .LBB8_779
.LBB8_778:                              ;   in Loop: Header=BB8_776 Depth=3
	s_trap 2
	ds_load_b64 v[4:5], v0
	s_and_not1_b32 s88, s88, exec_lo
	s_mov_b32 s79, 0
	s_wait_loadcnt_dscnt 0x0
	flat_load_b32 v2, v[4:5] scope:SCOPE_SYS
	s_wait_loadcnt_dscnt 0x0
	global_inv scope:SCOPE_SYS
	v_cmp_eq_u32_e32 vcc_lo, 0, v2
	s_and_b32 s89, vcc_lo, exec_lo
	s_delay_alu instid0(SALU_CYCLE_1)
	s_or_b32 s88, s88, s89
	s_mov_b32 s90, -1
	s_or_b32 s78, s78, exec_lo
	s_wait_xcnt 0x0
	s_and_saveexec_b32 s89, s88
	s_cbranch_execz .LBB8_775
.LBB8_779:                              ;   in Loop: Header=BB8_776 Depth=3
	s_sleep 1
	s_trap 2
	ds_load_b64 v[4:5], v0
	s_wait_dscnt 0x0
	s_and_not1_b32 s78, s78, exec_lo
	v_cmp_ge_u64_e32 vcc_lo, v[4:5], v[80:81]
	s_or_not1_b32 s90, vcc_lo, exec_lo
	s_branch .LBB8_775
.LBB8_780:                              ;   in Loop: Header=BB8_57 Depth=2
	s_or_b32 exec_lo, exec_lo, s76
	s_and_saveexec_b32 s76, s77
	s_delay_alu instid0(SALU_CYCLE_1)
	s_xor_b32 s76, exec_lo, s76
	s_cbranch_execz .LBB8_782
; %bb.781:                              ;   in Loop: Header=BB8_57 Depth=2
	ds_store_b32 v0, v111
	s_trap 2
.LBB8_782:                              ;   in Loop: Header=BB8_57 Depth=2
	s_or_b32 exec_lo, exec_lo, s75
	;;#ASMSTART
	s_wakeup
	;;#ASMEND
.LBB8_783:                              ;   in Loop: Header=BB8_57 Depth=2
	s_or_b32 exec_lo, exec_lo, s74
.LBB8_784:                              ;   in Loop: Header=BB8_57 Depth=2
	s_and_not1_saveexec_b32 s41, s41
	s_cbranch_execz .LBB8_786
; %bb.785:                              ;   in Loop: Header=BB8_57 Depth=2
	global_wb scope:SCOPE_DEV
	s_wait_storecnt 0x0
	s_wait_loadcnt_dscnt 0x0
	global_inv scope:SCOPE_DEV
	s_barrier_signal -1
	s_barrier_wait -1
.LBB8_786:                              ;   in Loop: Header=BB8_57 Depth=2
	s_or_b32 exec_lo, exec_lo, s41
.LBB8_787:                              ;   in Loop: Header=BB8_57 Depth=2
	s_delay_alu instid0(SALU_CYCLE_1) | instskip(SKIP_2) | instid1(SALU_CYCLE_1)
	s_or_b32 exec_lo, exec_lo, s40
	v_and_b32_e32 v4, 16, v30
	s_and_saveexec_b32 s40, s12
	s_xor_b32 s40, exec_lo, s40
	s_cbranch_execz .LBB8_791
; %bb.788:                              ;   in Loop: Header=BB8_57 Depth=2
	v_and_b32_e32 v2, 16, v30
	v_and_b32_e32 v4, 16, v30
	s_delay_alu instid0(VALU_DEP_2) | instskip(SKIP_1) | instid1(SALU_CYCLE_1)
	v_cmp_ne_u32_e32 vcc_lo, 0, v2
	s_and_b32 s41, vcc_lo, s13
	s_and_saveexec_b32 s13, s41
	s_cbranch_execz .LBB8_790
; %bb.789:                              ;   in Loop: Header=BB8_57 Depth=2
	v_mov_b32_e32 v4, 1
	global_wb scope:SCOPE_SYS
	s_wait_storecnt 0x0
	s_wait_loadcnt_dscnt 0x0
	global_inv scope:SCOPE_SYS
.LBB8_790:                              ;   in Loop: Header=BB8_57 Depth=2
	s_or_b32 exec_lo, exec_lo, s13
.LBB8_791:                              ;   in Loop: Header=BB8_57 Depth=2
	s_and_not1_saveexec_b32 s13, s40
	s_cbranch_execz .LBB8_810
; %bb.792:                              ;   in Loop: Header=BB8_57 Depth=2
	s_and_saveexec_b32 s40, s3
	s_delay_alu instid0(SALU_CYCLE_1)
	s_xor_b32 s40, exec_lo, s40
	s_cbranch_execz .LBB8_807
; %bb.793:                              ;   in Loop: Header=BB8_57 Depth=2
	s_and_saveexec_b32 s41, s6
	s_cbranch_execz .LBB8_806
; %bb.794:                              ;   in Loop: Header=BB8_57 Depth=2
	s_mov_b32 s75, exec_lo
	s_mov_b32 s74, exec_lo
	v_mbcnt_lo_u32_b32 v2, s75, 0
	;;#ASMSTART
	s_waitcnt lgkmcnt(0) vmcnt(0)
	;;#ASMEND
	s_delay_alu instid0(VALU_DEP_1)
	v_cmpx_eq_u32_e32 0, v2
	s_cbranch_execz .LBB8_796
; %bb.795:                              ;   in Loop: Header=BB8_57 Depth=2
	s_bcnt1_i32_b32 s75, s75
	s_delay_alu instid0(SALU_CYCLE_1)
	v_mov_b32_e32 v2, s75
	s_wait_storecnt 0x0
	s_wait_loadcnt_dscnt 0x0
	ds_add_u64 v0, v[2:3]
	s_trap 2
.LBB8_796:                              ;   in Loop: Header=BB8_57 Depth=2
	s_or_b32 exec_lo, exec_lo, s74
	s_trap 2
	ds_load_b64 v[8:9], v0
	s_wait_dscnt 0x0
	v_add_nc_u64_e32 v[80:81], v[80:81], v[84:85]
	s_mov_b32 s74, exec_lo
	s_delay_alu instid0(VALU_DEP_1)
	v_cmpx_lt_u64_e64 v[8:9], v[80:81]
	s_cbranch_execz .LBB8_805
; %bb.797:                              ;   in Loop: Header=BB8_57 Depth=2
	s_mov_b32 s75, 0
	s_mov_b32 s78, 0
                                        ; implicit-def: $sgpr76
                                        ; implicit-def: $sgpr77
	s_branch .LBB8_799
.LBB8_798:                              ;   in Loop: Header=BB8_799 Depth=3
	s_or_b32 exec_lo, exec_lo, s88
	s_delay_alu instid0(SALU_CYCLE_1) | instskip(NEXT) | instid1(SALU_CYCLE_1)
	s_and_b32 s79, exec_lo, s89
	s_or_b32 s75, s79, s75
	s_and_not1_b32 s76, s76, exec_lo
	s_and_b32 s79, s77, exec_lo
	s_delay_alu instid0(SALU_CYCLE_1)
	s_or_b32 s76, s76, s79
	s_and_not1_b32 exec_lo, exec_lo, s75
	s_cbranch_execz .LBB8_803
.LBB8_799:                              ;   Parent Loop BB8_47 Depth=1
                                        ;     Parent Loop BB8_57 Depth=2
                                        ; =>    This Inner Loop Header: Depth=3
	s_add_co_i32 s78, s78, 1
	s_delay_alu instid0(SALU_CYCLE_1) | instskip(SKIP_1) | instid1(SALU_CYCLE_1)
	s_cmp_lg_u32 s78, 0x2710
	s_cselect_b32 s79, -1, 0
	s_and_b32 vcc_lo, exec_lo, s79
	s_cbranch_vccz .LBB8_801
; %bb.800:                              ;   in Loop: Header=BB8_799 Depth=3
	s_mov_b32 s89, -1
	s_or_b32 s77, s77, exec_lo
	s_and_saveexec_b32 s88, s79
	s_cbranch_execz .LBB8_798
	s_branch .LBB8_802
.LBB8_801:                              ;   in Loop: Header=BB8_799 Depth=3
	s_trap 2
	ds_load_b64 v[8:9], v0
	s_and_not1_b32 s79, s79, exec_lo
	s_mov_b32 s78, 0
	s_wait_storecnt 0x0
	s_wait_loadcnt_dscnt 0x0
	flat_load_b32 v2, v[8:9] scope:SCOPE_SYS
	s_wait_loadcnt_dscnt 0x0
	global_inv scope:SCOPE_SYS
	v_cmp_eq_u32_e32 vcc_lo, 0, v2
	s_and_b32 s88, vcc_lo, exec_lo
	s_delay_alu instid0(SALU_CYCLE_1)
	s_or_b32 s79, s79, s88
	s_mov_b32 s89, -1
	s_or_b32 s77, s77, exec_lo
	s_wait_xcnt 0x0
	s_and_saveexec_b32 s88, s79
	s_cbranch_execz .LBB8_798
.LBB8_802:                              ;   in Loop: Header=BB8_799 Depth=3
	s_sleep 1
	s_trap 2
	ds_load_b64 v[8:9], v0
	s_wait_dscnt 0x0
	s_and_not1_b32 s77, s77, exec_lo
	v_cmp_ge_u64_e32 vcc_lo, v[8:9], v[80:81]
	s_or_not1_b32 s89, vcc_lo, exec_lo
	s_branch .LBB8_798
.LBB8_803:                              ;   in Loop: Header=BB8_57 Depth=2
	s_or_b32 exec_lo, exec_lo, s75
	s_and_saveexec_b32 s75, s76
	s_delay_alu instid0(SALU_CYCLE_1)
	s_xor_b32 s75, exec_lo, s75
	s_cbranch_execz .LBB8_805
; %bb.804:                              ;   in Loop: Header=BB8_57 Depth=2
	ds_store_b32 v0, v111
	s_trap 2
.LBB8_805:                              ;   in Loop: Header=BB8_57 Depth=2
	s_or_b32 exec_lo, exec_lo, s74
	;;#ASMSTART
	s_wakeup
	;;#ASMEND
.LBB8_806:                              ;   in Loop: Header=BB8_57 Depth=2
	s_or_b32 exec_lo, exec_lo, s41
.LBB8_807:                              ;   in Loop: Header=BB8_57 Depth=2
	s_and_not1_saveexec_b32 s40, s40
	s_cbranch_execz .LBB8_809
; %bb.808:                              ;   in Loop: Header=BB8_57 Depth=2
	;;#ASMSTART
	s_waitcnt lgkmcnt(0) vmcnt(0)
	;;#ASMEND
	s_barrier_signal -1
	s_barrier_wait -1
.LBB8_809:                              ;   in Loop: Header=BB8_57 Depth=2
	s_or_b32 exec_lo, exec_lo, s40
.LBB8_810:                              ;   in Loop: Header=BB8_57 Depth=2
	s_delay_alu instid0(SALU_CYCLE_1) | instskip(NEXT) | instid1(SALU_CYCLE_1)
	s_or_b32 exec_lo, exec_lo, s13
	s_mov_b32 s13, exec_lo
	v_cmpx_ne_u32_e32 0, v4
	s_cbranch_execz .LBB8_56
; %bb.811:                              ;   in Loop: Header=BB8_57 Depth=2
	s_and_saveexec_b32 s40, s5
	s_cbranch_execz .LBB8_55
; %bb.812:                              ;   in Loop: Header=BB8_57 Depth=2
	global_wb scope:SCOPE_SYS
	s_wait_storecnt 0x0
	s_wait_loadcnt_dscnt 0x0
	flat_store_b32 v[70:71], v111 scope:SCOPE_SYS
	s_branch .LBB8_55
.LBB8_813:                              ;   in Loop: Header=BB8_47 Depth=1
	s_or_b32 exec_lo, exec_lo, s15
.LBB8_814:                              ;   in Loop: Header=BB8_47 Depth=1
	s_delay_alu instid0(SALU_CYCLE_1) | instskip(NEXT) | instid1(SALU_CYCLE_1)
	s_or_b32 exec_lo, exec_lo, s14
	s_mov_b32 s14, exec_lo
	v_cmpx_gt_i32_e32 2, v2
	s_cbranch_execz .LBB8_888
; %bb.815:                              ;   in Loop: Header=BB8_47 Depth=1
	v_cmp_eq_u32_e64 s18, 0, v2
	s_mov_b32 s15, 0
	s_branch .LBB8_818
.LBB8_816:                              ;   in Loop: Header=BB8_818 Depth=2
	s_wait_xcnt 0x0
	s_or_b32 exec_lo, exec_lo, s18
	v_add_nc_u64_e32 v[58:59], 2, v[58:59]
	global_wb scope:SCOPE_SYS
	s_wait_storecnt 0x0
	s_wait_loadcnt_dscnt 0x0
	flat_store_b64 v[64:65], v[58:59] scope:SCOPE_SYS
.LBB8_817:                              ;   in Loop: Header=BB8_818 Depth=2
	s_wait_xcnt 0x0
	s_or_b32 exec_lo, exec_lo, s13
	v_add_nc_u32_e32 v74, v72, v74
	s_mov_b32 s18, 0
	s_and_not1_b32 exec_lo, exec_lo, s15
	s_cbranch_execz .LBB8_887
.LBB8_818:                              ;   Parent Loop BB8_47 Depth=1
                                        ; =>  This Loop Header: Depth=2
                                        ;       Child Loop BB8_824 Depth 3
                                        ;       Child Loop BB8_848 Depth 3
                                        ;       Child Loop BB8_873 Depth 3
	s_delay_alu instid0(VALU_DEP_1) | instskip(SKIP_2) | instid1(VALU_DEP_2)
	v_sub_nc_u32_e32 v2, v94, v74
	v_and_b32_e32 v4, 8, v30
	s_mov_b32 s27, exec_lo
	v_min_i32_e32 v72, v72, v2
	s_delay_alu instid0(VALU_DEP_2)
	v_cmpx_ne_u32_e32 0, v4
	s_cbranch_execz .LBB8_840
; %bb.819:                              ;   in Loop: Header=BB8_818 Depth=2
	s_wait_loadcnt_dscnt 0x1
	v_add_nc_u64_e32 v[4:5], 8, v[82:83]
	v_add_nc_u64_e32 v[8:9], 2, v[58:59]
	s_mov_b32 s40, exec_lo
	s_delay_alu instid0(VALU_DEP_1)
	v_cmpx_lt_u64_e64 v[4:5], v[8:9]
	s_cbranch_execz .LBB8_831
; %bb.820:                              ;   in Loop: Header=BB8_818 Depth=2
	v_and_b32_e32 v2, 64, v30
	s_mov_b32 s41, 0
	s_mov_b32 s77, 0
                                        ; implicit-def: $sgpr74
                                        ; implicit-def: $sgpr75
                                        ; implicit-def: $sgpr76
	s_delay_alu instid0(VALU_DEP_1)
	v_cmp_eq_u32_e32 vcc_lo, 0, v2
	s_branch .LBB8_824
.LBB8_821:                              ;   in Loop: Header=BB8_824 Depth=3
	s_wait_loadcnt_dscnt 0x0
	v_add_nc_u64_e32 v[4:5], 8, v[82:83]
	s_or_b32 s88, s88, exec_lo
	s_delay_alu instid0(VALU_DEP_1)
	v_cmp_ge_u64_e64 s13, v[4:5], v[8:9]
	s_or_not1_b32 s79, s13, exec_lo
.LBB8_822:                              ;   in Loop: Header=BB8_824 Depth=3
	s_or_b32 exec_lo, exec_lo, s90
	s_delay_alu instid0(SALU_CYCLE_1)
	s_and_not1_b32 s13, s76, exec_lo
	s_and_b32 s76, s88, exec_lo
	s_and_not1_b32 s75, s75, exec_lo
	s_and_b32 s79, s79, exec_lo
	s_or_b32 s76, s13, s76
	s_or_b32 s75, s75, s79
.LBB8_823:                              ;   in Loop: Header=BB8_824 Depth=3
	s_or_b32 exec_lo, exec_lo, s78
	s_delay_alu instid0(SALU_CYCLE_1) | instskip(NEXT) | instid1(SALU_CYCLE_1)
	s_and_b32 s13, exec_lo, s75
	s_or_b32 s41, s13, s41
	s_and_not1_b32 s13, s74, exec_lo
	s_and_b32 s74, s76, exec_lo
	s_delay_alu instid0(SALU_CYCLE_1)
	s_or_b32 s74, s13, s74
	s_and_not1_b32 exec_lo, exec_lo, s41
	s_cbranch_execz .LBB8_828
.LBB8_824:                              ;   Parent Loop BB8_47 Depth=1
                                        ;     Parent Loop BB8_818 Depth=2
                                        ; =>    This Inner Loop Header: Depth=3
	s_sleep 1
	s_wait_loadcnt_dscnt 0x0
	flat_load_b64 v[82:83], v[64:65] scope:SCOPE_SYS
	s_or_b32 s76, s76, exec_lo
	s_or_b32 s75, s75, exec_lo
                                        ; implicit-def: $vgpr2
	s_wait_xcnt 0x0
	s_and_saveexec_b32 s78, vcc_lo
	s_cbranch_execz .LBB8_823
; %bb.825:                              ;   in Loop: Header=BB8_824 Depth=3
	s_cmp_lt_i32 s77, 0x270f
	s_mov_b32 s79, -1
	s_cselect_b32 s89, -1, 0
	s_cmp_gt_i32 s77, 0x270e
	s_cbranch_scc0 .LBB8_827
; %bb.826:                              ;   in Loop: Header=BB8_824 Depth=3
	s_trap 2
	ds_load_b64 v[4:5], v0
	s_and_not1_b32 s77, s89, exec_lo
	s_mov_b32 s88, 0
	s_wait_storecnt 0x0
	s_wait_loadcnt_dscnt 0x0
	flat_load_b32 v2, v[4:5] scope:SCOPE_SYS
	s_wait_loadcnt_dscnt 0x0
	global_inv scope:SCOPE_SYS
	v_cmp_eq_u32_e64 s13, 0, v2
	s_and_b32 s13, s13, exec_lo
	s_delay_alu instid0(SALU_CYCLE_1)
	s_or_b32 s89, s77, s13
	s_mov_b32 s77, 0
	s_wait_xcnt 0x0
	s_and_saveexec_b32 s90, s89
	s_cbranch_execz .LBB8_822
	s_branch .LBB8_821
.LBB8_827:                              ;   in Loop: Header=BB8_824 Depth=3
	s_add_co_i32 s77, s77, 1
	s_mov_b32 s88, -1
                                        ; implicit-def: $vgpr2
	s_and_saveexec_b32 s90, s89
	s_cbranch_execz .LBB8_822
	s_branch .LBB8_821
.LBB8_828:                              ;   in Loop: Header=BB8_818 Depth=2
	s_or_b32 exec_lo, exec_lo, s41
	s_xor_b32 s13, s74, -1
	s_delay_alu instid0(SALU_CYCLE_1) | instskip(NEXT) | instid1(SALU_CYCLE_1)
	s_and_saveexec_b32 s41, s13
	s_xor_b32 s13, exec_lo, s41
	s_cbranch_execz .LBB8_830
; %bb.829:                              ;   in Loop: Header=BB8_818 Depth=2
	v_or_b32_e32 v30, 64, v30
	s_wait_storecnt 0x0
	s_wait_loadcnt_dscnt 0x0
	ds_store_b32 v0, v2
	s_trap 2
.LBB8_830:                              ;   in Loop: Header=BB8_818 Depth=2
	s_or_b32 exec_lo, exec_lo, s13
.LBB8_831:                              ;   in Loop: Header=BB8_818 Depth=2
	s_delay_alu instid0(SALU_CYCLE_1) | instskip(SKIP_3) | instid1(VALU_DEP_1)
	s_or_b32 exec_lo, exec_lo, s40
	v_and_b32_e32 v2, 0x100, v30
	s_mov_b32 s40, 0
	;;#ASMSTART
	s_wakeup
	;;#ASMEND
                                        ; implicit-def: $vgpr10_vgpr11
	v_cmp_ne_u32_e32 vcc_lo, 0, v2
	v_and_b32_e32 v2, 7, v58
	s_and_saveexec_b32 s13, vcc_lo
	s_delay_alu instid0(SALU_CYCLE_1)
	s_xor_b32 s13, exec_lo, s13
	s_cbranch_execz .LBB8_852
; %bb.832:                              ;   in Loop: Header=BB8_818 Depth=2
	s_delay_alu instid0(VALU_DEP_1) | instskip(SKIP_2) | instid1(VALU_DEP_1)
	v_mad_nc_u64_u32 v[12:13], v2, 24, v[6:7]
	v_ashrrev_i32_e32 v73, 31, v72
	s_mov_b32 s40, -1
	v_lshlrev_b64_e32 v[4:5], 1, v[72:73]
	s_clause 0x1
	flat_load_b32 v10, v[12:13]
	flat_store_b64 v[12:13], v[4:5] offset:8
	s_wait_loadcnt_dscnt 0x1
	v_cmp_eq_u32_e32 vcc_lo, 1, v10
                                        ; implicit-def: $vgpr10_vgpr11
	s_wait_xcnt 0x0
	s_and_saveexec_b32 s41, vcc_lo
	s_cbranch_execz .LBB8_834
; %bb.833:                              ;   in Loop: Header=BB8_818 Depth=2
	flat_load_b32 v4, v[12:13] offset:4 scope:SCOPE_SYS
	s_xor_b32 s40, exec_lo, -1
	s_wait_loadcnt_dscnt 0x0
	v_ashrrev_i32_e32 v5, 31, v4
	s_delay_alu instid0(VALU_DEP_1)
	v_lshrrev_b64 v[10:11], 1, v[4:5]
.LBB8_834:                              ;   in Loop: Header=BB8_818 Depth=2
	s_wait_xcnt 0x0
	s_or_b32 exec_lo, exec_lo, s41
	s_delay_alu instid0(SALU_CYCLE_1)
	s_and_b32 s40, s40, exec_lo
	s_and_not1_saveexec_b32 s13, s13
	s_cbranch_execnz .LBB8_853
.LBB8_835:                              ;   in Loop: Header=BB8_818 Depth=2
	s_or_b32 exec_lo, exec_lo, s13
	s_and_saveexec_b32 s13, s40
.LBB8_836:                              ;   in Loop: Header=BB8_818 Depth=2
	v_mul_u64_e32 v[10:11], v[2:3], v[66:67]
.LBB8_837:                              ;   in Loop: Header=BB8_818 Depth=2
	s_or_b32 exec_lo, exec_lo, s13
	v_and_b32_e32 v2, 0x2000, v30
	s_delay_alu instid0(VALU_DEP_2)
	v_lshl_add_u64 v[4:5], v[10:11], 1, v[68:69]
	s_mov_b32 s13, exec_lo
	ds_store_b64 v0, v[4:5] offset:784
	v_cmpx_ne_u32_e32 0, v2
	s_cbranch_execz .LBB8_839
; %bb.838:                              ;   in Loop: Header=BB8_818 Depth=2
	ds_load_b64 v[4:5], v0 offset:872
	s_wait_dscnt 0x0
	v_add_nc_u64_e32 v[4:5], 1, v[4:5]
	ds_store_b64 v0, v[4:5] offset:872
.LBB8_839:                              ;   in Loop: Header=BB8_818 Depth=2
	s_or_b32 exec_lo, exec_lo, s13
	v_mov_b64_e32 v[58:59], v[8:9]
.LBB8_840:                              ;   in Loop: Header=BB8_818 Depth=2
	s_or_b32 exec_lo, exec_lo, s27
	s_xor_b32 s13, s18, -1
	s_delay_alu instid0(SALU_CYCLE_1) | instskip(NEXT) | instid1(SALU_CYCLE_1)
	s_and_b32 s13, exec_lo, s13
	s_or_b32 s15, s13, s15
	s_and_saveexec_b32 s13, s2
	s_cbranch_execz .LBB8_861
; %bb.841:                              ;   in Loop: Header=BB8_818 Depth=2
	s_and_saveexec_b32 s18, s3
	s_delay_alu instid0(SALU_CYCLE_1)
	s_xor_b32 s18, exec_lo, s18
	s_cbranch_execz .LBB8_858
; %bb.842:                              ;   in Loop: Header=BB8_818 Depth=2
	s_and_saveexec_b32 s27, s6
	s_cbranch_execz .LBB8_857
; %bb.843:                              ;   in Loop: Header=BB8_818 Depth=2
	s_mov_b32 s41, exec_lo
	s_mov_b32 s40, exec_lo
	v_mbcnt_lo_u32_b32 v2, s41, 0
	global_wb scope:SCOPE_DEV
	s_wait_storecnt 0x0
	s_wait_loadcnt_dscnt 0x0
	global_inv scope:SCOPE_DEV
	v_cmpx_eq_u32_e32 0, v2
	s_cbranch_execz .LBB8_845
; %bb.844:                              ;   in Loop: Header=BB8_818 Depth=2
	s_bcnt1_i32_b32 s41, s41
	s_delay_alu instid0(SALU_CYCLE_1)
	v_mov_b32_e32 v2, s41
	s_wait_loadcnt 0x0
	ds_add_u64 v0, v[2:3]
	s_trap 2
.LBB8_845:                              ;   in Loop: Header=BB8_818 Depth=2
	s_or_b32 exec_lo, exec_lo, s40
	s_trap 2
	ds_load_b64 v[4:5], v0
	s_wait_dscnt 0x0
	v_add_nc_u64_e32 v[80:81], v[80:81], v[84:85]
	s_mov_b32 s40, exec_lo
	s_delay_alu instid0(VALU_DEP_1)
	v_cmpx_lt_u64_e64 v[4:5], v[80:81]
	s_cbranch_execz .LBB8_856
; %bb.846:                              ;   in Loop: Header=BB8_818 Depth=2
	s_mov_b32 s41, 0
	s_mov_b32 s76, 0
                                        ; implicit-def: $sgpr74
                                        ; implicit-def: $sgpr75
	s_branch .LBB8_848
.LBB8_847:                              ;   in Loop: Header=BB8_848 Depth=3
	s_or_b32 exec_lo, exec_lo, s78
	s_delay_alu instid0(SALU_CYCLE_1) | instskip(NEXT) | instid1(SALU_CYCLE_1)
	s_and_b32 s77, exec_lo, s79
	s_or_b32 s41, s77, s41
	s_and_not1_b32 s74, s74, exec_lo
	s_and_b32 s77, s75, exec_lo
	s_delay_alu instid0(SALU_CYCLE_1)
	s_or_b32 s74, s74, s77
	s_and_not1_b32 exec_lo, exec_lo, s41
	s_cbranch_execz .LBB8_854
.LBB8_848:                              ;   Parent Loop BB8_47 Depth=1
                                        ;     Parent Loop BB8_818 Depth=2
                                        ; =>    This Inner Loop Header: Depth=3
	s_add_co_i32 s76, s76, 1
	s_delay_alu instid0(SALU_CYCLE_1) | instskip(SKIP_1) | instid1(SALU_CYCLE_1)
	s_cmp_lg_u32 s76, 0x2710
	s_cselect_b32 s77, -1, 0
	s_and_b32 vcc_lo, exec_lo, s77
	s_cbranch_vccz .LBB8_850
; %bb.849:                              ;   in Loop: Header=BB8_848 Depth=3
	s_mov_b32 s79, -1
	s_or_b32 s75, s75, exec_lo
	s_and_saveexec_b32 s78, s77
	s_cbranch_execz .LBB8_847
	s_branch .LBB8_851
.LBB8_850:                              ;   in Loop: Header=BB8_848 Depth=3
	s_trap 2
	ds_load_b64 v[4:5], v0
	s_and_not1_b32 s77, s77, exec_lo
	s_mov_b32 s76, 0
	s_wait_loadcnt_dscnt 0x0
	flat_load_b32 v2, v[4:5] scope:SCOPE_SYS
	s_wait_loadcnt_dscnt 0x0
	global_inv scope:SCOPE_SYS
	v_cmp_eq_u32_e32 vcc_lo, 0, v2
	s_and_b32 s78, vcc_lo, exec_lo
	s_delay_alu instid0(SALU_CYCLE_1)
	s_or_b32 s77, s77, s78
	s_mov_b32 s79, -1
	s_or_b32 s75, s75, exec_lo
	s_wait_xcnt 0x0
	s_and_saveexec_b32 s78, s77
	s_cbranch_execz .LBB8_847
.LBB8_851:                              ;   in Loop: Header=BB8_848 Depth=3
	s_sleep 1
	s_trap 2
	ds_load_b64 v[4:5], v0
	s_wait_dscnt 0x0
	s_and_not1_b32 s75, s75, exec_lo
	v_cmp_ge_u64_e32 vcc_lo, v[4:5], v[80:81]
	s_or_not1_b32 s79, vcc_lo, exec_lo
	s_branch .LBB8_847
.LBB8_852:                              ;   in Loop: Header=BB8_818 Depth=2
	s_and_not1_saveexec_b32 s13, s13
	s_cbranch_execz .LBB8_835
.LBB8_853:                              ;   in Loop: Header=BB8_818 Depth=2
	s_or_b32 s40, s40, exec_lo
	s_or_b32 exec_lo, exec_lo, s13
	s_and_saveexec_b32 s13, s40
	s_cbranch_execnz .LBB8_836
	s_branch .LBB8_837
.LBB8_854:                              ;   in Loop: Header=BB8_818 Depth=2
	s_or_b32 exec_lo, exec_lo, s41
	s_and_saveexec_b32 s41, s74
	s_delay_alu instid0(SALU_CYCLE_1)
	s_xor_b32 s41, exec_lo, s41
	s_cbranch_execz .LBB8_856
; %bb.855:                              ;   in Loop: Header=BB8_818 Depth=2
	ds_store_b32 v0, v111
	s_trap 2
.LBB8_856:                              ;   in Loop: Header=BB8_818 Depth=2
	s_or_b32 exec_lo, exec_lo, s40
	;;#ASMSTART
	s_wakeup
	;;#ASMEND
.LBB8_857:                              ;   in Loop: Header=BB8_818 Depth=2
	s_or_b32 exec_lo, exec_lo, s27
.LBB8_858:                              ;   in Loop: Header=BB8_818 Depth=2
	s_and_not1_saveexec_b32 s18, s18
	s_cbranch_execz .LBB8_860
; %bb.859:                              ;   in Loop: Header=BB8_818 Depth=2
	global_wb scope:SCOPE_DEV
	s_wait_storecnt 0x0
	s_wait_loadcnt_dscnt 0x0
	global_inv scope:SCOPE_DEV
	s_barrier_signal -1
	s_barrier_wait -1
.LBB8_860:                              ;   in Loop: Header=BB8_818 Depth=2
	s_or_b32 exec_lo, exec_lo, s18
.LBB8_861:                              ;   in Loop: Header=BB8_818 Depth=2
	s_delay_alu instid0(SALU_CYCLE_1) | instskip(SKIP_2) | instid1(SALU_CYCLE_1)
	s_or_b32 exec_lo, exec_lo, s13
	v_and_b32_e32 v4, 16, v30
	s_and_saveexec_b32 s13, s12
	s_xor_b32 s18, exec_lo, s13
	s_cbranch_execz .LBB8_865
; %bb.862:                              ;   in Loop: Header=BB8_818 Depth=2
	s_trap 2
	ds_load_b32 v2, v0
	v_cmp_lt_i32_e32 vcc_lo, 0, v72
	v_and_b32_e32 v4, 16, v30
	s_wait_dscnt 0x0
	v_readfirstlane_b32 s13, v2
	v_and_b32_e32 v2, 16, v30
	s_cmp_eq_u32 s13, 0
	s_delay_alu instid0(VALU_DEP_1) | instskip(SKIP_1) | instid1(SALU_CYCLE_1)
	v_cmp_ne_u32_e64 s13, 0, v2
	s_cselect_b32 s27, -1, 0
	s_and_b32 s27, vcc_lo, s27
	s_delay_alu instid0(SALU_CYCLE_1) | instskip(NEXT) | instid1(SALU_CYCLE_1)
	s_and_b32 s27, s13, s27
	s_and_saveexec_b32 s13, s27
	s_cbranch_execz .LBB8_864
; %bb.863:                              ;   in Loop: Header=BB8_818 Depth=2
	v_mov_b32_e32 v4, 1
	global_wb scope:SCOPE_SYS
	s_wait_loadcnt 0x0
	s_wait_storecnt 0x0
	global_inv scope:SCOPE_SYS
.LBB8_864:                              ;   in Loop: Header=BB8_818 Depth=2
	s_or_b32 exec_lo, exec_lo, s13
.LBB8_865:                              ;   in Loop: Header=BB8_818 Depth=2
	s_and_not1_saveexec_b32 s13, s18
	s_cbranch_execz .LBB8_884
; %bb.866:                              ;   in Loop: Header=BB8_818 Depth=2
	s_and_saveexec_b32 s18, s3
	s_delay_alu instid0(SALU_CYCLE_1)
	s_xor_b32 s18, exec_lo, s18
	s_cbranch_execz .LBB8_881
; %bb.867:                              ;   in Loop: Header=BB8_818 Depth=2
	s_and_saveexec_b32 s27, s6
	s_cbranch_execz .LBB8_880
; %bb.868:                              ;   in Loop: Header=BB8_818 Depth=2
	s_mov_b32 s41, exec_lo
	s_mov_b32 s40, exec_lo
	v_mbcnt_lo_u32_b32 v2, s41, 0
	;;#ASMSTART
	s_waitcnt lgkmcnt(0) vmcnt(0)
	;;#ASMEND
	s_delay_alu instid0(VALU_DEP_1)
	v_cmpx_eq_u32_e32 0, v2
	s_cbranch_execz .LBB8_870
; %bb.869:                              ;   in Loop: Header=BB8_818 Depth=2
	s_bcnt1_i32_b32 s41, s41
	s_delay_alu instid0(SALU_CYCLE_1)
	v_mov_b32_e32 v2, s41
	s_wait_storecnt 0x0
	s_wait_loadcnt_dscnt 0x0
	ds_add_u64 v0, v[2:3]
	s_trap 2
.LBB8_870:                              ;   in Loop: Header=BB8_818 Depth=2
	s_or_b32 exec_lo, exec_lo, s40
	s_trap 2
	ds_load_b64 v[8:9], v0
	s_wait_dscnt 0x0
	v_add_nc_u64_e32 v[80:81], v[80:81], v[84:85]
	s_mov_b32 s40, exec_lo
	s_delay_alu instid0(VALU_DEP_1)
	v_cmpx_lt_u64_e64 v[8:9], v[80:81]
	s_cbranch_execz .LBB8_879
; %bb.871:                              ;   in Loop: Header=BB8_818 Depth=2
	s_mov_b32 s41, 0
	s_mov_b32 s76, 0
                                        ; implicit-def: $sgpr74
                                        ; implicit-def: $sgpr75
	s_branch .LBB8_873
.LBB8_872:                              ;   in Loop: Header=BB8_873 Depth=3
	s_or_b32 exec_lo, exec_lo, s78
	s_delay_alu instid0(SALU_CYCLE_1) | instskip(NEXT) | instid1(SALU_CYCLE_1)
	s_and_b32 s77, exec_lo, s79
	s_or_b32 s41, s77, s41
	s_and_not1_b32 s74, s74, exec_lo
	s_and_b32 s77, s75, exec_lo
	s_delay_alu instid0(SALU_CYCLE_1)
	s_or_b32 s74, s74, s77
	s_and_not1_b32 exec_lo, exec_lo, s41
	s_cbranch_execz .LBB8_877
.LBB8_873:                              ;   Parent Loop BB8_47 Depth=1
                                        ;     Parent Loop BB8_818 Depth=2
                                        ; =>    This Inner Loop Header: Depth=3
	s_add_co_i32 s76, s76, 1
	s_delay_alu instid0(SALU_CYCLE_1) | instskip(SKIP_1) | instid1(SALU_CYCLE_1)
	s_cmp_lg_u32 s76, 0x2710
	s_cselect_b32 s77, -1, 0
	s_and_b32 vcc_lo, exec_lo, s77
	s_cbranch_vccz .LBB8_875
; %bb.874:                              ;   in Loop: Header=BB8_873 Depth=3
	s_mov_b32 s79, -1
	s_or_b32 s75, s75, exec_lo
	s_and_saveexec_b32 s78, s77
	s_cbranch_execz .LBB8_872
	s_branch .LBB8_876
.LBB8_875:                              ;   in Loop: Header=BB8_873 Depth=3
	s_trap 2
	ds_load_b64 v[8:9], v0
	s_and_not1_b32 s77, s77, exec_lo
	s_mov_b32 s76, 0
	s_wait_storecnt 0x0
	s_wait_loadcnt_dscnt 0x0
	flat_load_b32 v2, v[8:9] scope:SCOPE_SYS
	s_wait_loadcnt_dscnt 0x0
	global_inv scope:SCOPE_SYS
	v_cmp_eq_u32_e32 vcc_lo, 0, v2
	s_and_b32 s78, vcc_lo, exec_lo
	s_delay_alu instid0(SALU_CYCLE_1)
	s_or_b32 s77, s77, s78
	s_mov_b32 s79, -1
	s_or_b32 s75, s75, exec_lo
	s_wait_xcnt 0x0
	s_and_saveexec_b32 s78, s77
	s_cbranch_execz .LBB8_872
.LBB8_876:                              ;   in Loop: Header=BB8_873 Depth=3
	s_sleep 1
	s_trap 2
	ds_load_b64 v[8:9], v0
	s_wait_dscnt 0x0
	s_and_not1_b32 s75, s75, exec_lo
	v_cmp_ge_u64_e32 vcc_lo, v[8:9], v[80:81]
	s_or_not1_b32 s79, vcc_lo, exec_lo
	s_branch .LBB8_872
.LBB8_877:                              ;   in Loop: Header=BB8_818 Depth=2
	s_or_b32 exec_lo, exec_lo, s41
	s_and_saveexec_b32 s41, s74
	s_delay_alu instid0(SALU_CYCLE_1)
	s_xor_b32 s41, exec_lo, s41
	s_cbranch_execz .LBB8_879
; %bb.878:                              ;   in Loop: Header=BB8_818 Depth=2
	ds_store_b32 v0, v111
	s_trap 2
.LBB8_879:                              ;   in Loop: Header=BB8_818 Depth=2
	s_or_b32 exec_lo, exec_lo, s40
	;;#ASMSTART
	s_wakeup
	;;#ASMEND
.LBB8_880:                              ;   in Loop: Header=BB8_818 Depth=2
	s_or_b32 exec_lo, exec_lo, s27
.LBB8_881:                              ;   in Loop: Header=BB8_818 Depth=2
	s_and_not1_saveexec_b32 s18, s18
	s_cbranch_execz .LBB8_883
; %bb.882:                              ;   in Loop: Header=BB8_818 Depth=2
	;;#ASMSTART
	s_waitcnt lgkmcnt(0) vmcnt(0)
	;;#ASMEND
	s_barrier_signal -1
	s_barrier_wait -1
.LBB8_883:                              ;   in Loop: Header=BB8_818 Depth=2
	s_or_b32 exec_lo, exec_lo, s18
.LBB8_884:                              ;   in Loop: Header=BB8_818 Depth=2
	s_delay_alu instid0(SALU_CYCLE_1) | instskip(NEXT) | instid1(SALU_CYCLE_1)
	s_or_b32 exec_lo, exec_lo, s13
	s_mov_b32 s13, exec_lo
	v_cmpx_ne_u32_e32 0, v4
	s_cbranch_execz .LBB8_817
; %bb.885:                              ;   in Loop: Header=BB8_818 Depth=2
	s_and_saveexec_b32 s18, s5
	s_cbranch_execz .LBB8_816
; %bb.886:                              ;   in Loop: Header=BB8_818 Depth=2
	global_wb scope:SCOPE_SYS
	s_wait_storecnt 0x0
	s_wait_loadcnt_dscnt 0x0
	flat_store_b32 v[70:71], v111 scope:SCOPE_SYS
	s_branch .LBB8_816
.LBB8_887:                              ;   in Loop: Header=BB8_47 Depth=1
	s_or_b32 exec_lo, exec_lo, s15
.LBB8_888:                              ;   in Loop: Header=BB8_47 Depth=1
	s_delay_alu instid0(SALU_CYCLE_1) | instskip(NEXT) | instid1(SALU_CYCLE_1)
	s_or_b32 exec_lo, exec_lo, s14
	s_and_not1_b32 vcc_lo, exec_lo, s46
	s_cbranch_vccnz .LBB8_1940
; %bb.889:                              ;   in Loop: Header=BB8_47 Depth=1
	s_mov_b32 s18, 2
	s_branch .LBB8_892
.LBB8_890:                              ;   in Loop: Header=BB8_892 Depth=2
	s_or_b32 exec_lo, exec_lo, s15
.LBB8_891:                              ;   in Loop: Header=BB8_892 Depth=2
	s_delay_alu instid0(SALU_CYCLE_1) | instskip(SKIP_1) | instid1(SALU_CYCLE_1)
	s_or_b32 exec_lo, exec_lo, s14
	s_add_co_i32 s18, s18, 1
	s_cmp_eq_u32 s18, s16
	s_cbranch_scc1 .LBB8_1940
.LBB8_892:                              ;   Parent Loop BB8_47 Depth=1
                                        ; =>  This Loop Header: Depth=2
                                        ;       Child Loop BB8_895 Depth 3
                                        ;         Child Loop BB8_903 Depth 4
                                        ;         Child Loop BB8_931 Depth 4
                                        ;         Child Loop BB8_950 Depth 4
                                        ;         Child Loop BB8_979 Depth 4
                                        ;         Child Loop BB8_1375 Depth 4
                                        ;           Child Loop BB8_1376 Depth 5
                                        ;           Child Loop BB8_1445 Depth 5
                                        ;         Child Loop BB8_1586 Depth 4
                                        ;         Child Loop BB8_1789 Depth 4
                                        ;           Child Loop BB8_1790 Depth 5
                                        ;           Child Loop BB8_1803 Depth 5
                                        ;         Child Loop BB8_1830 Depth 4
                                        ;         Child Loop BB8_1849 Depth 4
                                        ;       Child Loop BB8_1868 Depth 3
                                        ;         Child Loop BB8_1874 Depth 4
                                        ;         Child Loop BB8_1902 Depth 4
	;; [unrolled: 1-line block ×3, first 2 shown]
	s_sub_co_i32 s13, s44, s18
	s_mov_b32 s74, 0
	s_cmp_ge_i32 s13, s16
	v_mov_b32_e32 v74, 0
	s_cselect_b32 s14, s16, 0
	s_delay_alu instid0(SALU_CYCLE_1) | instskip(NEXT) | instid1(SALU_CYCLE_1)
	s_sub_co_i32 s14, s13, s14
	s_ashr_i32 s15, s14, 31
	s_delay_alu instid0(SALU_CYCLE_1) | instskip(NEXT) | instid1(VALU_DEP_1)
	v_mul_u64_e32 v[76:77], s[14:15], v[56:57]
	v_sub_nc_u64_e32 v[4:5], v[60:61], v[76:77]
	s_delay_alu instid0(VALU_DEP_1) | instskip(NEXT) | instid1(VALU_DEP_1)
	v_min_i64 v[4:5], v[56:57], v[4:5]
	v_max_i32_e32 v104, 0, v4
	v_cmp_lt_i32_e32 vcc_lo, 0, v4
	s_delay_alu instid0(VALU_DEP_2) | instskip(SKIP_1) | instid1(VALU_DEP_1)
	v_add_nc_u32_e32 v2, 31, v104
	s_and_b32 s13, s63, vcc_lo
	v_lshrrev_b32_e32 v2, 1, v2
	s_delay_alu instid0(VALU_DEP_1) | instskip(NEXT) | instid1(VALU_DEP_1)
	v_and_b32_e32 v5, 0x3ffffff0, v2
	v_dual_mov_b32 v2, 0 :: v_dual_max_i32 v72, s45, v5
	s_and_saveexec_b32 s27, s13
	s_cbranch_execz .LBB8_1865
; %bb.893:                              ;   in Loop: Header=BB8_892 Depth=2
	v_mov_b32_e32 v74, 0
	s_mov_b32 s76, 1
	s_mov_b32 s75, -1
	s_branch .LBB8_895
.LBB8_894:                              ;   in Loop: Header=BB8_895 Depth=3
	s_wait_xcnt 0x0
	s_or_b32 exec_lo, exec_lo, s13
	v_dual_add_nc_u32 v74, v72, v74 :: v_dual_mov_b32 v2, s76
	s_xor_b32 s13, s75, -1
	s_mov_b32 s75, 0
	s_mov_b32 s76, 2
	s_delay_alu instid0(VALU_DEP_1) | instskip(SKIP_1) | instid1(SALU_CYCLE_1)
	v_cmp_ge_i32_e32 vcc_lo, v74, v104
	s_or_b32 s13, s13, vcc_lo
	s_and_b32 s13, exec_lo, s13
	s_delay_alu instid0(SALU_CYCLE_1) | instskip(NEXT) | instid1(SALU_CYCLE_1)
	s_or_b32 s74, s13, s74
	s_and_not1_b32 exec_lo, exec_lo, s74
	s_cbranch_execz .LBB8_1864
.LBB8_895:                              ;   Parent Loop BB8_47 Depth=1
                                        ;     Parent Loop BB8_892 Depth=2
                                        ; =>    This Loop Header: Depth=3
                                        ;         Child Loop BB8_903 Depth 4
                                        ;         Child Loop BB8_931 Depth 4
	;; [unrolled: 1-line block ×5, first 2 shown]
                                        ;           Child Loop BB8_1376 Depth 5
                                        ;           Child Loop BB8_1445 Depth 5
                                        ;         Child Loop BB8_1586 Depth 4
                                        ;         Child Loop BB8_1789 Depth 4
                                        ;           Child Loop BB8_1790 Depth 5
                                        ;           Child Loop BB8_1803 Depth 5
                                        ;         Child Loop BB8_1830 Depth 4
                                        ;         Child Loop BB8_1849 Depth 4
	s_and_saveexec_b32 s13, s0
	s_cbranch_execz .LBB8_897
; %bb.896:                              ;   in Loop: Header=BB8_895 Depth=3
	s_trap 2
	ds_load_b64 v[4:5], v0
	v_ashrrev_i32_e32 v75, 31, v74
	s_wait_dscnt 0x0
	v_lshl_add_u64 v[4:5], v[62:63], 1, v[4:5]
	s_delay_alu instid0(VALU_DEP_1) | instskip(NEXT) | instid1(VALU_DEP_1)
	v_lshl_add_u64 v[4:5], v[76:77], 1, v[4:5]
	v_lshl_add_u64 v[4:5], v[74:75], 1, v[4:5]
	ds_store_b64 v0, v[4:5]
	ds_store_b64 v0, v[86:87]
.LBB8_897:                              ;   in Loop: Header=BB8_895 Depth=3
	s_or_b32 exec_lo, exec_lo, s13
	v_sub_nc_u32_e32 v2, v104, v74
	v_and_b32_e32 v4, 12, v30
	s_mov_b32 s14, exec_lo
	s_delay_alu instid0(VALU_DEP_2) | instskip(NEXT) | instid1(VALU_DEP_2)
	v_min_i32_e32 v72, v72, v2
	v_cmpx_ne_u32_e32 0, v4
	s_cbranch_execz .LBB8_923
; %bb.898:                              ;   in Loop: Header=BB8_895 Depth=3
	v_and_b32_e32 v2, 8, v30
	v_add_nc_u64_e32 v[8:9], 2, v[58:59]
	s_mov_b32 s15, exec_lo
	s_wait_loadcnt_dscnt 0x1
	s_delay_alu instid0(VALU_DEP_2) | instskip(NEXT) | instid1(VALU_DEP_1)
	v_add_nc_u64_e32 v[4:5], v[82:83], v[2:3]
	v_cmpx_lt_u64_e64 v[4:5], v[8:9]
	s_cbranch_execz .LBB8_910
; %bb.899:                              ;   in Loop: Header=BB8_895 Depth=3
	v_and_b32_e32 v4, 64, v30
	s_mov_b32 s40, 0
	s_mov_b32 s79, 0
                                        ; implicit-def: $sgpr41
                                        ; implicit-def: $sgpr77
                                        ; implicit-def: $sgpr78
	s_delay_alu instid0(VALU_DEP_1)
	v_cmp_eq_u32_e32 vcc_lo, 0, v4
	s_branch .LBB8_903
.LBB8_900:                              ;   in Loop: Header=BB8_903 Depth=4
	s_wait_loadcnt_dscnt 0x0
	v_add_nc_u64_e32 v[10:11], v[82:83], v[2:3]
	s_or_b32 s90, s90, exec_lo
	s_delay_alu instid0(VALU_DEP_1)
	v_cmp_ge_u64_e64 s13, v[10:11], v[8:9]
	s_or_not1_b32 s89, s13, exec_lo
.LBB8_901:                              ;   in Loop: Header=BB8_903 Depth=4
	s_or_b32 exec_lo, exec_lo, s92
	s_delay_alu instid0(SALU_CYCLE_1)
	s_and_not1_b32 s13, s78, exec_lo
	s_and_b32 s78, s90, exec_lo
	s_and_not1_b32 s77, s77, exec_lo
	s_and_b32 s89, s89, exec_lo
	s_or_b32 s78, s13, s78
	s_or_b32 s77, s77, s89
.LBB8_902:                              ;   in Loop: Header=BB8_903 Depth=4
	s_or_b32 exec_lo, exec_lo, s88
	s_delay_alu instid0(SALU_CYCLE_1) | instskip(NEXT) | instid1(SALU_CYCLE_1)
	s_and_b32 s13, exec_lo, s77
	s_or_b32 s40, s13, s40
	s_and_not1_b32 s13, s41, exec_lo
	s_and_b32 s41, s78, exec_lo
	s_delay_alu instid0(SALU_CYCLE_1)
	s_or_b32 s41, s13, s41
	s_and_not1_b32 exec_lo, exec_lo, s40
	s_cbranch_execz .LBB8_907
.LBB8_903:                              ;   Parent Loop BB8_47 Depth=1
                                        ;     Parent Loop BB8_892 Depth=2
                                        ;       Parent Loop BB8_895 Depth=3
                                        ; =>      This Inner Loop Header: Depth=4
	s_sleep 1
	s_wait_loadcnt_dscnt 0x0
	flat_load_b64 v[82:83], v[64:65] scope:SCOPE_SYS
	s_or_b32 s78, s78, exec_lo
	s_or_b32 s77, s77, exec_lo
                                        ; implicit-def: $vgpr4
	s_wait_xcnt 0x0
	s_and_saveexec_b32 s88, vcc_lo
	s_cbranch_execz .LBB8_902
; %bb.904:                              ;   in Loop: Header=BB8_903 Depth=4
	s_cmp_lt_i32 s79, 0x270f
	s_mov_b32 s89, -1
	s_cselect_b32 s91, -1, 0
	s_cmp_gt_i32 s79, 0x270e
	s_cbranch_scc0 .LBB8_906
; %bb.905:                              ;   in Loop: Header=BB8_903 Depth=4
	s_trap 2
	ds_load_b64 v[4:5], v0
	s_and_not1_b32 s79, s91, exec_lo
	s_mov_b32 s90, 0
	s_wait_storecnt 0x0
	s_wait_loadcnt_dscnt 0x0
	flat_load_b32 v4, v[4:5] scope:SCOPE_SYS
	s_wait_loadcnt_dscnt 0x0
	global_inv scope:SCOPE_SYS
	v_cmp_eq_u32_e64 s13, 0, v4
	s_and_b32 s13, s13, exec_lo
	s_delay_alu instid0(SALU_CYCLE_1)
	s_or_b32 s91, s79, s13
	s_mov_b32 s79, 0
	s_wait_xcnt 0x0
	s_and_saveexec_b32 s92, s91
	s_cbranch_execz .LBB8_901
	s_branch .LBB8_900
.LBB8_906:                              ;   in Loop: Header=BB8_903 Depth=4
	s_add_co_i32 s79, s79, 1
	s_mov_b32 s90, -1
                                        ; implicit-def: $vgpr4
	s_and_saveexec_b32 s92, s91
	s_cbranch_execz .LBB8_901
	s_branch .LBB8_900
.LBB8_907:                              ;   in Loop: Header=BB8_895 Depth=3
	s_or_b32 exec_lo, exec_lo, s40
	s_xor_b32 s13, s41, -1
	s_delay_alu instid0(SALU_CYCLE_1) | instskip(NEXT) | instid1(SALU_CYCLE_1)
	s_and_saveexec_b32 s40, s13
	s_xor_b32 s13, exec_lo, s40
	s_cbranch_execz .LBB8_909
; %bb.908:                              ;   in Loop: Header=BB8_895 Depth=3
	v_or_b32_e32 v30, 64, v30
	s_wait_storecnt 0x0
	s_wait_loadcnt_dscnt 0x0
	ds_store_b32 v0, v4
	s_trap 2
.LBB8_909:                              ;   in Loop: Header=BB8_895 Depth=3
	s_or_b32 exec_lo, exec_lo, s13
.LBB8_910:                              ;   in Loop: Header=BB8_895 Depth=3
	s_delay_alu instid0(SALU_CYCLE_1) | instskip(SKIP_3) | instid1(VALU_DEP_1)
	s_or_b32 exec_lo, exec_lo, s15
	v_and_b32_e32 v4, 0x108, v30
	s_mov_b32 s13, exec_lo
	;;#ASMSTART
	s_wakeup
	;;#ASMEND
                                        ; implicit-def: $vgpr10_vgpr11
	v_cmpx_ne_u32_e32 0x108, v4
	s_xor_b32 s13, exec_lo, s13
; %bb.911:                              ;   in Loop: Header=BB8_895 Depth=3
	v_dual_mov_b32 v11, v3 :: v_dual_bitop2_b32 v10, 7, v58 bitop3:0x40
                                        ; implicit-def: $vgpr58_vgpr59
; %bb.912:                              ;   in Loop: Header=BB8_895 Depth=3
	s_and_not1_saveexec_b32 s13, s13
	s_cbranch_execz .LBB8_914
; %bb.913:                              ;   in Loop: Header=BB8_895 Depth=3
	v_dual_ashrrev_i32 v73, 31, v72 :: v_dual_bitop2_b32 v10, 7, v58 bitop3:0x40
	v_mov_b32_e32 v11, v3
	s_delay_alu instid0(VALU_DEP_2) | instskip(NEXT) | instid1(VALU_DEP_3)
	v_mad_nc_u64_u32 v[4:5], v10, 24, v[6:7]
	v_lshlrev_b64_e32 v[12:13], 1, v[72:73]
	flat_store_b64 v[4:5], v[12:13] offset:8
.LBB8_914:                              ;   in Loop: Header=BB8_895 Depth=3
	s_wait_xcnt 0x0
	s_or_b32 exec_lo, exec_lo, s13
	v_and_b32_e32 v4, 0x100, v30
	s_mov_b32 s13, -1
	s_mov_b32 s15, exec_lo
                                        ; implicit-def: $vgpr12_vgpr13
	s_delay_alu instid0(VALU_DEP_1)
	v_cmpx_ne_u32_e32 0, v4
	s_cbranch_execz .LBB8_918
; %bb.915:                              ;   in Loop: Header=BB8_895 Depth=3
	v_mad_nc_u64_u32 v[14:15], v10, 24, v[6:7]
	s_mov_b32 s40, exec_lo
                                        ; implicit-def: $vgpr12_vgpr13
	s_delay_alu instid0(VALU_DEP_1)
	v_mad_u32 v15, v11, 24, v15
	flat_load_b32 v4, v[14:15]
	s_wait_loadcnt_dscnt 0x0
	v_cmp_ne_u32_e32 vcc_lo, 1, v4
	s_wait_xcnt 0x0
	v_cmpx_eq_u32_e32 1, v4
	s_cbranch_execz .LBB8_917
; %bb.916:                              ;   in Loop: Header=BB8_895 Depth=3
	flat_load_b32 v4, v[14:15] offset:4 scope:SCOPE_SYS
	s_wait_loadcnt_dscnt 0x0
	v_ashrrev_i32_e32 v5, 31, v4
	s_delay_alu instid0(VALU_DEP_1)
	v_lshrrev_b64 v[12:13], 1, v[4:5]
.LBB8_917:                              ;   in Loop: Header=BB8_895 Depth=3
	s_wait_xcnt 0x0
	s_or_b32 exec_lo, exec_lo, s40
	s_delay_alu instid0(SALU_CYCLE_1)
	s_or_not1_b32 s13, vcc_lo, exec_lo
.LBB8_918:                              ;   in Loop: Header=BB8_895 Depth=3
	s_or_b32 exec_lo, exec_lo, s15
	s_and_saveexec_b32 s15, s13
; %bb.919:                              ;   in Loop: Header=BB8_895 Depth=3
	v_mul_u64_e32 v[12:13], v[10:11], v[66:67]
; %bb.920:                              ;   in Loop: Header=BB8_895 Depth=3
	s_or_b32 exec_lo, exec_lo, s15
	v_cmp_eq_u32_e32 vcc_lo, 0, v2
	v_and_b32_e32 v10, 0x2000, v30
	s_delay_alu instid0(VALU_DEP_3) | instskip(SKIP_2) | instid1(VALU_DEP_1)
	v_lshl_add_u64 v[4:5], v[12:13], 1, v[68:69]
	s_mov_b32 s13, exec_lo
	v_cndmask_b32_e32 v2, 0xc8, v120, vcc_lo
	v_add_nc_u32_e32 v2, v0, v2
	ds_store_b64 v2, v[4:5] offset:584
	v_cmpx_ne_u32_e32 0, v10
	s_cbranch_execz .LBB8_922
; %bb.921:                              ;   in Loop: Header=BB8_895 Depth=3
	ds_load_b64 v[4:5], v0 offset:872
	s_wait_dscnt 0x0
	v_add_nc_u64_e32 v[4:5], 1, v[4:5]
	ds_store_b64 v0, v[4:5] offset:872
.LBB8_922:                              ;   in Loop: Header=BB8_895 Depth=3
	s_or_b32 exec_lo, exec_lo, s13
	v_mov_b64_e32 v[58:59], v[8:9]
.LBB8_923:                              ;   in Loop: Header=BB8_895 Depth=3
	s_or_b32 exec_lo, exec_lo, s14
	s_and_saveexec_b32 s13, s2
	s_cbranch_execz .LBB8_942
; %bb.924:                              ;   in Loop: Header=BB8_895 Depth=3
	s_and_saveexec_b32 s14, s3
	s_delay_alu instid0(SALU_CYCLE_1)
	s_xor_b32 s14, exec_lo, s14
	s_cbranch_execz .LBB8_939
; %bb.925:                              ;   in Loop: Header=BB8_895 Depth=3
	s_and_saveexec_b32 s15, s6
	s_cbranch_execz .LBB8_938
; %bb.926:                              ;   in Loop: Header=BB8_895 Depth=3
	s_mov_b32 s41, exec_lo
	s_mov_b32 s40, exec_lo
	v_mbcnt_lo_u32_b32 v2, s41, 0
	global_wb scope:SCOPE_DEV
	s_wait_storecnt 0x0
	s_wait_loadcnt_dscnt 0x0
	global_inv scope:SCOPE_DEV
	v_cmpx_eq_u32_e32 0, v2
	s_cbranch_execz .LBB8_928
; %bb.927:                              ;   in Loop: Header=BB8_895 Depth=3
	s_bcnt1_i32_b32 s41, s41
	s_delay_alu instid0(SALU_CYCLE_1)
	v_mov_b32_e32 v2, s41
	s_wait_loadcnt 0x0
	ds_add_u64 v0, v[2:3]
	s_trap 2
.LBB8_928:                              ;   in Loop: Header=BB8_895 Depth=3
	s_or_b32 exec_lo, exec_lo, s40
	s_trap 2
	ds_load_b64 v[4:5], v0
	s_wait_dscnt 0x0
	v_add_nc_u64_e32 v[80:81], v[80:81], v[84:85]
	s_mov_b32 s40, exec_lo
	s_delay_alu instid0(VALU_DEP_1)
	v_cmpx_lt_u64_e64 v[4:5], v[80:81]
	s_cbranch_execz .LBB8_937
; %bb.929:                              ;   in Loop: Header=BB8_895 Depth=3
	s_mov_b32 s41, 0
	s_mov_b32 s79, 0
                                        ; implicit-def: $sgpr77
                                        ; implicit-def: $sgpr78
	s_branch .LBB8_931
.LBB8_930:                              ;   in Loop: Header=BB8_931 Depth=4
	s_or_b32 exec_lo, exec_lo, s89
	s_delay_alu instid0(SALU_CYCLE_1) | instskip(NEXT) | instid1(SALU_CYCLE_1)
	s_and_b32 s88, exec_lo, s90
	s_or_b32 s41, s88, s41
	s_and_not1_b32 s77, s77, exec_lo
	s_and_b32 s88, s78, exec_lo
	s_delay_alu instid0(SALU_CYCLE_1)
	s_or_b32 s77, s77, s88
	s_and_not1_b32 exec_lo, exec_lo, s41
	s_cbranch_execz .LBB8_935
.LBB8_931:                              ;   Parent Loop BB8_47 Depth=1
                                        ;     Parent Loop BB8_892 Depth=2
                                        ;       Parent Loop BB8_895 Depth=3
                                        ; =>      This Inner Loop Header: Depth=4
	s_add_co_i32 s79, s79, 1
	s_delay_alu instid0(SALU_CYCLE_1) | instskip(SKIP_1) | instid1(SALU_CYCLE_1)
	s_cmp_lg_u32 s79, 0x2710
	s_cselect_b32 s88, -1, 0
	s_and_b32 vcc_lo, exec_lo, s88
	s_cbranch_vccz .LBB8_933
; %bb.932:                              ;   in Loop: Header=BB8_931 Depth=4
	s_mov_b32 s90, -1
	s_or_b32 s78, s78, exec_lo
	s_and_saveexec_b32 s89, s88
	s_cbranch_execz .LBB8_930
	s_branch .LBB8_934
.LBB8_933:                              ;   in Loop: Header=BB8_931 Depth=4
	s_trap 2
	ds_load_b64 v[4:5], v0
	s_and_not1_b32 s88, s88, exec_lo
	s_mov_b32 s79, 0
	s_wait_loadcnt_dscnt 0x0
	flat_load_b32 v2, v[4:5] scope:SCOPE_SYS
	s_wait_loadcnt_dscnt 0x0
	global_inv scope:SCOPE_SYS
	v_cmp_eq_u32_e32 vcc_lo, 0, v2
	s_and_b32 s89, vcc_lo, exec_lo
	s_delay_alu instid0(SALU_CYCLE_1)
	s_or_b32 s88, s88, s89
	s_mov_b32 s90, -1
	s_or_b32 s78, s78, exec_lo
	s_wait_xcnt 0x0
	s_and_saveexec_b32 s89, s88
	s_cbranch_execz .LBB8_930
.LBB8_934:                              ;   in Loop: Header=BB8_931 Depth=4
	s_sleep 1
	s_trap 2
	ds_load_b64 v[4:5], v0
	s_wait_dscnt 0x0
	s_and_not1_b32 s78, s78, exec_lo
	v_cmp_ge_u64_e32 vcc_lo, v[4:5], v[80:81]
	s_or_not1_b32 s90, vcc_lo, exec_lo
	s_branch .LBB8_930
.LBB8_935:                              ;   in Loop: Header=BB8_895 Depth=3
	s_or_b32 exec_lo, exec_lo, s41
	s_and_saveexec_b32 s41, s77
	s_delay_alu instid0(SALU_CYCLE_1)
	s_xor_b32 s41, exec_lo, s41
	s_cbranch_execz .LBB8_937
; %bb.936:                              ;   in Loop: Header=BB8_895 Depth=3
	ds_store_b32 v0, v111
	s_trap 2
.LBB8_937:                              ;   in Loop: Header=BB8_895 Depth=3
	s_or_b32 exec_lo, exec_lo, s40
	;;#ASMSTART
	s_wakeup
	;;#ASMEND
.LBB8_938:                              ;   in Loop: Header=BB8_895 Depth=3
	s_or_b32 exec_lo, exec_lo, s15
.LBB8_939:                              ;   in Loop: Header=BB8_895 Depth=3
	s_and_not1_saveexec_b32 s14, s14
	s_cbranch_execz .LBB8_941
; %bb.940:                              ;   in Loop: Header=BB8_895 Depth=3
	global_wb scope:SCOPE_DEV
	s_wait_storecnt 0x0
	s_wait_loadcnt_dscnt 0x0
	global_inv scope:SCOPE_DEV
	s_barrier_signal -1
	s_barrier_wait -1
.LBB8_941:                              ;   in Loop: Header=BB8_895 Depth=3
	s_or_b32 exec_lo, exec_lo, s14
.LBB8_942:                              ;   in Loop: Header=BB8_895 Depth=3
	s_delay_alu instid0(SALU_CYCLE_1) | instskip(SKIP_4) | instid1(VALU_DEP_1)
	s_or_b32 exec_lo, exec_lo, s13
	s_trap 2
	ds_load_b32 v4, v0
	v_and_b32_e32 v2, 0x4000, v30
	s_xor_b32 s13, s1, -1
	v_cmp_ne_u32_e32 vcc_lo, 0, v2
	s_and_b32 s14, s13, vcc_lo
	s_delay_alu instid0(SALU_CYCLE_1)
	s_and_saveexec_b32 s13, s14
	s_cbranch_execz .LBB8_961
; %bb.943:                              ;   in Loop: Header=BB8_895 Depth=3
	s_and_saveexec_b32 s14, s3
	s_delay_alu instid0(SALU_CYCLE_1)
	s_xor_b32 s14, exec_lo, s14
	s_cbranch_execz .LBB8_958
; %bb.944:                              ;   in Loop: Header=BB8_895 Depth=3
	s_and_saveexec_b32 s15, s6
	s_cbranch_execz .LBB8_957
; %bb.945:                              ;   in Loop: Header=BB8_895 Depth=3
	s_mov_b32 s41, exec_lo
	s_mov_b32 s40, exec_lo
	v_mbcnt_lo_u32_b32 v2, s41, 0
	global_wb scope:SCOPE_DEV
	s_wait_storecnt 0x0
	s_wait_loadcnt_dscnt 0x0
	global_inv scope:SCOPE_DEV
	v_cmpx_eq_u32_e32 0, v2
	s_cbranch_execz .LBB8_947
; %bb.946:                              ;   in Loop: Header=BB8_895 Depth=3
	s_bcnt1_i32_b32 s41, s41
	s_delay_alu instid0(SALU_CYCLE_1)
	v_mov_b32_e32 v2, s41
	s_wait_loadcnt 0x0
	ds_add_u64 v0, v[2:3]
	s_trap 2
.LBB8_947:                              ;   in Loop: Header=BB8_895 Depth=3
	s_or_b32 exec_lo, exec_lo, s40
	s_trap 2
	ds_load_b64 v[8:9], v0
	s_wait_dscnt 0x0
	v_add_nc_u64_e32 v[80:81], v[80:81], v[84:85]
	s_mov_b32 s40, exec_lo
	s_delay_alu instid0(VALU_DEP_1)
	v_cmpx_lt_u64_e64 v[8:9], v[80:81]
	s_cbranch_execz .LBB8_956
; %bb.948:                              ;   in Loop: Header=BB8_895 Depth=3
	s_mov_b32 s41, 0
	s_mov_b32 s79, 0
                                        ; implicit-def: $sgpr77
                                        ; implicit-def: $sgpr78
	s_branch .LBB8_950
.LBB8_949:                              ;   in Loop: Header=BB8_950 Depth=4
	s_or_b32 exec_lo, exec_lo, s89
	s_delay_alu instid0(SALU_CYCLE_1) | instskip(NEXT) | instid1(SALU_CYCLE_1)
	s_and_b32 s88, exec_lo, s90
	s_or_b32 s41, s88, s41
	s_and_not1_b32 s77, s77, exec_lo
	s_and_b32 s88, s78, exec_lo
	s_delay_alu instid0(SALU_CYCLE_1)
	s_or_b32 s77, s77, s88
	s_and_not1_b32 exec_lo, exec_lo, s41
	s_cbranch_execz .LBB8_954
.LBB8_950:                              ;   Parent Loop BB8_47 Depth=1
                                        ;     Parent Loop BB8_892 Depth=2
                                        ;       Parent Loop BB8_895 Depth=3
                                        ; =>      This Inner Loop Header: Depth=4
	s_add_co_i32 s79, s79, 1
	s_delay_alu instid0(SALU_CYCLE_1) | instskip(SKIP_1) | instid1(SALU_CYCLE_1)
	s_cmp_lg_u32 s79, 0x2710
	s_cselect_b32 s88, -1, 0
	s_and_b32 vcc_lo, exec_lo, s88
	s_cbranch_vccz .LBB8_952
; %bb.951:                              ;   in Loop: Header=BB8_950 Depth=4
	s_mov_b32 s90, -1
	s_or_b32 s78, s78, exec_lo
	s_and_saveexec_b32 s89, s88
	s_cbranch_execz .LBB8_949
	s_branch .LBB8_953
.LBB8_952:                              ;   in Loop: Header=BB8_950 Depth=4
	s_trap 2
	ds_load_b64 v[8:9], v0
	s_and_not1_b32 s88, s88, exec_lo
	s_mov_b32 s79, 0
	s_wait_loadcnt_dscnt 0x0
	flat_load_b32 v2, v[8:9] scope:SCOPE_SYS
	s_wait_loadcnt_dscnt 0x0
	global_inv scope:SCOPE_SYS
	v_cmp_eq_u32_e32 vcc_lo, 0, v2
	s_and_b32 s89, vcc_lo, exec_lo
	s_delay_alu instid0(SALU_CYCLE_1)
	s_or_b32 s88, s88, s89
	s_mov_b32 s90, -1
	s_or_b32 s78, s78, exec_lo
	s_wait_xcnt 0x0
	s_and_saveexec_b32 s89, s88
	s_cbranch_execz .LBB8_949
.LBB8_953:                              ;   in Loop: Header=BB8_950 Depth=4
	s_sleep 1
	s_trap 2
	ds_load_b64 v[8:9], v0
	s_wait_dscnt 0x0
	s_and_not1_b32 s78, s78, exec_lo
	v_cmp_ge_u64_e32 vcc_lo, v[8:9], v[80:81]
	s_or_not1_b32 s90, vcc_lo, exec_lo
	s_branch .LBB8_949
.LBB8_954:                              ;   in Loop: Header=BB8_895 Depth=3
	s_or_b32 exec_lo, exec_lo, s41
	s_and_saveexec_b32 s41, s77
	s_delay_alu instid0(SALU_CYCLE_1)
	s_xor_b32 s41, exec_lo, s41
	s_cbranch_execz .LBB8_956
; %bb.955:                              ;   in Loop: Header=BB8_895 Depth=3
	ds_store_b32 v0, v111
	s_trap 2
.LBB8_956:                              ;   in Loop: Header=BB8_895 Depth=3
	s_or_b32 exec_lo, exec_lo, s40
	;;#ASMSTART
	s_wakeup
	;;#ASMEND
.LBB8_957:                              ;   in Loop: Header=BB8_895 Depth=3
	s_or_b32 exec_lo, exec_lo, s15
.LBB8_958:                              ;   in Loop: Header=BB8_895 Depth=3
	s_and_not1_saveexec_b32 s14, s14
	s_cbranch_execz .LBB8_960
; %bb.959:                              ;   in Loop: Header=BB8_895 Depth=3
	global_wb scope:SCOPE_DEV
	s_wait_storecnt 0x0
	s_wait_loadcnt_dscnt 0x0
	global_inv scope:SCOPE_DEV
	s_barrier_signal -1
	s_barrier_wait -1
.LBB8_960:                              ;   in Loop: Header=BB8_895 Depth=3
	s_or_b32 exec_lo, exec_lo, s14
.LBB8_961:                              ;   in Loop: Header=BB8_895 Depth=3
	s_delay_alu instid0(SALU_CYCLE_1)
	s_or_b32 exec_lo, exec_lo, s13
	s_trap 2
	ds_load_b64 v[78:79], v0
	s_wait_dscnt 0x0
	v_cmp_eq_u64_e32 vcc_lo, 0, v[78:79]
	s_cbranch_vccnz .LBB8_969
; %bb.962:                              ;   in Loop: Header=BB8_895 Depth=3
	s_trap 2
	ds_load_b64 v[88:89], v0
	s_wait_dscnt 0x0
	v_cmp_eq_u64_e32 vcc_lo, 0, v[88:89]
	s_cbranch_vccnz .LBB8_969
; %bb.963:                              ;   in Loop: Header=BB8_895 Depth=3
	s_mov_b32 s13, -1
	s_and_saveexec_b32 s14, s11
	s_cbranch_execz .LBB8_965
; %bb.964:                              ;   in Loop: Header=BB8_895 Depth=3
	ds_load_b32 v2, v0 offset:720
	s_wait_dscnt 0x0
	v_and_b32_e32 v2, 15, v2
	s_delay_alu instid0(VALU_DEP_1)
	v_cmp_eq_u32_e32 vcc_lo, 0, v2
	s_or_not1_b32 s13, vcc_lo, exec_lo
.LBB8_965:                              ;   in Loop: Header=BB8_895 Depth=3
	s_or_b32 exec_lo, exec_lo, s14
	s_and_saveexec_b32 s14, s10
	s_cbranch_execz .LBB8_967
; %bb.966:                              ;   in Loop: Header=BB8_895 Depth=3
	ds_load_b32 v2, v0 offset:784
	s_wait_dscnt 0x0
	v_and_b32_e32 v2, 15, v2
	s_delay_alu instid0(VALU_DEP_1) | instskip(SKIP_3) | instid1(SALU_CYCLE_1)
	v_cmp_eq_u32_e32 vcc_lo, 0, v2
	s_and_b32 s15, s13, vcc_lo
	s_and_not1_b32 s13, s13, exec_lo
	s_and_b32 s15, s15, exec_lo
	s_or_b32 s13, s13, s15
.LBB8_967:                              ;   in Loop: Header=BB8_895 Depth=3
	s_or_b32 exec_lo, exec_lo, s14
	s_xor_b32 s13, s13, -1
	s_mov_b32 s14, -1
	v_cndmask_b32_e64 v2, 0, 1, s13
	v_cmp_eq_u32_e64 s13, 0, v4
	s_delay_alu instid0(VALU_DEP_2)
	v_cmp_ne_u32_e32 vcc_lo, 0, v2
	s_cbranch_vccz .LBB8_974
; %bb.968:                              ;   in Loop: Header=BB8_895 Depth=3
	s_mov_b32 s14, 0
	s_mov_b32 s77, -1
	s_branch .LBB8_975
.LBB8_969:                              ;   in Loop: Header=BB8_895 Depth=3
	s_mov_b32 s13, 0
	s_and_saveexec_b32 s14, s2
	s_cbranch_execnz .LBB8_1823
.LBB8_970:                              ;   in Loop: Header=BB8_895 Depth=3
	s_or_b32 exec_lo, exec_lo, s14
                                        ; implicit-def: $vgpr2
	s_and_saveexec_b32 s14, s12
	s_delay_alu instid0(SALU_CYCLE_1)
	s_xor_b32 s14, exec_lo, s14
	s_cbranch_execz .LBB8_1841
.LBB8_971:                              ;   in Loop: Header=BB8_895 Depth=3
	v_and_b32_e32 v2, 16, v30
	s_delay_alu instid0(VALU_DEP_1) | instskip(SKIP_2) | instid1(SALU_CYCLE_1)
	v_cmp_ne_u32_e32 vcc_lo, 0, v2
	v_and_b32_e32 v2, 16, v30
	s_and_b32 s15, vcc_lo, s13
	s_and_saveexec_b32 s13, s15
	s_cbranch_execz .LBB8_973
; %bb.972:                              ;   in Loop: Header=BB8_895 Depth=3
	v_mov_b32_e32 v2, 1
	global_wb scope:SCOPE_SYS
	s_wait_storecnt 0x0
	s_wait_loadcnt_dscnt 0x0
	global_inv scope:SCOPE_SYS
.LBB8_973:                              ;   in Loop: Header=BB8_895 Depth=3
	s_or_b32 exec_lo, exec_lo, s13
	s_and_not1_saveexec_b32 s13, s14
	s_cbranch_execz .LBB8_1860
	s_branch .LBB8_1842
.LBB8_974:                              ;   in Loop: Header=BB8_895 Depth=3
	s_mov_b32 s77, 0
.LBB8_975:                              ;   in Loop: Header=BB8_895 Depth=3
	v_dual_cndmask_b32 v2, 0, v72, s13 :: v_dual_mov_b32 v18, 0
	s_and_not1_b32 vcc_lo, exec_lo, s14
	s_delay_alu instid0(VALU_DEP_1)
	v_lshlrev_b32_e32 v73, 1, v2
	s_cbranch_vccnz .LBB8_1239
; %bb.976:                              ;   in Loop: Header=BB8_895 Depth=3
	s_delay_alu instid0(VALU_DEP_1) | instskip(SKIP_3) | instid1(VALU_DEP_2)
	v_ashrrev_i32_e32 v4, 31, v73
	v_add_nc_u64_e32 v[90:91], v[88:89], v[112:113]
	s_mov_b32 s14, 0
	s_mov_b32 s13, exec_lo
                                        ; implicit-def: $vgpr32_vgpr33
                                        ; implicit-def: $vgpr16_vgpr17
                                        ; implicit-def: $vgpr12_vgpr13
                                        ; implicit-def: $vgpr8_vgpr9
	v_lshrrev_b32_e32 v4, 22, v4
	s_delay_alu instid0(VALU_DEP_1) | instskip(NEXT) | instid1(VALU_DEP_1)
	v_add_nc_u32_e32 v4, v73, v4
	v_ashrrev_i32_e32 v75, 10, v4
	s_delay_alu instid0(VALU_DEP_1) | instskip(NEXT) | instid1(VALU_DEP_1)
	v_sub_nc_u32_e32 v106, v75, v110
	v_cmpx_lt_i32_e32 0, v106
	s_cbranch_execz .LBB8_1241
; %bb.977:                              ;   in Loop: Header=BB8_895 Depth=3
	s_trap 2
	ds_load_b64 v[4:5], v0
	ds_load_b32 v8, v0
	v_add_nc_u64_e32 v[92:93], v[78:79], v[112:113]
	s_mov_b32 s40, 0
                                        ; implicit-def: $sgpr15
                                        ; implicit-def: $vgpr32_vgpr33
                                        ; implicit-def: $vgpr16_vgpr17
                                        ; implicit-def: $vgpr12_vgpr13
	s_wait_dscnt 0x1
	v_add_nc_u64_e32 v[94:95], v[4:5], v[112:113]
	s_wait_dscnt 0x0
	v_lshlrev_b32_e32 v105, 16, v8
                                        ; implicit-def: $vgpr8_vgpr9
	s_branch .LBB8_979
.LBB8_978:                              ;   in Loop: Header=BB8_979 Depth=4
	s_or_b32 exec_lo, exec_lo, s41
	v_dual_lshrrev_b32 v5, 16, v5 :: v_dual_lshrrev_b32 v28, 16, v28
	v_dual_lshrrev_b32 v29, 16, v25 :: v_dual_lshrrev_b32 v37, 16, v38
	s_delay_alu instid0(VALU_DEP_2) | instskip(NEXT) | instid1(VALU_DEP_3)
	v_and_or_b32 v25, 0xffff0000, v24, v5
	v_and_or_b32 v24, 0xffff0000, v4, v28
	v_dual_lshrrev_b32 v4, 16, v50 :: v_dual_lshrrev_b32 v5, 16, v39
	s_delay_alu instid0(VALU_DEP_4) | instskip(SKIP_2) | instid1(VALU_DEP_4)
	v_and_or_b32 v26, 0xffff0000, v26, v29
	v_lshrrev_b32_e32 v29, 16, v36
	v_lshrrev_b32_e32 v28, 16, v48
	v_and_or_b32 v21, 0xffff0000, v21, v4
	v_and_or_b32 v20, 0xffff0000, v20, v5
	v_add_nc_u64_e32 v[4:5], v[92:93], v[114:115]
	v_cndmask_b32_e64 v36, 0, v84, s40
	v_and_or_b32 v27, 0xffff0000, v27, v37
	s_delay_alu instid0(VALU_DEP_2)
	v_dual_cndmask_b32 v93, v93, v5, s40 :: v_dual_sub_nc_u32 v106, v106, v36
	v_and_or_b32 v23, 0xffff0000, v23, v29
	v_cndmask_b32_e64 v29, 0, v43, s40
	v_and_or_b32 v22, 0xffff0000, v22, v28
	v_cndmask_b32_e64 v28, 0x400, v42, s40
	v_add_nc_u64_e32 v[36:37], v[94:95], v[114:115]
	v_cmp_gt_i32_e32 vcc_lo, 1, v106
	s_clause 0x1
	global_store_b128 v[90:91], v[24:27], off th:TH_STORE_NT
	global_store_b128 v[90:91], v[20:23], off offset:512 th:TH_STORE_NT
	v_cndmask_b32_e64 v92, v92, v4, s40
	s_wait_xcnt 0x0
	v_add_nc_u64_e32 v[90:91], v[90:91], v[28:29]
	s_or_b32 s14, vcc_lo, s14
	v_dual_cndmask_b32 v95, v95, v37, s40 :: v_dual_cndmask_b32 v94, v94, v36, s40
	s_and_not1_b32 s15, s15, exec_lo
	s_and_b32 s41, s40, exec_lo
	s_delay_alu instid0(SALU_CYCLE_1)
	s_or_b32 s15, s15, s41
	s_and_not1_b32 exec_lo, exec_lo, s14
	s_cbranch_execz .LBB8_1240
.LBB8_979:                              ;   Parent Loop BB8_47 Depth=1
                                        ;     Parent Loop BB8_892 Depth=2
                                        ;       Parent Loop BB8_895 Depth=3
                                        ; =>      This Inner Loop Header: Depth=4
	s_clause 0x1
	global_load_b128 v[48:51], v[92:93], off th:TH_LOAD_NT
	global_load_b128 v[36:39], v[92:93], off offset:512 th:TH_LOAD_NT
	s_clause 0x1
	global_load_b128 v[24:27], v[94:95], off th:TH_LOAD_NT
	global_load_b128 v[20:23], v[94:95], off offset:512 th:TH_LOAD_NT
	s_wait_xcnt 0x0
	s_and_saveexec_b32 s41, s40
	s_cbranch_execz .LBB8_1109
; %bb.980:                              ;   in Loop: Header=BB8_979 Depth=4
	v_lshlrev_b32_e32 v4, 16, v32
	s_mov_b32 s40, exec_lo
                                        ; implicit-def: $vgpr99
	s_delay_alu instid0(VALU_DEP_1) | instskip(NEXT) | instid1(VALU_DEP_1)
	v_mul_f32_e32 v4, v105, v4
	v_and_b32_e32 v5, 0x7f800000, v4
	s_delay_alu instid0(VALU_DEP_1)
	v_cmpx_ne_u32_e32 0x7f800000, v5
	s_xor_b32 s40, exec_lo, s40
; %bb.981:                              ;   in Loop: Header=BB8_979 Depth=4
	v_bfe_u32 v5, v4, 16, 1
	s_delay_alu instid0(VALU_DEP_1)
	v_add3_u32 v99, v4, v5, 0x7fff
                                        ; implicit-def: $vgpr4
; %bb.982:                              ;   in Loop: Header=BB8_979 Depth=4
	s_and_not1_saveexec_b32 s40, s40
; %bb.983:                              ;   in Loop: Header=BB8_979 Depth=4
	v_and_b32_e32 v5, 0xffff, v4
	v_or_b32_e32 v28, 0x10000, v4
	s_delay_alu instid0(VALU_DEP_2) | instskip(NEXT) | instid1(VALU_DEP_2)
	v_cmp_eq_u32_e32 vcc_lo, 0, v5
	v_cndmask_b32_e32 v99, v28, v4, vcc_lo
; %bb.984:                              ;   in Loop: Header=BB8_979 Depth=4
	s_or_b32 exec_lo, exec_lo, s40
	v_and_b32_e32 v4, 0xffff0000, v32
	s_delay_alu instid0(VALU_DEP_1) | instskip(NEXT) | instid1(VALU_DEP_1)
	v_mul_f32_e32 v5, v105, v4
	v_and_b32_e32 v4, 0x7f800000, v5
	s_delay_alu instid0(VALU_DEP_1) | instskip(SKIP_1) | instid1(SALU_CYCLE_1)
	v_cmp_ne_u32_e32 vcc_lo, 0x7f800000, v4
                                        ; implicit-def: $vgpr4
	s_and_saveexec_b32 s40, vcc_lo
	s_xor_b32 s40, exec_lo, s40
; %bb.985:                              ;   in Loop: Header=BB8_979 Depth=4
	v_bfe_u32 v4, v5, 16, 1
	s_delay_alu instid0(VALU_DEP_1)
	v_add3_u32 v4, v5, v4, 0x7fff
                                        ; implicit-def: $vgpr5
; %bb.986:                              ;   in Loop: Header=BB8_979 Depth=4
	s_and_not1_saveexec_b32 s40, s40
; %bb.987:                              ;   in Loop: Header=BB8_979 Depth=4
	v_and_b32_e32 v4, 0xffff, v5
	v_or_b32_e32 v28, 0x10000, v5
	s_delay_alu instid0(VALU_DEP_2) | instskip(NEXT) | instid1(VALU_DEP_2)
	v_cmp_eq_u32_e32 vcc_lo, 0, v4
	v_cndmask_b32_e32 v4, v28, v5, vcc_lo
; %bb.988:                              ;   in Loop: Header=BB8_979 Depth=4
	s_or_b32 exec_lo, exec_lo, s40
	v_lshlrev_b32_e32 v5, 16, v33
	s_delay_alu instid0(VALU_DEP_1) | instskip(NEXT) | instid1(VALU_DEP_1)
	v_mul_f32_e32 v28, v105, v5
	v_and_b32_e32 v5, 0x7f800000, v28
	s_delay_alu instid0(VALU_DEP_1) | instskip(SKIP_1) | instid1(SALU_CYCLE_1)
	v_cmp_ne_u32_e32 vcc_lo, 0x7f800000, v5
                                        ; implicit-def: $vgpr5
	s_and_saveexec_b32 s40, vcc_lo
	s_xor_b32 s40, exec_lo, s40
; %bb.989:                              ;   in Loop: Header=BB8_979 Depth=4
	v_bfe_u32 v5, v28, 16, 1
	s_delay_alu instid0(VALU_DEP_1)
	v_add3_u32 v5, v28, v5, 0x7fff
                                        ; implicit-def: $vgpr28
; %bb.990:                              ;   in Loop: Header=BB8_979 Depth=4
	s_and_not1_saveexec_b32 s40, s40
; %bb.991:                              ;   in Loop: Header=BB8_979 Depth=4
	v_and_b32_e32 v5, 0xffff, v28
	v_or_b32_e32 v29, 0x10000, v28
	s_delay_alu instid0(VALU_DEP_2) | instskip(NEXT) | instid1(VALU_DEP_2)
	v_cmp_eq_u32_e32 vcc_lo, 0, v5
	v_cndmask_b32_e32 v5, v29, v28, vcc_lo
; %bb.992:                              ;   in Loop: Header=BB8_979 Depth=4
	s_or_b32 exec_lo, exec_lo, s40
	v_and_b32_e32 v28, 0xffff0000, v33
	s_mov_b32 s40, exec_lo
                                        ; implicit-def: $vgpr55
	s_delay_alu instid0(VALU_DEP_1) | instskip(NEXT) | instid1(VALU_DEP_1)
	v_mul_f32_e32 v28, v105, v28
	v_and_b32_e32 v29, 0x7f800000, v28
	s_delay_alu instid0(VALU_DEP_1)
	v_cmpx_ne_u32_e32 0x7f800000, v29
	s_xor_b32 s40, exec_lo, s40
; %bb.993:                              ;   in Loop: Header=BB8_979 Depth=4
	v_bfe_u32 v29, v28, 16, 1
	s_delay_alu instid0(VALU_DEP_1)
	v_add3_u32 v55, v28, v29, 0x7fff
                                        ; implicit-def: $vgpr28
; %bb.994:                              ;   in Loop: Header=BB8_979 Depth=4
	s_and_not1_saveexec_b32 s40, s40
; %bb.995:                              ;   in Loop: Header=BB8_979 Depth=4
	v_and_b32_e32 v29, 0xffff, v28
	v_or_b32_e32 v32, 0x10000, v28
	s_delay_alu instid0(VALU_DEP_2) | instskip(NEXT) | instid1(VALU_DEP_2)
	v_cmp_eq_u32_e32 vcc_lo, 0, v29
	v_cndmask_b32_e32 v55, v32, v28, vcc_lo
; %bb.996:                              ;   in Loop: Header=BB8_979 Depth=4
	s_or_b32 exec_lo, exec_lo, s40
	v_lshlrev_b32_e32 v28, 16, v34
	s_mov_b32 s40, exec_lo
                                        ; implicit-def: $vgpr98
	s_delay_alu instid0(VALU_DEP_1) | instskip(NEXT) | instid1(VALU_DEP_1)
	v_mul_f32_e32 v28, v105, v28
	v_and_b32_e32 v29, 0x7f800000, v28
	s_delay_alu instid0(VALU_DEP_1)
	v_cmpx_ne_u32_e32 0x7f800000, v29
	s_xor_b32 s40, exec_lo, s40
; %bb.997:                              ;   in Loop: Header=BB8_979 Depth=4
	v_bfe_u32 v29, v28, 16, 1
	s_delay_alu instid0(VALU_DEP_1)
	v_add3_u32 v98, v28, v29, 0x7fff
                                        ; implicit-def: $vgpr28
; %bb.998:                              ;   in Loop: Header=BB8_979 Depth=4
	s_and_not1_saveexec_b32 s40, s40
; %bb.999:                              ;   in Loop: Header=BB8_979 Depth=4
	v_and_b32_e32 v29, 0xffff, v28
	v_or_b32_e32 v32, 0x10000, v28
	s_delay_alu instid0(VALU_DEP_2) | instskip(NEXT) | instid1(VALU_DEP_2)
	v_cmp_eq_u32_e32 vcc_lo, 0, v29
	v_cndmask_b32_e32 v98, v32, v28, vcc_lo
; %bb.1000:                             ;   in Loop: Header=BB8_979 Depth=4
	s_or_b32 exec_lo, exec_lo, s40
	v_and_b32_e32 v28, 0xffff0000, v34
	s_mov_b32 s40, exec_lo
                                        ; implicit-def: $vgpr53
	s_delay_alu instid0(VALU_DEP_1) | instskip(NEXT) | instid1(VALU_DEP_1)
	v_mul_f32_e32 v28, v105, v28
	v_and_b32_e32 v29, 0x7f800000, v28
	s_delay_alu instid0(VALU_DEP_1)
	v_cmpx_ne_u32_e32 0x7f800000, v29
	s_xor_b32 s40, exec_lo, s40
; %bb.1001:                             ;   in Loop: Header=BB8_979 Depth=4
	v_bfe_u32 v29, v28, 16, 1
	s_delay_alu instid0(VALU_DEP_1)
	v_add3_u32 v53, v28, v29, 0x7fff
                                        ; implicit-def: $vgpr28
; %bb.1002:                             ;   in Loop: Header=BB8_979 Depth=4
	s_and_not1_saveexec_b32 s40, s40
; %bb.1003:                             ;   in Loop: Header=BB8_979 Depth=4
	v_and_b32_e32 v29, 0xffff, v28
	v_or_b32_e32 v32, 0x10000, v28
	s_delay_alu instid0(VALU_DEP_2) | instskip(NEXT) | instid1(VALU_DEP_2)
	v_cmp_eq_u32_e32 vcc_lo, 0, v29
	v_cndmask_b32_e32 v53, v32, v28, vcc_lo
; %bb.1004:                             ;   in Loop: Header=BB8_979 Depth=4
	s_or_b32 exec_lo, exec_lo, s40
	v_lshlrev_b32_e32 v28, 16, v35
	s_mov_b32 s40, exec_lo
                                        ; implicit-def: $vgpr54
	s_delay_alu instid0(VALU_DEP_1) | instskip(NEXT) | instid1(VALU_DEP_1)
	v_mul_f32_e32 v28, v105, v28
	v_and_b32_e32 v29, 0x7f800000, v28
	s_delay_alu instid0(VALU_DEP_1)
	v_cmpx_ne_u32_e32 0x7f800000, v29
	s_xor_b32 s40, exec_lo, s40
; %bb.1005:                             ;   in Loop: Header=BB8_979 Depth=4
	v_bfe_u32 v29, v28, 16, 1
	s_delay_alu instid0(VALU_DEP_1)
	v_add3_u32 v54, v28, v29, 0x7fff
                                        ; implicit-def: $vgpr28
; %bb.1006:                             ;   in Loop: Header=BB8_979 Depth=4
	s_and_not1_saveexec_b32 s40, s40
; %bb.1007:                             ;   in Loop: Header=BB8_979 Depth=4
	v_and_b32_e32 v29, 0xffff, v28
	v_or_b32_e32 v32, 0x10000, v28
	s_delay_alu instid0(VALU_DEP_2) | instskip(NEXT) | instid1(VALU_DEP_2)
	v_cmp_eq_u32_e32 vcc_lo, 0, v29
	v_cndmask_b32_e32 v54, v32, v28, vcc_lo
; %bb.1008:                             ;   in Loop: Header=BB8_979 Depth=4
	s_or_b32 exec_lo, exec_lo, s40
	v_and_b32_e32 v28, 0xffff0000, v35
	s_mov_b32 s40, exec_lo
                                        ; implicit-def: $vgpr35
	s_delay_alu instid0(VALU_DEP_1) | instskip(NEXT) | instid1(VALU_DEP_1)
	v_mul_f32_e32 v28, v105, v28
	v_and_b32_e32 v29, 0x7f800000, v28
	s_delay_alu instid0(VALU_DEP_1)
	v_cmpx_ne_u32_e32 0x7f800000, v29
	s_xor_b32 s40, exec_lo, s40
; %bb.1009:                             ;   in Loop: Header=BB8_979 Depth=4
	v_bfe_u32 v29, v28, 16, 1
	s_delay_alu instid0(VALU_DEP_1)
	v_add3_u32 v35, v28, v29, 0x7fff
                                        ; implicit-def: $vgpr28
; %bb.1010:                             ;   in Loop: Header=BB8_979 Depth=4
	s_and_not1_saveexec_b32 s40, s40
; %bb.1011:                             ;   in Loop: Header=BB8_979 Depth=4
	v_and_b32_e32 v29, 0xffff, v28
	v_or_b32_e32 v32, 0x10000, v28
	s_delay_alu instid0(VALU_DEP_2) | instskip(NEXT) | instid1(VALU_DEP_2)
	v_cmp_eq_u32_e32 vcc_lo, 0, v29
	v_cndmask_b32_e32 v35, v32, v28, vcc_lo
; %bb.1012:                             ;   in Loop: Header=BB8_979 Depth=4
	s_or_b32 exec_lo, exec_lo, s40
	v_lshlrev_b32_e32 v28, 16, v16
	s_mov_b32 s40, exec_lo
                                        ; implicit-def: $vgpr52
	s_delay_alu instid0(VALU_DEP_1) | instskip(NEXT) | instid1(VALU_DEP_1)
	v_mul_f32_e32 v28, v105, v28
	v_and_b32_e32 v29, 0x7f800000, v28
	s_delay_alu instid0(VALU_DEP_1)
	v_cmpx_ne_u32_e32 0x7f800000, v29
	s_xor_b32 s40, exec_lo, s40
; %bb.1013:                             ;   in Loop: Header=BB8_979 Depth=4
	v_bfe_u32 v29, v28, 16, 1
	s_delay_alu instid0(VALU_DEP_1)
	v_add3_u32 v52, v28, v29, 0x7fff
                                        ; implicit-def: $vgpr28
; %bb.1014:                             ;   in Loop: Header=BB8_979 Depth=4
	s_and_not1_saveexec_b32 s40, s40
; %bb.1015:                             ;   in Loop: Header=BB8_979 Depth=4
	v_and_b32_e32 v29, 0xffff, v28
	v_or_b32_e32 v32, 0x10000, v28
	s_delay_alu instid0(VALU_DEP_2) | instskip(NEXT) | instid1(VALU_DEP_2)
	v_cmp_eq_u32_e32 vcc_lo, 0, v29
	v_cndmask_b32_e32 v52, v32, v28, vcc_lo
; %bb.1016:                             ;   in Loop: Header=BB8_979 Depth=4
	s_or_b32 exec_lo, exec_lo, s40
	v_and_b32_e32 v16, 0xffff0000, v16
	s_mov_b32 s40, exec_lo
                                        ; implicit-def: $vgpr33
	s_delay_alu instid0(VALU_DEP_1) | instskip(NEXT) | instid1(VALU_DEP_1)
	v_mul_f32_e32 v16, v105, v16
	v_and_b32_e32 v28, 0x7f800000, v16
	s_delay_alu instid0(VALU_DEP_1)
	v_cmpx_ne_u32_e32 0x7f800000, v28
	s_xor_b32 s40, exec_lo, s40
; %bb.1017:                             ;   in Loop: Header=BB8_979 Depth=4
	v_bfe_u32 v28, v16, 16, 1
	s_delay_alu instid0(VALU_DEP_1)
	v_add3_u32 v33, v16, v28, 0x7fff
                                        ; implicit-def: $vgpr16
; %bb.1018:                             ;   in Loop: Header=BB8_979 Depth=4
	s_and_not1_saveexec_b32 s40, s40
; %bb.1019:                             ;   in Loop: Header=BB8_979 Depth=4
	v_and_b32_e32 v28, 0xffff, v16
	v_or_b32_e32 v29, 0x10000, v16
	s_delay_alu instid0(VALU_DEP_2) | instskip(NEXT) | instid1(VALU_DEP_2)
	v_cmp_eq_u32_e32 vcc_lo, 0, v28
	v_cndmask_b32_e32 v33, v29, v16, vcc_lo
; %bb.1020:                             ;   in Loop: Header=BB8_979 Depth=4
	s_or_b32 exec_lo, exec_lo, s40
	v_lshlrev_b32_e32 v16, 16, v17
	s_mov_b32 s40, exec_lo
                                        ; implicit-def: $vgpr34
	s_delay_alu instid0(VALU_DEP_1) | instskip(NEXT) | instid1(VALU_DEP_1)
	v_mul_f32_e32 v16, v105, v16
	v_and_b32_e32 v28, 0x7f800000, v16
	s_delay_alu instid0(VALU_DEP_1)
	v_cmpx_ne_u32_e32 0x7f800000, v28
	s_xor_b32 s40, exec_lo, s40
; %bb.1021:                             ;   in Loop: Header=BB8_979 Depth=4
	v_bfe_u32 v28, v16, 16, 1
	s_delay_alu instid0(VALU_DEP_1)
	v_add3_u32 v34, v16, v28, 0x7fff
                                        ; implicit-def: $vgpr16
; %bb.1022:                             ;   in Loop: Header=BB8_979 Depth=4
	s_and_not1_saveexec_b32 s40, s40
; %bb.1023:                             ;   in Loop: Header=BB8_979 Depth=4
	v_and_b32_e32 v28, 0xffff, v16
	v_or_b32_e32 v29, 0x10000, v16
	s_delay_alu instid0(VALU_DEP_2) | instskip(NEXT) | instid1(VALU_DEP_2)
	v_cmp_eq_u32_e32 vcc_lo, 0, v28
	v_cndmask_b32_e32 v34, v29, v16, vcc_lo
; %bb.1024:                             ;   in Loop: Header=BB8_979 Depth=4
	s_or_b32 exec_lo, exec_lo, s40
	v_and_b32_e32 v16, 0xffff0000, v17
	s_mov_b32 s40, exec_lo
                                        ; implicit-def: $vgpr29
	s_delay_alu instid0(VALU_DEP_1) | instskip(NEXT) | instid1(VALU_DEP_1)
	v_mul_f32_e32 v16, v105, v16
	v_and_b32_e32 v17, 0x7f800000, v16
	s_delay_alu instid0(VALU_DEP_1)
	v_cmpx_ne_u32_e32 0x7f800000, v17
	s_xor_b32 s40, exec_lo, s40
; %bb.1025:                             ;   in Loop: Header=BB8_979 Depth=4
	v_bfe_u32 v17, v16, 16, 1
	s_delay_alu instid0(VALU_DEP_1)
	v_add3_u32 v29, v16, v17, 0x7fff
                                        ; implicit-def: $vgpr16
; %bb.1026:                             ;   in Loop: Header=BB8_979 Depth=4
	s_and_not1_saveexec_b32 s40, s40
; %bb.1027:                             ;   in Loop: Header=BB8_979 Depth=4
	v_and_b32_e32 v17, 0xffff, v16
	v_or_b32_e32 v28, 0x10000, v16
	s_delay_alu instid0(VALU_DEP_2) | instskip(NEXT) | instid1(VALU_DEP_2)
	v_cmp_eq_u32_e32 vcc_lo, 0, v17
	v_cndmask_b32_e32 v29, v28, v16, vcc_lo
; %bb.1028:                             ;   in Loop: Header=BB8_979 Depth=4
	s_or_b32 exec_lo, exec_lo, s40
	v_lshlrev_b32_e32 v16, 16, v18
	s_mov_b32 s40, exec_lo
                                        ; implicit-def: $vgpr32
	s_delay_alu instid0(VALU_DEP_1) | instskip(NEXT) | instid1(VALU_DEP_1)
	v_mul_f32_e32 v16, v105, v16
	v_and_b32_e32 v17, 0x7f800000, v16
	s_delay_alu instid0(VALU_DEP_1)
	v_cmpx_ne_u32_e32 0x7f800000, v17
	s_xor_b32 s40, exec_lo, s40
; %bb.1029:                             ;   in Loop: Header=BB8_979 Depth=4
	v_bfe_u32 v17, v16, 16, 1
	s_delay_alu instid0(VALU_DEP_1)
	v_add3_u32 v32, v16, v17, 0x7fff
                                        ; implicit-def: $vgpr16
; %bb.1030:                             ;   in Loop: Header=BB8_979 Depth=4
	s_and_not1_saveexec_b32 s40, s40
; %bb.1031:                             ;   in Loop: Header=BB8_979 Depth=4
	v_and_b32_e32 v17, 0xffff, v16
	v_or_b32_e32 v28, 0x10000, v16
	s_delay_alu instid0(VALU_DEP_2) | instskip(NEXT) | instid1(VALU_DEP_2)
	v_cmp_eq_u32_e32 vcc_lo, 0, v17
	v_cndmask_b32_e32 v32, v28, v16, vcc_lo
; %bb.1032:                             ;   in Loop: Header=BB8_979 Depth=4
	s_or_b32 exec_lo, exec_lo, s40
	v_and_b32_e32 v16, 0xffff0000, v18
	s_mov_b32 s40, exec_lo
                                        ; implicit-def: $vgpr18
	s_delay_alu instid0(VALU_DEP_1) | instskip(NEXT) | instid1(VALU_DEP_1)
	v_mul_f32_e32 v16, v105, v16
	v_and_b32_e32 v17, 0x7f800000, v16
	s_delay_alu instid0(VALU_DEP_1)
	v_cmpx_ne_u32_e32 0x7f800000, v17
	s_xor_b32 s40, exec_lo, s40
; %bb.1033:                             ;   in Loop: Header=BB8_979 Depth=4
	v_bfe_u32 v17, v16, 16, 1
	s_delay_alu instid0(VALU_DEP_1)
	v_add3_u32 v18, v16, v17, 0x7fff
                                        ; implicit-def: $vgpr16
; %bb.1034:                             ;   in Loop: Header=BB8_979 Depth=4
	s_and_not1_saveexec_b32 s40, s40
; %bb.1035:                             ;   in Loop: Header=BB8_979 Depth=4
	v_and_b32_e32 v17, 0xffff, v16
	v_or_b32_e32 v18, 0x10000, v16
	s_delay_alu instid0(VALU_DEP_2) | instskip(NEXT) | instid1(VALU_DEP_2)
	v_cmp_eq_u32_e32 vcc_lo, 0, v17
	v_cndmask_b32_e32 v18, v18, v16, vcc_lo
; %bb.1036:                             ;   in Loop: Header=BB8_979 Depth=4
	s_or_b32 exec_lo, exec_lo, s40
	v_lshlrev_b32_e32 v16, 16, v19
	s_mov_b32 s40, exec_lo
                                        ; implicit-def: $vgpr28
	s_delay_alu instid0(VALU_DEP_1) | instskip(NEXT) | instid1(VALU_DEP_1)
	v_mul_f32_e32 v16, v105, v16
	v_and_b32_e32 v17, 0x7f800000, v16
	s_delay_alu instid0(VALU_DEP_1)
	v_cmpx_ne_u32_e32 0x7f800000, v17
	s_xor_b32 s40, exec_lo, s40
; %bb.1037:                             ;   in Loop: Header=BB8_979 Depth=4
	v_bfe_u32 v17, v16, 16, 1
	s_delay_alu instid0(VALU_DEP_1)
	v_add3_u32 v28, v16, v17, 0x7fff
                                        ; implicit-def: $vgpr16
; %bb.1038:                             ;   in Loop: Header=BB8_979 Depth=4
	s_and_not1_saveexec_b32 s40, s40
; %bb.1039:                             ;   in Loop: Header=BB8_979 Depth=4
	v_and_b32_e32 v17, 0xffff, v16
	v_or_b32_e32 v28, 0x10000, v16
	s_delay_alu instid0(VALU_DEP_2) | instskip(NEXT) | instid1(VALU_DEP_2)
	v_cmp_eq_u32_e32 vcc_lo, 0, v17
	v_cndmask_b32_e32 v28, v28, v16, vcc_lo
; %bb.1040:                             ;   in Loop: Header=BB8_979 Depth=4
	s_or_b32 exec_lo, exec_lo, s40
	v_and_b32_e32 v16, 0xffff0000, v19
	s_delay_alu instid0(VALU_DEP_1) | instskip(NEXT) | instid1(VALU_DEP_1)
	v_mul_f32_e32 v16, v105, v16
	v_and_b32_e32 v17, 0x7f800000, v16
	s_delay_alu instid0(VALU_DEP_1) | instskip(SKIP_1) | instid1(SALU_CYCLE_1)
	v_cmp_ne_u32_e32 vcc_lo, 0x7f800000, v17
                                        ; implicit-def: $vgpr17
	s_and_saveexec_b32 s40, vcc_lo
	s_xor_b32 s40, exec_lo, s40
; %bb.1041:                             ;   in Loop: Header=BB8_979 Depth=4
	v_bfe_u32 v17, v16, 16, 1
	s_delay_alu instid0(VALU_DEP_1)
	v_add3_u32 v17, v16, v17, 0x7fff
                                        ; implicit-def: $vgpr16
; %bb.1042:                             ;   in Loop: Header=BB8_979 Depth=4
	s_and_not1_saveexec_b32 s40, s40
; %bb.1043:                             ;   in Loop: Header=BB8_979 Depth=4
	v_and_b32_e32 v17, 0xffff, v16
	v_or_b32_e32 v19, 0x10000, v16
	s_delay_alu instid0(VALU_DEP_2) | instskip(NEXT) | instid1(VALU_DEP_2)
	v_cmp_eq_u32_e32 vcc_lo, 0, v17
	v_cndmask_b32_e32 v17, v19, v16, vcc_lo
; %bb.1044:                             ;   in Loop: Header=BB8_979 Depth=4
	s_or_b32 exec_lo, exec_lo, s40
	v_and_b32_e32 v16, 0xffff0000, v99
	v_lshlrev_b32_e32 v19, 16, v12
	s_delay_alu instid0(VALU_DEP_1) | instskip(NEXT) | instid1(VALU_DEP_1)
	v_add_f32_e32 v19, v19, v16
	v_and_b32_e32 v16, 0x7f800000, v19
	s_delay_alu instid0(VALU_DEP_1) | instskip(SKIP_1) | instid1(SALU_CYCLE_1)
	v_cmp_ne_u32_e32 vcc_lo, 0x7f800000, v16
                                        ; implicit-def: $vgpr16
	s_and_saveexec_b32 s40, vcc_lo
	s_xor_b32 s40, exec_lo, s40
; %bb.1045:                             ;   in Loop: Header=BB8_979 Depth=4
	v_bfe_u32 v16, v19, 16, 1
	s_delay_alu instid0(VALU_DEP_1)
	v_add3_u32 v16, v19, v16, 0x7fff
                                        ; implicit-def: $vgpr19
; %bb.1046:                             ;   in Loop: Header=BB8_979 Depth=4
	s_and_not1_saveexec_b32 s40, s40
; %bb.1047:                             ;   in Loop: Header=BB8_979 Depth=4
	v_and_b32_e32 v16, 0xffff, v19
	v_or_b32_e32 v96, 0x10000, v19
	s_delay_alu instid0(VALU_DEP_2) | instskip(NEXT) | instid1(VALU_DEP_2)
	v_cmp_eq_u32_e32 vcc_lo, 0, v16
	v_cndmask_b32_e32 v16, v96, v19, vcc_lo
; %bb.1048:                             ;   in Loop: Header=BB8_979 Depth=4
	s_or_b32 exec_lo, exec_lo, s40
	v_and_b32_e32 v19, 0xffff0000, v12
	v_and_b32_e32 v4, 0xffff0000, v4
	s_delay_alu instid0(VALU_DEP_1) | instskip(NEXT) | instid1(VALU_DEP_1)
	v_add_f32_e32 v19, v19, v4
	v_and_b32_e32 v4, 0x7f800000, v19
	s_delay_alu instid0(VALU_DEP_1) | instskip(SKIP_1) | instid1(SALU_CYCLE_1)
	v_cmp_ne_u32_e32 vcc_lo, 0x7f800000, v4
                                        ; implicit-def: $vgpr4
	s_and_saveexec_b32 s40, vcc_lo
	s_xor_b32 s40, exec_lo, s40
; %bb.1049:                             ;   in Loop: Header=BB8_979 Depth=4
	v_bfe_u32 v4, v19, 16, 1
	s_delay_alu instid0(VALU_DEP_1)
	v_add3_u32 v4, v19, v4, 0x7fff
                                        ; implicit-def: $vgpr19
; %bb.1050:                             ;   in Loop: Header=BB8_979 Depth=4
	s_and_not1_saveexec_b32 s40, s40
; %bb.1051:                             ;   in Loop: Header=BB8_979 Depth=4
	v_and_b32_e32 v4, 0xffff, v19
	v_or_b32_e32 v96, 0x10000, v19
	s_delay_alu instid0(VALU_DEP_2) | instskip(NEXT) | instid1(VALU_DEP_2)
	v_cmp_eq_u32_e32 vcc_lo, 0, v4
	v_cndmask_b32_e32 v4, v96, v19, vcc_lo
; %bb.1052:                             ;   in Loop: Header=BB8_979 Depth=4
	s_or_b32 exec_lo, exec_lo, s40
	v_and_b32_e32 v5, 0xffff0000, v5
	v_lshlrev_b32_e32 v19, 16, v13
	s_delay_alu instid0(VALU_DEP_1) | instskip(NEXT) | instid1(VALU_DEP_1)
	v_add_f32_e32 v19, v19, v5
	v_and_b32_e32 v5, 0x7f800000, v19
	s_delay_alu instid0(VALU_DEP_1) | instskip(SKIP_1) | instid1(SALU_CYCLE_1)
	v_cmp_ne_u32_e32 vcc_lo, 0x7f800000, v5
                                        ; implicit-def: $vgpr5
	s_and_saveexec_b32 s40, vcc_lo
	s_xor_b32 s40, exec_lo, s40
; %bb.1053:                             ;   in Loop: Header=BB8_979 Depth=4
	v_bfe_u32 v5, v19, 16, 1
	s_delay_alu instid0(VALU_DEP_1)
	v_add3_u32 v5, v19, v5, 0x7fff
                                        ; implicit-def: $vgpr19
; %bb.1054:                             ;   in Loop: Header=BB8_979 Depth=4
	s_and_not1_saveexec_b32 s40, s40
; %bb.1055:                             ;   in Loop: Header=BB8_979 Depth=4
	v_and_b32_e32 v5, 0xffff, v19
	v_or_b32_e32 v96, 0x10000, v19
	s_delay_alu instid0(VALU_DEP_2) | instskip(NEXT) | instid1(VALU_DEP_2)
	v_cmp_eq_u32_e32 vcc_lo, 0, v5
	v_cndmask_b32_e32 v5, v96, v19, vcc_lo
; %bb.1056:                             ;   in Loop: Header=BB8_979 Depth=4
	s_or_b32 exec_lo, exec_lo, s40
	v_and_b32_e32 v19, 0xffff0000, v13
	v_and_b32_e32 v55, 0xffff0000, v55
	s_delay_alu instid0(VALU_DEP_1) | instskip(NEXT) | instid1(VALU_DEP_1)
	v_add_f32_e32 v55, v19, v55
	v_and_b32_e32 v19, 0x7f800000, v55
	s_delay_alu instid0(VALU_DEP_1) | instskip(SKIP_1) | instid1(SALU_CYCLE_1)
	v_cmp_ne_u32_e32 vcc_lo, 0x7f800000, v19
                                        ; implicit-def: $vgpr19
	s_and_saveexec_b32 s40, vcc_lo
	s_xor_b32 s40, exec_lo, s40
; %bb.1057:                             ;   in Loop: Header=BB8_979 Depth=4
	v_bfe_u32 v19, v55, 16, 1
	s_delay_alu instid0(VALU_DEP_1)
	v_add3_u32 v19, v55, v19, 0x7fff
                                        ; implicit-def: $vgpr55
; %bb.1058:                             ;   in Loop: Header=BB8_979 Depth=4
	s_and_not1_saveexec_b32 s40, s40
; %bb.1059:                             ;   in Loop: Header=BB8_979 Depth=4
	v_and_b32_e32 v19, 0xffff, v55
	v_or_b32_e32 v96, 0x10000, v55
	s_delay_alu instid0(VALU_DEP_2) | instskip(NEXT) | instid1(VALU_DEP_2)
	v_cmp_eq_u32_e32 vcc_lo, 0, v19
	v_cndmask_b32_e32 v19, v96, v55, vcc_lo
; %bb.1060:                             ;   in Loop: Header=BB8_979 Depth=4
	s_or_b32 exec_lo, exec_lo, s40
	v_and_b32_e32 v55, 0xffff0000, v98
	v_lshlrev_b32_e32 v96, 16, v14
	s_delay_alu instid0(VALU_DEP_1) | instskip(NEXT) | instid1(VALU_DEP_1)
	v_add_f32_e32 v96, v96, v55
	v_and_b32_e32 v55, 0x7f800000, v96
	s_delay_alu instid0(VALU_DEP_1) | instskip(SKIP_1) | instid1(SALU_CYCLE_1)
	v_cmp_ne_u32_e32 vcc_lo, 0x7f800000, v55
                                        ; implicit-def: $vgpr55
	s_and_saveexec_b32 s40, vcc_lo
	s_xor_b32 s40, exec_lo, s40
; %bb.1061:                             ;   in Loop: Header=BB8_979 Depth=4
	v_bfe_u32 v55, v96, 16, 1
	s_delay_alu instid0(VALU_DEP_1)
	v_add3_u32 v55, v96, v55, 0x7fff
                                        ; implicit-def: $vgpr96
; %bb.1062:                             ;   in Loop: Header=BB8_979 Depth=4
	s_and_not1_saveexec_b32 s40, s40
; %bb.1063:                             ;   in Loop: Header=BB8_979 Depth=4
	v_and_b32_e32 v55, 0xffff, v96
	v_or_b32_e32 v97, 0x10000, v96
	s_delay_alu instid0(VALU_DEP_2) | instskip(NEXT) | instid1(VALU_DEP_2)
	v_cmp_eq_u32_e32 vcc_lo, 0, v55
	v_cndmask_b32_e32 v55, v97, v96, vcc_lo
; %bb.1064:                             ;   in Loop: Header=BB8_979 Depth=4
	s_or_b32 exec_lo, exec_lo, s40
	v_and_b32_e32 v96, 0xffff0000, v14
	v_and_b32_e32 v53, 0xffff0000, v53
	s_delay_alu instid0(VALU_DEP_1) | instskip(NEXT) | instid1(VALU_DEP_1)
	v_add_f32_e32 v96, v96, v53
	v_and_b32_e32 v53, 0x7f800000, v96
	s_delay_alu instid0(VALU_DEP_1) | instskip(SKIP_1) | instid1(SALU_CYCLE_1)
	v_cmp_ne_u32_e32 vcc_lo, 0x7f800000, v53
                                        ; implicit-def: $vgpr53
	s_and_saveexec_b32 s40, vcc_lo
	s_xor_b32 s40, exec_lo, s40
; %bb.1065:                             ;   in Loop: Header=BB8_979 Depth=4
	v_bfe_u32 v53, v96, 16, 1
	s_delay_alu instid0(VALU_DEP_1)
	v_add3_u32 v53, v96, v53, 0x7fff
                                        ; implicit-def: $vgpr96
; %bb.1066:                             ;   in Loop: Header=BB8_979 Depth=4
	s_and_not1_saveexec_b32 s40, s40
; %bb.1067:                             ;   in Loop: Header=BB8_979 Depth=4
	v_and_b32_e32 v53, 0xffff, v96
	v_or_b32_e32 v97, 0x10000, v96
	s_delay_alu instid0(VALU_DEP_2) | instskip(NEXT) | instid1(VALU_DEP_2)
	v_cmp_eq_u32_e32 vcc_lo, 0, v53
	v_cndmask_b32_e32 v53, v97, v96, vcc_lo
; %bb.1068:                             ;   in Loop: Header=BB8_979 Depth=4
	s_or_b32 exec_lo, exec_lo, s40
	v_and_b32_e32 v54, 0xffff0000, v54
	v_lshlrev_b32_e32 v96, 16, v15
	s_delay_alu instid0(VALU_DEP_1) | instskip(NEXT) | instid1(VALU_DEP_1)
	v_add_f32_e32 v96, v96, v54
	v_and_b32_e32 v54, 0x7f800000, v96
	s_delay_alu instid0(VALU_DEP_1) | instskip(SKIP_1) | instid1(SALU_CYCLE_1)
	v_cmp_ne_u32_e32 vcc_lo, 0x7f800000, v54
                                        ; implicit-def: $vgpr54
	s_and_saveexec_b32 s40, vcc_lo
	s_xor_b32 s40, exec_lo, s40
; %bb.1069:                             ;   in Loop: Header=BB8_979 Depth=4
	v_bfe_u32 v54, v96, 16, 1
	s_delay_alu instid0(VALU_DEP_1)
	v_add3_u32 v54, v96, v54, 0x7fff
                                        ; implicit-def: $vgpr96
; %bb.1070:                             ;   in Loop: Header=BB8_979 Depth=4
	s_and_not1_saveexec_b32 s40, s40
; %bb.1071:                             ;   in Loop: Header=BB8_979 Depth=4
	v_and_b32_e32 v54, 0xffff, v96
	v_or_b32_e32 v97, 0x10000, v96
	s_delay_alu instid0(VALU_DEP_2) | instskip(NEXT) | instid1(VALU_DEP_2)
	v_cmp_eq_u32_e32 vcc_lo, 0, v54
	v_cndmask_b32_e32 v54, v97, v96, vcc_lo
; %bb.1072:                             ;   in Loop: Header=BB8_979 Depth=4
	s_or_b32 exec_lo, exec_lo, s40
	v_and_b32_e32 v96, 0xffff0000, v15
	v_and_b32_e32 v35, 0xffff0000, v35
	s_delay_alu instid0(VALU_DEP_1) | instskip(NEXT) | instid1(VALU_DEP_1)
	v_add_f32_e32 v96, v96, v35
	v_and_b32_e32 v35, 0x7f800000, v96
	s_delay_alu instid0(VALU_DEP_1) | instskip(SKIP_1) | instid1(SALU_CYCLE_1)
	v_cmp_ne_u32_e32 vcc_lo, 0x7f800000, v35
                                        ; implicit-def: $vgpr35
	s_and_saveexec_b32 s40, vcc_lo
	s_xor_b32 s40, exec_lo, s40
; %bb.1073:                             ;   in Loop: Header=BB8_979 Depth=4
	v_bfe_u32 v35, v96, 16, 1
	s_delay_alu instid0(VALU_DEP_1)
	v_add3_u32 v35, v96, v35, 0x7fff
                                        ; implicit-def: $vgpr96
; %bb.1074:                             ;   in Loop: Header=BB8_979 Depth=4
	s_and_not1_saveexec_b32 s40, s40
; %bb.1075:                             ;   in Loop: Header=BB8_979 Depth=4
	v_and_b32_e32 v35, 0xffff, v96
	v_or_b32_e32 v97, 0x10000, v96
	s_delay_alu instid0(VALU_DEP_2) | instskip(NEXT) | instid1(VALU_DEP_2)
	v_cmp_eq_u32_e32 vcc_lo, 0, v35
	v_cndmask_b32_e32 v35, v97, v96, vcc_lo
; %bb.1076:                             ;   in Loop: Header=BB8_979 Depth=4
	s_or_b32 exec_lo, exec_lo, s40
	v_and_b32_e32 v52, 0xffff0000, v52
	v_lshlrev_b32_e32 v96, 16, v8
	s_delay_alu instid0(VALU_DEP_1) | instskip(NEXT) | instid1(VALU_DEP_1)
	v_add_f32_e32 v96, v96, v52
	v_and_b32_e32 v52, 0x7f800000, v96
	s_delay_alu instid0(VALU_DEP_1) | instskip(SKIP_1) | instid1(SALU_CYCLE_1)
	v_cmp_ne_u32_e32 vcc_lo, 0x7f800000, v52
                                        ; implicit-def: $vgpr52
	s_and_saveexec_b32 s40, vcc_lo
	s_xor_b32 s40, exec_lo, s40
; %bb.1077:                             ;   in Loop: Header=BB8_979 Depth=4
	v_bfe_u32 v52, v96, 16, 1
	s_delay_alu instid0(VALU_DEP_1)
	v_add3_u32 v52, v96, v52, 0x7fff
                                        ; implicit-def: $vgpr96
; %bb.1078:                             ;   in Loop: Header=BB8_979 Depth=4
	s_and_not1_saveexec_b32 s40, s40
; %bb.1079:                             ;   in Loop: Header=BB8_979 Depth=4
	v_and_b32_e32 v52, 0xffff, v96
	v_or_b32_e32 v97, 0x10000, v96
	s_delay_alu instid0(VALU_DEP_2) | instskip(NEXT) | instid1(VALU_DEP_2)
	v_cmp_eq_u32_e32 vcc_lo, 0, v52
	v_cndmask_b32_e32 v52, v97, v96, vcc_lo
; %bb.1080:                             ;   in Loop: Header=BB8_979 Depth=4
	s_or_b32 exec_lo, exec_lo, s40
	v_and_b32_e32 v96, 0xffff0000, v8
	v_and_b32_e32 v33, 0xffff0000, v33
	s_mov_b32 s40, exec_lo
                                        ; implicit-def: $vgpr98
	s_delay_alu instid0(VALU_DEP_1) | instskip(NEXT) | instid1(VALU_DEP_1)
	v_add_f32_e32 v33, v96, v33
	v_and_b32_e32 v96, 0x7f800000, v33
	s_delay_alu instid0(VALU_DEP_1)
	v_cmpx_ne_u32_e32 0x7f800000, v96
	s_xor_b32 s40, exec_lo, s40
; %bb.1081:                             ;   in Loop: Header=BB8_979 Depth=4
	v_bfe_u32 v96, v33, 16, 1
	s_delay_alu instid0(VALU_DEP_1)
	v_add3_u32 v98, v33, v96, 0x7fff
                                        ; implicit-def: $vgpr33
; %bb.1082:                             ;   in Loop: Header=BB8_979 Depth=4
	s_and_not1_saveexec_b32 s40, s40
; %bb.1083:                             ;   in Loop: Header=BB8_979 Depth=4
	v_and_b32_e32 v96, 0xffff, v33
	v_or_b32_e32 v97, 0x10000, v33
	s_delay_alu instid0(VALU_DEP_2) | instskip(NEXT) | instid1(VALU_DEP_2)
	v_cmp_eq_u32_e32 vcc_lo, 0, v96
	v_cndmask_b32_e32 v98, v97, v33, vcc_lo
; %bb.1084:                             ;   in Loop: Header=BB8_979 Depth=4
	s_or_b32 exec_lo, exec_lo, s40
	v_and_b32_e32 v33, 0xffff0000, v34
	v_lshlrev_b32_e32 v34, 16, v9
	s_mov_b32 s40, exec_lo
                                        ; implicit-def: $vgpr99
	s_delay_alu instid0(VALU_DEP_1) | instskip(NEXT) | instid1(VALU_DEP_1)
	v_add_f32_e32 v33, v34, v33
	v_and_b32_e32 v34, 0x7f800000, v33
	s_delay_alu instid0(VALU_DEP_1)
	v_cmpx_ne_u32_e32 0x7f800000, v34
	s_xor_b32 s40, exec_lo, s40
; %bb.1085:                             ;   in Loop: Header=BB8_979 Depth=4
	v_bfe_u32 v34, v33, 16, 1
	s_delay_alu instid0(VALU_DEP_1)
	v_add3_u32 v99, v33, v34, 0x7fff
                                        ; implicit-def: $vgpr33
; %bb.1086:                             ;   in Loop: Header=BB8_979 Depth=4
	s_and_not1_saveexec_b32 s40, s40
; %bb.1087:                             ;   in Loop: Header=BB8_979 Depth=4
	v_and_b32_e32 v34, 0xffff, v33
	v_or_b32_e32 v96, 0x10000, v33
	s_delay_alu instid0(VALU_DEP_2) | instskip(NEXT) | instid1(VALU_DEP_2)
	v_cmp_eq_u32_e32 vcc_lo, 0, v34
	v_cndmask_b32_e32 v99, v96, v33, vcc_lo
; %bb.1088:                             ;   in Loop: Header=BB8_979 Depth=4
	s_or_b32 exec_lo, exec_lo, s40
	v_and_b32_e32 v33, 0xffff0000, v9
	v_and_b32_e32 v29, 0xffff0000, v29
	s_delay_alu instid0(VALU_DEP_1) | instskip(NEXT) | instid1(VALU_DEP_1)
	v_add_f32_e32 v33, v33, v29
	v_and_b32_e32 v29, 0x7f800000, v33
	s_delay_alu instid0(VALU_DEP_1) | instskip(SKIP_1) | instid1(SALU_CYCLE_1)
	v_cmp_ne_u32_e32 vcc_lo, 0x7f800000, v29
                                        ; implicit-def: $vgpr29
	s_and_saveexec_b32 s40, vcc_lo
	s_xor_b32 s40, exec_lo, s40
; %bb.1089:                             ;   in Loop: Header=BB8_979 Depth=4
	v_bfe_u32 v29, v33, 16, 1
	s_delay_alu instid0(VALU_DEP_1)
	v_add3_u32 v29, v33, v29, 0x7fff
                                        ; implicit-def: $vgpr33
; %bb.1090:                             ;   in Loop: Header=BB8_979 Depth=4
	s_and_not1_saveexec_b32 s40, s40
; %bb.1091:                             ;   in Loop: Header=BB8_979 Depth=4
	v_and_b32_e32 v29, 0xffff, v33
	v_or_b32_e32 v34, 0x10000, v33
	s_delay_alu instid0(VALU_DEP_2) | instskip(NEXT) | instid1(VALU_DEP_2)
	v_cmp_eq_u32_e32 vcc_lo, 0, v29
	v_cndmask_b32_e32 v29, v34, v33, vcc_lo
; %bb.1092:                             ;   in Loop: Header=BB8_979 Depth=4
	s_or_b32 exec_lo, exec_lo, s40
	v_and_b32_e32 v32, 0xffff0000, v32
	v_lshlrev_b32_e32 v33, 16, v10
	s_mov_b32 s40, exec_lo
                                        ; implicit-def: $vgpr107
	s_delay_alu instid0(VALU_DEP_1) | instskip(NEXT) | instid1(VALU_DEP_1)
	v_add_f32_e32 v32, v33, v32
	v_and_b32_e32 v33, 0x7f800000, v32
	s_delay_alu instid0(VALU_DEP_1)
	v_cmpx_ne_u32_e32 0x7f800000, v33
	s_xor_b32 s40, exec_lo, s40
; %bb.1093:                             ;   in Loop: Header=BB8_979 Depth=4
	v_bfe_u32 v33, v32, 16, 1
	s_delay_alu instid0(VALU_DEP_1)
	v_add3_u32 v107, v32, v33, 0x7fff
                                        ; implicit-def: $vgpr32
; %bb.1094:                             ;   in Loop: Header=BB8_979 Depth=4
	s_and_not1_saveexec_b32 s40, s40
; %bb.1095:                             ;   in Loop: Header=BB8_979 Depth=4
	v_and_b32_e32 v33, 0xffff, v32
	v_or_b32_e32 v34, 0x10000, v32
	s_delay_alu instid0(VALU_DEP_2) | instskip(NEXT) | instid1(VALU_DEP_2)
	v_cmp_eq_u32_e32 vcc_lo, 0, v33
	v_cndmask_b32_e32 v107, v34, v32, vcc_lo
; %bb.1096:                             ;   in Loop: Header=BB8_979 Depth=4
	s_or_b32 exec_lo, exec_lo, s40
	v_and_b32_e32 v32, 0xffff0000, v10
	v_and_b32_e32 v18, 0xffff0000, v18
	s_delay_alu instid0(VALU_DEP_1) | instskip(NEXT) | instid1(VALU_DEP_1)
	v_add_f32_e32 v32, v32, v18
	v_and_b32_e32 v18, 0x7f800000, v32
	s_delay_alu instid0(VALU_DEP_1) | instskip(SKIP_1) | instid1(SALU_CYCLE_1)
	v_cmp_ne_u32_e32 vcc_lo, 0x7f800000, v18
                                        ; implicit-def: $vgpr18
	s_and_saveexec_b32 s40, vcc_lo
	s_xor_b32 s40, exec_lo, s40
; %bb.1097:                             ;   in Loop: Header=BB8_979 Depth=4
	v_bfe_u32 v18, v32, 16, 1
	s_delay_alu instid0(VALU_DEP_1)
	v_add3_u32 v18, v32, v18, 0x7fff
                                        ; implicit-def: $vgpr32
; %bb.1098:                             ;   in Loop: Header=BB8_979 Depth=4
	s_and_not1_saveexec_b32 s40, s40
; %bb.1099:                             ;   in Loop: Header=BB8_979 Depth=4
	v_and_b32_e32 v18, 0xffff, v32
	v_or_b32_e32 v33, 0x10000, v32
	s_delay_alu instid0(VALU_DEP_2) | instskip(NEXT) | instid1(VALU_DEP_2)
	v_cmp_eq_u32_e32 vcc_lo, 0, v18
	v_cndmask_b32_e32 v18, v33, v32, vcc_lo
; %bb.1100:                             ;   in Loop: Header=BB8_979 Depth=4
	s_or_b32 exec_lo, exec_lo, s40
	v_and_b32_e32 v28, 0xffff0000, v28
	v_lshlrev_b32_e32 v32, 16, v11
	s_delay_alu instid0(VALU_DEP_1) | instskip(NEXT) | instid1(VALU_DEP_1)
	v_add_f32_e32 v32, v32, v28
	v_and_b32_e32 v28, 0x7f800000, v32
	s_delay_alu instid0(VALU_DEP_1) | instskip(SKIP_1) | instid1(SALU_CYCLE_1)
	v_cmp_ne_u32_e32 vcc_lo, 0x7f800000, v28
                                        ; implicit-def: $vgpr28
	s_and_saveexec_b32 s40, vcc_lo
	s_xor_b32 s40, exec_lo, s40
; %bb.1101:                             ;   in Loop: Header=BB8_979 Depth=4
	v_bfe_u32 v28, v32, 16, 1
	s_delay_alu instid0(VALU_DEP_1)
	v_add3_u32 v28, v32, v28, 0x7fff
                                        ; implicit-def: $vgpr32
; %bb.1102:                             ;   in Loop: Header=BB8_979 Depth=4
	s_and_not1_saveexec_b32 s40, s40
; %bb.1103:                             ;   in Loop: Header=BB8_979 Depth=4
	v_and_b32_e32 v28, 0xffff, v32
	v_or_b32_e32 v33, 0x10000, v32
	s_delay_alu instid0(VALU_DEP_2) | instskip(NEXT) | instid1(VALU_DEP_2)
	v_cmp_eq_u32_e32 vcc_lo, 0, v28
	v_cndmask_b32_e32 v28, v33, v32, vcc_lo
; %bb.1104:                             ;   in Loop: Header=BB8_979 Depth=4
	s_or_b32 exec_lo, exec_lo, s40
	v_and_b32_e32 v32, 0xffff0000, v11
	v_and_b32_e32 v17, 0xffff0000, v17
	s_mov_b32 s40, exec_lo
                                        ; implicit-def: $vgpr96
	s_delay_alu instid0(VALU_DEP_1) | instskip(NEXT) | instid1(VALU_DEP_1)
	v_add_f32_e32 v17, v32, v17
	v_and_b32_e32 v32, 0x7f800000, v17
	s_delay_alu instid0(VALU_DEP_1)
	v_cmpx_ne_u32_e32 0x7f800000, v32
	s_xor_b32 s40, exec_lo, s40
; %bb.1105:                             ;   in Loop: Header=BB8_979 Depth=4
	v_bfe_u32 v32, v17, 16, 1
	s_delay_alu instid0(VALU_DEP_1)
	v_add3_u32 v96, v17, v32, 0x7fff
                                        ; implicit-def: $vgpr17
; %bb.1106:                             ;   in Loop: Header=BB8_979 Depth=4
	s_and_not1_saveexec_b32 s40, s40
; %bb.1107:                             ;   in Loop: Header=BB8_979 Depth=4
	v_and_b32_e32 v32, 0xffff, v17
	v_or_b32_e32 v33, 0x10000, v17
	s_delay_alu instid0(VALU_DEP_2) | instskip(NEXT) | instid1(VALU_DEP_2)
	v_cmp_eq_u32_e32 vcc_lo, 0, v32
	v_cndmask_b32_e32 v96, v33, v17, vcc_lo
; %bb.1108:                             ;   in Loop: Header=BB8_979 Depth=4
	s_or_b32 exec_lo, exec_lo, s40
	v_dual_lshrrev_b32 v5, 16, v5 :: v_dual_lshrrev_b32 v16, 16, v16
	v_dual_lshrrev_b32 v17, 16, v55 :: v_dual_lshrrev_b32 v28, 16, v28
	s_delay_alu instid0(VALU_DEP_2) | instskip(NEXT) | instid1(VALU_DEP_3)
	v_and_or_b32 v33, 0xffff0000, v19, v5
	v_and_or_b32 v32, 0xffff0000, v4, v16
	v_dual_lshrrev_b32 v4, 16, v54 :: v_dual_lshrrev_b32 v5, 16, v99
	v_dual_lshrrev_b32 v16, 16, v52 :: v_dual_lshrrev_b32 v19, 16, v107
	v_and_or_b32 v34, 0xffff0000, v53, v17
	s_delay_alu instid0(VALU_DEP_3) | instskip(NEXT) | instid1(VALU_DEP_4)
	v_and_or_b32 v35, 0xffff0000, v35, v4
	v_and_or_b32 v17, 0xffff0000, v29, v5
	s_delay_alu instid0(VALU_DEP_4)
	v_and_or_b32 v16, 0xffff0000, v98, v16
	v_and_or_b32 v18, 0xffff0000, v18, v19
	;; [unrolled: 1-line block ×3, first 2 shown]
	s_clause 0x1
	global_store_b128 v[90:91], v[32:35], off th:TH_STORE_NT
	global_store_b128 v[90:91], v[16:19], off offset:512 th:TH_STORE_NT
	s_wait_xcnt 0x0
	v_add_nc_u64_e32 v[90:91], v[90:91], v[42:43]
.LBB8_1109:                             ;   in Loop: Header=BB8_979 Depth=4
	s_or_b32 exec_lo, exec_lo, s41
	v_sub_nc_u32_e32 v106, v106, v84
	v_add_nc_u64_e32 v[92:93], v[92:93], v[42:43]
	v_add_nc_u64_e32 v[94:95], v[94:95], v[42:43]
	s_delay_alu instid0(VALU_DEP_3)
	v_cmp_lt_i32_e64 s40, 0, v106
	s_and_saveexec_b32 s41, s40
	s_cbranch_execz .LBB8_1111
; %bb.1110:                             ;   in Loop: Header=BB8_979 Depth=4
	s_clause 0x1
	global_load_b128 v[32:35], v[92:93], off th:TH_LOAD_NT
	global_load_b128 v[16:19], v[92:93], off offset:512 th:TH_LOAD_NT
	s_clause 0x1
	global_load_b128 v[12:15], v[94:95], off th:TH_LOAD_NT
	global_load_b128 v[8:11], v[94:95], off offset:512 th:TH_LOAD_NT
	s_wait_xcnt 0x2
	v_add_nc_u64_e32 v[92:93], 0x400, v[92:93]
	s_wait_xcnt 0x0
	v_add_nc_u64_e32 v[94:95], 0x400, v[94:95]
.LBB8_1111:                             ;   in Loop: Header=BB8_979 Depth=4
	s_or_b32 exec_lo, exec_lo, s41
	s_wait_loadcnt 0x3
	v_lshlrev_b32_e32 v4, 16, v48
	s_mov_b32 s41, exec_lo
                                        ; implicit-def: $vgpr28
	s_delay_alu instid0(VALU_DEP_1) | instskip(NEXT) | instid1(VALU_DEP_1)
	v_mul_f32_e32 v4, v105, v4
	v_and_b32_e32 v5, 0x7f800000, v4
	s_delay_alu instid0(VALU_DEP_1)
	v_cmpx_ne_u32_e32 0x7f800000, v5
	s_xor_b32 s41, exec_lo, s41
; %bb.1112:                             ;   in Loop: Header=BB8_979 Depth=4
	v_bfe_u32 v5, v4, 16, 1
	s_delay_alu instid0(VALU_DEP_1)
	v_add3_u32 v28, v4, v5, 0x7fff
                                        ; implicit-def: $vgpr4
; %bb.1113:                             ;   in Loop: Header=BB8_979 Depth=4
	s_and_not1_saveexec_b32 s41, s41
; %bb.1114:                             ;   in Loop: Header=BB8_979 Depth=4
	v_and_b32_e32 v5, 0xffff, v4
	v_or_b32_e32 v28, 0x10000, v4
	s_delay_alu instid0(VALU_DEP_2) | instskip(NEXT) | instid1(VALU_DEP_2)
	v_cmp_eq_u32_e32 vcc_lo, 0, v5
	v_cndmask_b32_e32 v28, v28, v4, vcc_lo
; %bb.1115:                             ;   in Loop: Header=BB8_979 Depth=4
	s_or_b32 exec_lo, exec_lo, s41
	v_and_b32_e32 v4, 0xffff0000, v48
	s_delay_alu instid0(VALU_DEP_1) | instskip(NEXT) | instid1(VALU_DEP_1)
	v_mul_f32_e32 v5, v105, v4
	v_and_b32_e32 v4, 0x7f800000, v5
	s_delay_alu instid0(VALU_DEP_1) | instskip(SKIP_1) | instid1(SALU_CYCLE_1)
	v_cmp_ne_u32_e32 vcc_lo, 0x7f800000, v4
                                        ; implicit-def: $vgpr4
	s_and_saveexec_b32 s41, vcc_lo
	s_xor_b32 s41, exec_lo, s41
; %bb.1116:                             ;   in Loop: Header=BB8_979 Depth=4
	v_bfe_u32 v4, v5, 16, 1
	s_delay_alu instid0(VALU_DEP_1)
	v_add3_u32 v4, v5, v4, 0x7fff
                                        ; implicit-def: $vgpr5
; %bb.1117:                             ;   in Loop: Header=BB8_979 Depth=4
	s_and_not1_saveexec_b32 s41, s41
; %bb.1118:                             ;   in Loop: Header=BB8_979 Depth=4
	v_and_b32_e32 v4, 0xffff, v5
	v_or_b32_e32 v29, 0x10000, v5
	s_delay_alu instid0(VALU_DEP_2) | instskip(NEXT) | instid1(VALU_DEP_2)
	v_cmp_eq_u32_e32 vcc_lo, 0, v4
	v_cndmask_b32_e32 v4, v29, v5, vcc_lo
; %bb.1119:                             ;   in Loop: Header=BB8_979 Depth=4
	s_or_b32 exec_lo, exec_lo, s41
	v_lshlrev_b32_e32 v5, 16, v49
	s_delay_alu instid0(VALU_DEP_1) | instskip(NEXT) | instid1(VALU_DEP_1)
	v_mul_f32_e32 v29, v105, v5
	v_and_b32_e32 v5, 0x7f800000, v29
	s_delay_alu instid0(VALU_DEP_1) | instskip(SKIP_1) | instid1(SALU_CYCLE_1)
	v_cmp_ne_u32_e32 vcc_lo, 0x7f800000, v5
                                        ; implicit-def: $vgpr5
	s_and_saveexec_b32 s41, vcc_lo
	s_xor_b32 s41, exec_lo, s41
; %bb.1120:                             ;   in Loop: Header=BB8_979 Depth=4
	v_bfe_u32 v5, v29, 16, 1
	s_delay_alu instid0(VALU_DEP_1)
	v_add3_u32 v5, v29, v5, 0x7fff
                                        ; implicit-def: $vgpr29
; %bb.1121:                             ;   in Loop: Header=BB8_979 Depth=4
	s_and_not1_saveexec_b32 s41, s41
; %bb.1122:                             ;   in Loop: Header=BB8_979 Depth=4
	v_and_b32_e32 v5, 0xffff, v29
	v_or_b32_e32 v48, 0x10000, v29
	s_delay_alu instid0(VALU_DEP_2) | instskip(NEXT) | instid1(VALU_DEP_2)
	v_cmp_eq_u32_e32 vcc_lo, 0, v5
	v_cndmask_b32_e32 v5, v48, v29, vcc_lo
; %bb.1123:                             ;   in Loop: Header=BB8_979 Depth=4
	s_or_b32 exec_lo, exec_lo, s41
	v_and_b32_e32 v29, 0xffff0000, v49
	s_mov_b32 s41, exec_lo
                                        ; implicit-def: $vgpr98
	s_delay_alu instid0(VALU_DEP_1) | instskip(NEXT) | instid1(VALU_DEP_1)
	v_mul_f32_e32 v29, v105, v29
	v_and_b32_e32 v48, 0x7f800000, v29
	s_delay_alu instid0(VALU_DEP_1)
	v_cmpx_ne_u32_e32 0x7f800000, v48
	s_xor_b32 s41, exec_lo, s41
; %bb.1124:                             ;   in Loop: Header=BB8_979 Depth=4
	v_bfe_u32 v48, v29, 16, 1
	s_delay_alu instid0(VALU_DEP_1)
	v_add3_u32 v98, v29, v48, 0x7fff
                                        ; implicit-def: $vgpr29
; %bb.1125:                             ;   in Loop: Header=BB8_979 Depth=4
	s_and_not1_saveexec_b32 s41, s41
; %bb.1126:                             ;   in Loop: Header=BB8_979 Depth=4
	v_and_b32_e32 v48, 0xffff, v29
	v_or_b32_e32 v49, 0x10000, v29
	s_delay_alu instid0(VALU_DEP_2) | instskip(NEXT) | instid1(VALU_DEP_2)
	v_cmp_eq_u32_e32 vcc_lo, 0, v48
	v_cndmask_b32_e32 v98, v49, v29, vcc_lo
; %bb.1127:                             ;   in Loop: Header=BB8_979 Depth=4
	s_or_b32 exec_lo, exec_lo, s41
	v_lshlrev_b32_e32 v29, 16, v50
	s_mov_b32 s41, exec_lo
                                        ; implicit-def: $vgpr99
	s_delay_alu instid0(VALU_DEP_1) | instskip(NEXT) | instid1(VALU_DEP_1)
	v_mul_f32_e32 v29, v105, v29
	v_and_b32_e32 v48, 0x7f800000, v29
	s_delay_alu instid0(VALU_DEP_1)
	v_cmpx_ne_u32_e32 0x7f800000, v48
	s_xor_b32 s41, exec_lo, s41
; %bb.1128:                             ;   in Loop: Header=BB8_979 Depth=4
	v_bfe_u32 v48, v29, 16, 1
	s_delay_alu instid0(VALU_DEP_1)
	v_add3_u32 v99, v29, v48, 0x7fff
                                        ; implicit-def: $vgpr29
; %bb.1129:                             ;   in Loop: Header=BB8_979 Depth=4
	s_and_not1_saveexec_b32 s41, s41
; %bb.1130:                             ;   in Loop: Header=BB8_979 Depth=4
	v_and_b32_e32 v48, 0xffff, v29
	v_or_b32_e32 v49, 0x10000, v29
	s_delay_alu instid0(VALU_DEP_2) | instskip(NEXT) | instid1(VALU_DEP_2)
	v_cmp_eq_u32_e32 vcc_lo, 0, v48
	v_cndmask_b32_e32 v99, v49, v29, vcc_lo
; %bb.1131:                             ;   in Loop: Header=BB8_979 Depth=4
	s_or_b32 exec_lo, exec_lo, s41
	v_and_b32_e32 v29, 0xffff0000, v50
	s_mov_b32 s41, exec_lo
                                        ; implicit-def: $vgpr54
	s_delay_alu instid0(VALU_DEP_1) | instskip(NEXT) | instid1(VALU_DEP_1)
	v_mul_f32_e32 v29, v105, v29
	v_and_b32_e32 v48, 0x7f800000, v29
	s_delay_alu instid0(VALU_DEP_1)
	v_cmpx_ne_u32_e32 0x7f800000, v48
	s_xor_b32 s41, exec_lo, s41
; %bb.1132:                             ;   in Loop: Header=BB8_979 Depth=4
	v_bfe_u32 v48, v29, 16, 1
	s_delay_alu instid0(VALU_DEP_1)
	v_add3_u32 v54, v29, v48, 0x7fff
                                        ; implicit-def: $vgpr29
; %bb.1133:                             ;   in Loop: Header=BB8_979 Depth=4
	s_and_not1_saveexec_b32 s41, s41
; %bb.1134:                             ;   in Loop: Header=BB8_979 Depth=4
	v_and_b32_e32 v48, 0xffff, v29
	v_or_b32_e32 v49, 0x10000, v29
	s_delay_alu instid0(VALU_DEP_2) | instskip(NEXT) | instid1(VALU_DEP_2)
	v_cmp_eq_u32_e32 vcc_lo, 0, v48
	v_cndmask_b32_e32 v54, v49, v29, vcc_lo
; %bb.1135:                             ;   in Loop: Header=BB8_979 Depth=4
	s_or_b32 exec_lo, exec_lo, s41
	v_lshlrev_b32_e32 v29, 16, v51
	s_mov_b32 s41, exec_lo
                                        ; implicit-def: $vgpr55
	s_delay_alu instid0(VALU_DEP_1) | instskip(NEXT) | instid1(VALU_DEP_1)
	v_mul_f32_e32 v29, v105, v29
	v_and_b32_e32 v48, 0x7f800000, v29
	s_delay_alu instid0(VALU_DEP_1)
	v_cmpx_ne_u32_e32 0x7f800000, v48
	s_xor_b32 s41, exec_lo, s41
; %bb.1136:                             ;   in Loop: Header=BB8_979 Depth=4
	v_bfe_u32 v48, v29, 16, 1
	s_delay_alu instid0(VALU_DEP_1)
	v_add3_u32 v55, v29, v48, 0x7fff
                                        ; implicit-def: $vgpr29
; %bb.1137:                             ;   in Loop: Header=BB8_979 Depth=4
	s_and_not1_saveexec_b32 s41, s41
; %bb.1138:                             ;   in Loop: Header=BB8_979 Depth=4
	v_and_b32_e32 v48, 0xffff, v29
	v_or_b32_e32 v49, 0x10000, v29
	s_delay_alu instid0(VALU_DEP_2) | instskip(NEXT) | instid1(VALU_DEP_2)
	v_cmp_eq_u32_e32 vcc_lo, 0, v48
	v_cndmask_b32_e32 v55, v49, v29, vcc_lo
; %bb.1139:                             ;   in Loop: Header=BB8_979 Depth=4
	s_or_b32 exec_lo, exec_lo, s41
	v_and_b32_e32 v29, 0xffff0000, v51
	s_mov_b32 s41, exec_lo
                                        ; implicit-def: $vgpr52
	s_delay_alu instid0(VALU_DEP_1) | instskip(NEXT) | instid1(VALU_DEP_1)
	v_mul_f32_e32 v29, v105, v29
	v_and_b32_e32 v48, 0x7f800000, v29
	s_delay_alu instid0(VALU_DEP_1)
	v_cmpx_ne_u32_e32 0x7f800000, v48
	s_xor_b32 s41, exec_lo, s41
; %bb.1140:                             ;   in Loop: Header=BB8_979 Depth=4
	v_bfe_u32 v48, v29, 16, 1
	s_delay_alu instid0(VALU_DEP_1)
	v_add3_u32 v52, v29, v48, 0x7fff
                                        ; implicit-def: $vgpr29
; %bb.1141:                             ;   in Loop: Header=BB8_979 Depth=4
	s_and_not1_saveexec_b32 s41, s41
; %bb.1142:                             ;   in Loop: Header=BB8_979 Depth=4
	v_and_b32_e32 v48, 0xffff, v29
	v_or_b32_e32 v49, 0x10000, v29
	s_delay_alu instid0(VALU_DEP_2) | instskip(NEXT) | instid1(VALU_DEP_2)
	v_cmp_eq_u32_e32 vcc_lo, 0, v48
	v_cndmask_b32_e32 v52, v49, v29, vcc_lo
; %bb.1143:                             ;   in Loop: Header=BB8_979 Depth=4
	s_or_b32 exec_lo, exec_lo, s41
	s_wait_loadcnt 0x2
	v_lshlrev_b32_e32 v29, 16, v36
	s_mov_b32 s41, exec_lo
                                        ; implicit-def: $vgpr53
	s_delay_alu instid0(VALU_DEP_1) | instskip(NEXT) | instid1(VALU_DEP_1)
	v_mul_f32_e32 v29, v105, v29
	v_and_b32_e32 v48, 0x7f800000, v29
	s_delay_alu instid0(VALU_DEP_1)
	v_cmpx_ne_u32_e32 0x7f800000, v48
	s_xor_b32 s41, exec_lo, s41
; %bb.1144:                             ;   in Loop: Header=BB8_979 Depth=4
	v_bfe_u32 v48, v29, 16, 1
	s_delay_alu instid0(VALU_DEP_1)
	v_add3_u32 v53, v29, v48, 0x7fff
                                        ; implicit-def: $vgpr29
; %bb.1145:                             ;   in Loop: Header=BB8_979 Depth=4
	s_and_not1_saveexec_b32 s41, s41
; %bb.1146:                             ;   in Loop: Header=BB8_979 Depth=4
	v_and_b32_e32 v48, 0xffff, v29
	v_or_b32_e32 v49, 0x10000, v29
	s_delay_alu instid0(VALU_DEP_2) | instskip(NEXT) | instid1(VALU_DEP_2)
	v_cmp_eq_u32_e32 vcc_lo, 0, v48
	v_cndmask_b32_e32 v53, v49, v29, vcc_lo
; %bb.1147:                             ;   in Loop: Header=BB8_979 Depth=4
	s_or_b32 exec_lo, exec_lo, s41
	v_and_b32_e32 v29, 0xffff0000, v36
	s_mov_b32 s41, exec_lo
                                        ; implicit-def: $vgpr50
	s_delay_alu instid0(VALU_DEP_1) | instskip(NEXT) | instid1(VALU_DEP_1)
	v_mul_f32_e32 v29, v105, v29
	v_and_b32_e32 v36, 0x7f800000, v29
	s_delay_alu instid0(VALU_DEP_1)
	v_cmpx_ne_u32_e32 0x7f800000, v36
	s_xor_b32 s41, exec_lo, s41
; %bb.1148:                             ;   in Loop: Header=BB8_979 Depth=4
	v_bfe_u32 v36, v29, 16, 1
	s_delay_alu instid0(VALU_DEP_1)
	v_add3_u32 v50, v29, v36, 0x7fff
                                        ; implicit-def: $vgpr29
; %bb.1149:                             ;   in Loop: Header=BB8_979 Depth=4
	s_and_not1_saveexec_b32 s41, s41
; %bb.1150:                             ;   in Loop: Header=BB8_979 Depth=4
	v_and_b32_e32 v36, 0xffff, v29
	v_or_b32_e32 v48, 0x10000, v29
	s_delay_alu instid0(VALU_DEP_2) | instskip(NEXT) | instid1(VALU_DEP_2)
	v_cmp_eq_u32_e32 vcc_lo, 0, v36
	v_cndmask_b32_e32 v50, v48, v29, vcc_lo
; %bb.1151:                             ;   in Loop: Header=BB8_979 Depth=4
	s_or_b32 exec_lo, exec_lo, s41
	v_lshlrev_b32_e32 v29, 16, v37
	s_mov_b32 s41, exec_lo
                                        ; implicit-def: $vgpr51
	s_delay_alu instid0(VALU_DEP_1) | instskip(NEXT) | instid1(VALU_DEP_1)
	v_mul_f32_e32 v29, v105, v29
	v_and_b32_e32 v36, 0x7f800000, v29
	s_delay_alu instid0(VALU_DEP_1)
	v_cmpx_ne_u32_e32 0x7f800000, v36
	s_xor_b32 s41, exec_lo, s41
; %bb.1152:                             ;   in Loop: Header=BB8_979 Depth=4
	v_bfe_u32 v36, v29, 16, 1
	s_delay_alu instid0(VALU_DEP_1)
	v_add3_u32 v51, v29, v36, 0x7fff
                                        ; implicit-def: $vgpr29
; %bb.1153:                             ;   in Loop: Header=BB8_979 Depth=4
	s_and_not1_saveexec_b32 s41, s41
; %bb.1154:                             ;   in Loop: Header=BB8_979 Depth=4
	v_and_b32_e32 v36, 0xffff, v29
	v_or_b32_e32 v48, 0x10000, v29
	s_delay_alu instid0(VALU_DEP_2) | instskip(NEXT) | instid1(VALU_DEP_2)
	v_cmp_eq_u32_e32 vcc_lo, 0, v36
	v_cndmask_b32_e32 v51, v48, v29, vcc_lo
; %bb.1155:                             ;   in Loop: Header=BB8_979 Depth=4
	s_or_b32 exec_lo, exec_lo, s41
	v_and_b32_e32 v29, 0xffff0000, v37
	s_mov_b32 s41, exec_lo
                                        ; implicit-def: $vgpr48
	s_delay_alu instid0(VALU_DEP_1) | instskip(NEXT) | instid1(VALU_DEP_1)
	v_mul_f32_e32 v29, v105, v29
	v_and_b32_e32 v36, 0x7f800000, v29
	s_delay_alu instid0(VALU_DEP_1)
	v_cmpx_ne_u32_e32 0x7f800000, v36
	s_xor_b32 s41, exec_lo, s41
; %bb.1156:                             ;   in Loop: Header=BB8_979 Depth=4
	v_bfe_u32 v36, v29, 16, 1
	s_delay_alu instid0(VALU_DEP_1)
	v_add3_u32 v48, v29, v36, 0x7fff
                                        ; implicit-def: $vgpr29
; %bb.1157:                             ;   in Loop: Header=BB8_979 Depth=4
	s_and_not1_saveexec_b32 s41, s41
; %bb.1158:                             ;   in Loop: Header=BB8_979 Depth=4
	v_and_b32_e32 v36, 0xffff, v29
	v_or_b32_e32 v37, 0x10000, v29
	s_delay_alu instid0(VALU_DEP_2) | instskip(NEXT) | instid1(VALU_DEP_2)
	v_cmp_eq_u32_e32 vcc_lo, 0, v36
	v_cndmask_b32_e32 v48, v37, v29, vcc_lo
; %bb.1159:                             ;   in Loop: Header=BB8_979 Depth=4
	s_or_b32 exec_lo, exec_lo, s41
	v_lshlrev_b32_e32 v29, 16, v38
	s_mov_b32 s41, exec_lo
                                        ; implicit-def: $vgpr49
	s_delay_alu instid0(VALU_DEP_1) | instskip(NEXT) | instid1(VALU_DEP_1)
	v_mul_f32_e32 v29, v105, v29
	v_and_b32_e32 v36, 0x7f800000, v29
	s_delay_alu instid0(VALU_DEP_1)
	v_cmpx_ne_u32_e32 0x7f800000, v36
	s_xor_b32 s41, exec_lo, s41
; %bb.1160:                             ;   in Loop: Header=BB8_979 Depth=4
	v_bfe_u32 v36, v29, 16, 1
	s_delay_alu instid0(VALU_DEP_1)
	v_add3_u32 v49, v29, v36, 0x7fff
                                        ; implicit-def: $vgpr29
; %bb.1161:                             ;   in Loop: Header=BB8_979 Depth=4
	s_and_not1_saveexec_b32 s41, s41
; %bb.1162:                             ;   in Loop: Header=BB8_979 Depth=4
	v_and_b32_e32 v36, 0xffff, v29
	v_or_b32_e32 v37, 0x10000, v29
	s_delay_alu instid0(VALU_DEP_2) | instskip(NEXT) | instid1(VALU_DEP_2)
	v_cmp_eq_u32_e32 vcc_lo, 0, v36
	v_cndmask_b32_e32 v49, v37, v29, vcc_lo
; %bb.1163:                             ;   in Loop: Header=BB8_979 Depth=4
	s_or_b32 exec_lo, exec_lo, s41
	v_and_b32_e32 v29, 0xffff0000, v38
	s_delay_alu instid0(VALU_DEP_1) | instskip(NEXT) | instid1(VALU_DEP_1)
	v_mul_f32_e32 v29, v105, v29
	v_and_b32_e32 v36, 0x7f800000, v29
	s_delay_alu instid0(VALU_DEP_1) | instskip(SKIP_1) | instid1(SALU_CYCLE_1)
	v_cmp_ne_u32_e32 vcc_lo, 0x7f800000, v36
                                        ; implicit-def: $vgpr36
	s_and_saveexec_b32 s41, vcc_lo
	s_xor_b32 s41, exec_lo, s41
; %bb.1164:                             ;   in Loop: Header=BB8_979 Depth=4
	v_bfe_u32 v36, v29, 16, 1
	s_delay_alu instid0(VALU_DEP_1)
	v_add3_u32 v36, v29, v36, 0x7fff
                                        ; implicit-def: $vgpr29
; %bb.1165:                             ;   in Loop: Header=BB8_979 Depth=4
	s_and_not1_saveexec_b32 s41, s41
; %bb.1166:                             ;   in Loop: Header=BB8_979 Depth=4
	v_and_b32_e32 v36, 0xffff, v29
	v_or_b32_e32 v37, 0x10000, v29
	s_delay_alu instid0(VALU_DEP_2) | instskip(NEXT) | instid1(VALU_DEP_2)
	v_cmp_eq_u32_e32 vcc_lo, 0, v36
	v_cndmask_b32_e32 v36, v37, v29, vcc_lo
; %bb.1167:                             ;   in Loop: Header=BB8_979 Depth=4
	s_or_b32 exec_lo, exec_lo, s41
	v_lshlrev_b32_e32 v29, 16, v39
	s_delay_alu instid0(VALU_DEP_1) | instskip(NEXT) | instid1(VALU_DEP_1)
	v_mul_f32_e32 v29, v105, v29
	v_and_b32_e32 v37, 0x7f800000, v29
	s_delay_alu instid0(VALU_DEP_1) | instskip(SKIP_1) | instid1(SALU_CYCLE_1)
	v_cmp_ne_u32_e32 vcc_lo, 0x7f800000, v37
                                        ; implicit-def: $vgpr37
	s_and_saveexec_b32 s41, vcc_lo
	s_xor_b32 s41, exec_lo, s41
; %bb.1168:                             ;   in Loop: Header=BB8_979 Depth=4
	v_bfe_u32 v37, v29, 16, 1
	s_delay_alu instid0(VALU_DEP_1)
	v_add3_u32 v37, v29, v37, 0x7fff
                                        ; implicit-def: $vgpr29
; %bb.1169:                             ;   in Loop: Header=BB8_979 Depth=4
	s_and_not1_saveexec_b32 s41, s41
; %bb.1170:                             ;   in Loop: Header=BB8_979 Depth=4
	v_and_b32_e32 v37, 0xffff, v29
	v_or_b32_e32 v38, 0x10000, v29
	s_delay_alu instid0(VALU_DEP_2) | instskip(NEXT) | instid1(VALU_DEP_2)
	v_cmp_eq_u32_e32 vcc_lo, 0, v37
	v_cndmask_b32_e32 v37, v38, v29, vcc_lo
; %bb.1171:                             ;   in Loop: Header=BB8_979 Depth=4
	s_or_b32 exec_lo, exec_lo, s41
	v_and_b32_e32 v29, 0xffff0000, v39
	s_delay_alu instid0(VALU_DEP_1) | instskip(NEXT) | instid1(VALU_DEP_1)
	v_mul_f32_e32 v38, v105, v29
	v_and_b32_e32 v29, 0x7f800000, v38
	s_delay_alu instid0(VALU_DEP_1) | instskip(SKIP_1) | instid1(SALU_CYCLE_1)
	v_cmp_ne_u32_e32 vcc_lo, 0x7f800000, v29
                                        ; implicit-def: $vgpr29
	s_and_saveexec_b32 s41, vcc_lo
	s_xor_b32 s41, exec_lo, s41
; %bb.1172:                             ;   in Loop: Header=BB8_979 Depth=4
	v_bfe_u32 v29, v38, 16, 1
	s_delay_alu instid0(VALU_DEP_1)
	v_add3_u32 v29, v38, v29, 0x7fff
                                        ; implicit-def: $vgpr38
; %bb.1173:                             ;   in Loop: Header=BB8_979 Depth=4
	s_and_not1_saveexec_b32 s41, s41
; %bb.1174:                             ;   in Loop: Header=BB8_979 Depth=4
	v_and_b32_e32 v29, 0xffff, v38
	v_or_b32_e32 v39, 0x10000, v38
	s_delay_alu instid0(VALU_DEP_2) | instskip(NEXT) | instid1(VALU_DEP_2)
	v_cmp_eq_u32_e32 vcc_lo, 0, v29
	v_cndmask_b32_e32 v29, v39, v38, vcc_lo
; %bb.1175:                             ;   in Loop: Header=BB8_979 Depth=4
	s_or_b32 exec_lo, exec_lo, s41
	v_and_b32_e32 v28, 0xffff0000, v28
	s_wait_loadcnt 0x1
	v_lshlrev_b32_e32 v38, 16, v24
	s_delay_alu instid0(VALU_DEP_1) | instskip(NEXT) | instid1(VALU_DEP_1)
	v_add_f32_e32 v38, v38, v28
	v_and_b32_e32 v28, 0x7f800000, v38
	s_delay_alu instid0(VALU_DEP_1) | instskip(SKIP_1) | instid1(SALU_CYCLE_1)
	v_cmp_ne_u32_e32 vcc_lo, 0x7f800000, v28
                                        ; implicit-def: $vgpr28
	s_and_saveexec_b32 s41, vcc_lo
	s_xor_b32 s41, exec_lo, s41
; %bb.1176:                             ;   in Loop: Header=BB8_979 Depth=4
	v_bfe_u32 v28, v38, 16, 1
	s_delay_alu instid0(VALU_DEP_1)
	v_add3_u32 v28, v38, v28, 0x7fff
                                        ; implicit-def: $vgpr38
; %bb.1177:                             ;   in Loop: Header=BB8_979 Depth=4
	s_and_not1_saveexec_b32 s41, s41
; %bb.1178:                             ;   in Loop: Header=BB8_979 Depth=4
	v_and_b32_e32 v28, 0xffff, v38
	v_or_b32_e32 v39, 0x10000, v38
	s_delay_alu instid0(VALU_DEP_2) | instskip(NEXT) | instid1(VALU_DEP_2)
	v_cmp_eq_u32_e32 vcc_lo, 0, v28
	v_cndmask_b32_e32 v28, v39, v38, vcc_lo
; %bb.1179:                             ;   in Loop: Header=BB8_979 Depth=4
	s_or_b32 exec_lo, exec_lo, s41
	v_and_b32_e32 v24, 0xffff0000, v24
	v_and_b32_e32 v4, 0xffff0000, v4
	s_delay_alu instid0(VALU_DEP_1) | instskip(NEXT) | instid1(VALU_DEP_1)
	v_add_f32_e32 v24, v24, v4
	v_and_b32_e32 v4, 0x7f800000, v24
	s_delay_alu instid0(VALU_DEP_1) | instskip(SKIP_1) | instid1(SALU_CYCLE_1)
	v_cmp_ne_u32_e32 vcc_lo, 0x7f800000, v4
                                        ; implicit-def: $vgpr4
	s_and_saveexec_b32 s41, vcc_lo
	s_xor_b32 s41, exec_lo, s41
; %bb.1180:                             ;   in Loop: Header=BB8_979 Depth=4
	v_bfe_u32 v4, v24, 16, 1
	s_delay_alu instid0(VALU_DEP_1)
	v_add3_u32 v4, v24, v4, 0x7fff
                                        ; implicit-def: $vgpr24
; %bb.1181:                             ;   in Loop: Header=BB8_979 Depth=4
	s_and_not1_saveexec_b32 s41, s41
; %bb.1182:                             ;   in Loop: Header=BB8_979 Depth=4
	v_and_b32_e32 v4, 0xffff, v24
	v_or_b32_e32 v38, 0x10000, v24
	s_delay_alu instid0(VALU_DEP_2) | instskip(NEXT) | instid1(VALU_DEP_2)
	v_cmp_eq_u32_e32 vcc_lo, 0, v4
	v_cndmask_b32_e32 v4, v38, v24, vcc_lo
; %bb.1183:                             ;   in Loop: Header=BB8_979 Depth=4
	s_or_b32 exec_lo, exec_lo, s41
	v_and_b32_e32 v5, 0xffff0000, v5
	v_lshlrev_b32_e32 v24, 16, v25
	s_delay_alu instid0(VALU_DEP_1) | instskip(NEXT) | instid1(VALU_DEP_1)
	v_add_f32_e32 v24, v24, v5
	v_and_b32_e32 v5, 0x7f800000, v24
	s_delay_alu instid0(VALU_DEP_1) | instskip(SKIP_1) | instid1(SALU_CYCLE_1)
	v_cmp_ne_u32_e32 vcc_lo, 0x7f800000, v5
                                        ; implicit-def: $vgpr5
	s_and_saveexec_b32 s41, vcc_lo
	s_xor_b32 s41, exec_lo, s41
; %bb.1184:                             ;   in Loop: Header=BB8_979 Depth=4
	v_bfe_u32 v5, v24, 16, 1
	s_delay_alu instid0(VALU_DEP_1)
	v_add3_u32 v5, v24, v5, 0x7fff
                                        ; implicit-def: $vgpr24
; %bb.1185:                             ;   in Loop: Header=BB8_979 Depth=4
	s_and_not1_saveexec_b32 s41, s41
; %bb.1186:                             ;   in Loop: Header=BB8_979 Depth=4
	v_and_b32_e32 v5, 0xffff, v24
	v_or_b32_e32 v38, 0x10000, v24
	s_delay_alu instid0(VALU_DEP_2) | instskip(NEXT) | instid1(VALU_DEP_2)
	v_cmp_eq_u32_e32 vcc_lo, 0, v5
	v_cndmask_b32_e32 v5, v38, v24, vcc_lo
; %bb.1187:                             ;   in Loop: Header=BB8_979 Depth=4
	s_or_b32 exec_lo, exec_lo, s41
	v_and_b32_e32 v24, 0xffff0000, v25
	v_and_b32_e32 v25, 0xffff0000, v98
	s_delay_alu instid0(VALU_DEP_1) | instskip(NEXT) | instid1(VALU_DEP_1)
	v_add_f32_e32 v25, v24, v25
	v_and_b32_e32 v24, 0x7f800000, v25
	s_delay_alu instid0(VALU_DEP_1) | instskip(SKIP_1) | instid1(SALU_CYCLE_1)
	v_cmp_ne_u32_e32 vcc_lo, 0x7f800000, v24
                                        ; implicit-def: $vgpr24
	s_and_saveexec_b32 s41, vcc_lo
	s_xor_b32 s41, exec_lo, s41
; %bb.1188:                             ;   in Loop: Header=BB8_979 Depth=4
	v_bfe_u32 v24, v25, 16, 1
	s_delay_alu instid0(VALU_DEP_1)
	v_add3_u32 v24, v25, v24, 0x7fff
                                        ; implicit-def: $vgpr25
; %bb.1189:                             ;   in Loop: Header=BB8_979 Depth=4
	s_and_not1_saveexec_b32 s41, s41
; %bb.1190:                             ;   in Loop: Header=BB8_979 Depth=4
	v_and_b32_e32 v24, 0xffff, v25
	v_or_b32_e32 v38, 0x10000, v25
	s_delay_alu instid0(VALU_DEP_2) | instskip(NEXT) | instid1(VALU_DEP_2)
	v_cmp_eq_u32_e32 vcc_lo, 0, v24
	v_cndmask_b32_e32 v24, v38, v25, vcc_lo
; %bb.1191:                             ;   in Loop: Header=BB8_979 Depth=4
	s_or_b32 exec_lo, exec_lo, s41
	v_and_b32_e32 v25, 0xffff0000, v99
	v_lshlrev_b32_e32 v38, 16, v26
	s_delay_alu instid0(VALU_DEP_1) | instskip(NEXT) | instid1(VALU_DEP_1)
	v_add_f32_e32 v38, v38, v25
	v_and_b32_e32 v25, 0x7f800000, v38
	s_delay_alu instid0(VALU_DEP_1) | instskip(SKIP_1) | instid1(SALU_CYCLE_1)
	v_cmp_ne_u32_e32 vcc_lo, 0x7f800000, v25
                                        ; implicit-def: $vgpr25
	s_and_saveexec_b32 s41, vcc_lo
	s_xor_b32 s41, exec_lo, s41
; %bb.1192:                             ;   in Loop: Header=BB8_979 Depth=4
	v_bfe_u32 v25, v38, 16, 1
	s_delay_alu instid0(VALU_DEP_1)
	v_add3_u32 v25, v38, v25, 0x7fff
                                        ; implicit-def: $vgpr38
; %bb.1193:                             ;   in Loop: Header=BB8_979 Depth=4
	s_and_not1_saveexec_b32 s41, s41
; %bb.1194:                             ;   in Loop: Header=BB8_979 Depth=4
	v_and_b32_e32 v25, 0xffff, v38
	v_or_b32_e32 v39, 0x10000, v38
	s_delay_alu instid0(VALU_DEP_2) | instskip(NEXT) | instid1(VALU_DEP_2)
	v_cmp_eq_u32_e32 vcc_lo, 0, v25
	v_cndmask_b32_e32 v25, v39, v38, vcc_lo
; %bb.1195:                             ;   in Loop: Header=BB8_979 Depth=4
	s_or_b32 exec_lo, exec_lo, s41
	v_and_b32_e32 v26, 0xffff0000, v26
	v_and_b32_e32 v38, 0xffff0000, v54
	s_delay_alu instid0(VALU_DEP_1) | instskip(NEXT) | instid1(VALU_DEP_1)
	v_add_f32_e32 v38, v26, v38
	v_and_b32_e32 v26, 0x7f800000, v38
	s_delay_alu instid0(VALU_DEP_1) | instskip(SKIP_1) | instid1(SALU_CYCLE_1)
	v_cmp_ne_u32_e32 vcc_lo, 0x7f800000, v26
                                        ; implicit-def: $vgpr26
	s_and_saveexec_b32 s41, vcc_lo
	s_xor_b32 s41, exec_lo, s41
; %bb.1196:                             ;   in Loop: Header=BB8_979 Depth=4
	v_bfe_u32 v26, v38, 16, 1
	s_delay_alu instid0(VALU_DEP_1)
	v_add3_u32 v26, v38, v26, 0x7fff
                                        ; implicit-def: $vgpr38
; %bb.1197:                             ;   in Loop: Header=BB8_979 Depth=4
	s_and_not1_saveexec_b32 s41, s41
; %bb.1198:                             ;   in Loop: Header=BB8_979 Depth=4
	v_and_b32_e32 v26, 0xffff, v38
	v_or_b32_e32 v39, 0x10000, v38
	s_delay_alu instid0(VALU_DEP_2) | instskip(NEXT) | instid1(VALU_DEP_2)
	v_cmp_eq_u32_e32 vcc_lo, 0, v26
	v_cndmask_b32_e32 v26, v39, v38, vcc_lo
; %bb.1199:                             ;   in Loop: Header=BB8_979 Depth=4
	s_or_b32 exec_lo, exec_lo, s41
	v_and_b32_e32 v38, 0xffff0000, v55
	v_lshlrev_b32_e32 v39, 16, v27
	s_delay_alu instid0(VALU_DEP_1) | instskip(NEXT) | instid1(VALU_DEP_1)
	v_add_f32_e32 v39, v39, v38
	v_and_b32_e32 v38, 0x7f800000, v39
	s_delay_alu instid0(VALU_DEP_1) | instskip(SKIP_1) | instid1(SALU_CYCLE_1)
	v_cmp_ne_u32_e32 vcc_lo, 0x7f800000, v38
                                        ; implicit-def: $vgpr38
	s_and_saveexec_b32 s41, vcc_lo
	s_xor_b32 s41, exec_lo, s41
; %bb.1200:                             ;   in Loop: Header=BB8_979 Depth=4
	v_bfe_u32 v38, v39, 16, 1
	s_delay_alu instid0(VALU_DEP_1)
	v_add3_u32 v38, v39, v38, 0x7fff
                                        ; implicit-def: $vgpr39
; %bb.1201:                             ;   in Loop: Header=BB8_979 Depth=4
	s_and_not1_saveexec_b32 s41, s41
; %bb.1202:                             ;   in Loop: Header=BB8_979 Depth=4
	v_and_b32_e32 v38, 0xffff, v39
	v_or_b32_e32 v54, 0x10000, v39
	s_delay_alu instid0(VALU_DEP_2) | instskip(NEXT) | instid1(VALU_DEP_2)
	v_cmp_eq_u32_e32 vcc_lo, 0, v38
	v_cndmask_b32_e32 v38, v54, v39, vcc_lo
; %bb.1203:                             ;   in Loop: Header=BB8_979 Depth=4
	s_or_b32 exec_lo, exec_lo, s41
	v_and_b32_e32 v27, 0xffff0000, v27
	v_and_b32_e32 v39, 0xffff0000, v52
	s_delay_alu instid0(VALU_DEP_1) | instskip(NEXT) | instid1(VALU_DEP_1)
	v_add_f32_e32 v39, v27, v39
	v_and_b32_e32 v27, 0x7f800000, v39
	s_delay_alu instid0(VALU_DEP_1) | instskip(SKIP_1) | instid1(SALU_CYCLE_1)
	v_cmp_ne_u32_e32 vcc_lo, 0x7f800000, v27
                                        ; implicit-def: $vgpr27
	s_and_saveexec_b32 s41, vcc_lo
	s_xor_b32 s41, exec_lo, s41
; %bb.1204:                             ;   in Loop: Header=BB8_979 Depth=4
	v_bfe_u32 v27, v39, 16, 1
	s_delay_alu instid0(VALU_DEP_1)
	v_add3_u32 v27, v39, v27, 0x7fff
                                        ; implicit-def: $vgpr39
; %bb.1205:                             ;   in Loop: Header=BB8_979 Depth=4
	s_and_not1_saveexec_b32 s41, s41
; %bb.1206:                             ;   in Loop: Header=BB8_979 Depth=4
	v_and_b32_e32 v27, 0xffff, v39
	v_or_b32_e32 v52, 0x10000, v39
	s_delay_alu instid0(VALU_DEP_2) | instskip(NEXT) | instid1(VALU_DEP_2)
	v_cmp_eq_u32_e32 vcc_lo, 0, v27
	v_cndmask_b32_e32 v27, v52, v39, vcc_lo
; %bb.1207:                             ;   in Loop: Header=BB8_979 Depth=4
	s_or_b32 exec_lo, exec_lo, s41
	v_and_b32_e32 v39, 0xffff0000, v53
	s_wait_loadcnt 0x0
	v_lshlrev_b32_e32 v52, 16, v20
	s_delay_alu instid0(VALU_DEP_1) | instskip(NEXT) | instid1(VALU_DEP_1)
	v_add_f32_e32 v52, v52, v39
	v_and_b32_e32 v39, 0x7f800000, v52
	s_delay_alu instid0(VALU_DEP_1) | instskip(SKIP_1) | instid1(SALU_CYCLE_1)
	v_cmp_ne_u32_e32 vcc_lo, 0x7f800000, v39
                                        ; implicit-def: $vgpr39
	s_and_saveexec_b32 s41, vcc_lo
	s_xor_b32 s41, exec_lo, s41
; %bb.1208:                             ;   in Loop: Header=BB8_979 Depth=4
	v_bfe_u32 v39, v52, 16, 1
	s_delay_alu instid0(VALU_DEP_1)
	v_add3_u32 v39, v52, v39, 0x7fff
                                        ; implicit-def: $vgpr52
; %bb.1209:                             ;   in Loop: Header=BB8_979 Depth=4
	s_and_not1_saveexec_b32 s41, s41
; %bb.1210:                             ;   in Loop: Header=BB8_979 Depth=4
	v_and_b32_e32 v39, 0xffff, v52
	v_or_b32_e32 v53, 0x10000, v52
	s_delay_alu instid0(VALU_DEP_2) | instskip(NEXT) | instid1(VALU_DEP_2)
	v_cmp_eq_u32_e32 vcc_lo, 0, v39
	v_cndmask_b32_e32 v39, v53, v52, vcc_lo
; %bb.1211:                             ;   in Loop: Header=BB8_979 Depth=4
	s_or_b32 exec_lo, exec_lo, s41
	v_and_b32_e32 v20, 0xffff0000, v20
	v_and_b32_e32 v50, 0xffff0000, v50
	s_delay_alu instid0(VALU_DEP_1) | instskip(NEXT) | instid1(VALU_DEP_1)
	v_add_f32_e32 v50, v20, v50
	v_and_b32_e32 v20, 0x7f800000, v50
	s_delay_alu instid0(VALU_DEP_1) | instskip(SKIP_1) | instid1(SALU_CYCLE_1)
	v_cmp_ne_u32_e32 vcc_lo, 0x7f800000, v20
                                        ; implicit-def: $vgpr20
	s_and_saveexec_b32 s41, vcc_lo
	s_xor_b32 s41, exec_lo, s41
; %bb.1212:                             ;   in Loop: Header=BB8_979 Depth=4
	v_bfe_u32 v20, v50, 16, 1
	s_delay_alu instid0(VALU_DEP_1)
	v_add3_u32 v20, v50, v20, 0x7fff
                                        ; implicit-def: $vgpr50
; %bb.1213:                             ;   in Loop: Header=BB8_979 Depth=4
	s_and_not1_saveexec_b32 s41, s41
; %bb.1214:                             ;   in Loop: Header=BB8_979 Depth=4
	v_and_b32_e32 v20, 0xffff, v50
	v_or_b32_e32 v52, 0x10000, v50
	s_delay_alu instid0(VALU_DEP_2) | instskip(NEXT) | instid1(VALU_DEP_2)
	v_cmp_eq_u32_e32 vcc_lo, 0, v20
	v_cndmask_b32_e32 v20, v52, v50, vcc_lo
; %bb.1215:                             ;   in Loop: Header=BB8_979 Depth=4
	s_or_b32 exec_lo, exec_lo, s41
	v_and_b32_e32 v50, 0xffff0000, v51
	v_lshlrev_b32_e32 v51, 16, v21
	s_delay_alu instid0(VALU_DEP_1) | instskip(NEXT) | instid1(VALU_DEP_1)
	v_add_f32_e32 v51, v51, v50
	v_and_b32_e32 v50, 0x7f800000, v51
	s_delay_alu instid0(VALU_DEP_1) | instskip(SKIP_1) | instid1(SALU_CYCLE_1)
	v_cmp_ne_u32_e32 vcc_lo, 0x7f800000, v50
                                        ; implicit-def: $vgpr50
	s_and_saveexec_b32 s41, vcc_lo
	s_xor_b32 s41, exec_lo, s41
; %bb.1216:                             ;   in Loop: Header=BB8_979 Depth=4
	v_bfe_u32 v50, v51, 16, 1
	s_delay_alu instid0(VALU_DEP_1)
	v_add3_u32 v50, v51, v50, 0x7fff
                                        ; implicit-def: $vgpr51
; %bb.1217:                             ;   in Loop: Header=BB8_979 Depth=4
	s_and_not1_saveexec_b32 s41, s41
; %bb.1218:                             ;   in Loop: Header=BB8_979 Depth=4
	v_and_b32_e32 v50, 0xffff, v51
	v_or_b32_e32 v52, 0x10000, v51
	s_delay_alu instid0(VALU_DEP_2) | instskip(NEXT) | instid1(VALU_DEP_2)
	v_cmp_eq_u32_e32 vcc_lo, 0, v50
	v_cndmask_b32_e32 v50, v52, v51, vcc_lo
; %bb.1219:                             ;   in Loop: Header=BB8_979 Depth=4
	s_or_b32 exec_lo, exec_lo, s41
	v_and_b32_e32 v21, 0xffff0000, v21
	v_and_b32_e32 v48, 0xffff0000, v48
	s_delay_alu instid0(VALU_DEP_1) | instskip(NEXT) | instid1(VALU_DEP_1)
	v_add_f32_e32 v48, v21, v48
	v_and_b32_e32 v21, 0x7f800000, v48
	s_delay_alu instid0(VALU_DEP_1) | instskip(SKIP_1) | instid1(SALU_CYCLE_1)
	v_cmp_ne_u32_e32 vcc_lo, 0x7f800000, v21
                                        ; implicit-def: $vgpr21
	s_and_saveexec_b32 s41, vcc_lo
	s_xor_b32 s41, exec_lo, s41
; %bb.1220:                             ;   in Loop: Header=BB8_979 Depth=4
	v_bfe_u32 v21, v48, 16, 1
	s_delay_alu instid0(VALU_DEP_1)
	v_add3_u32 v21, v48, v21, 0x7fff
                                        ; implicit-def: $vgpr48
; %bb.1221:                             ;   in Loop: Header=BB8_979 Depth=4
	s_and_not1_saveexec_b32 s41, s41
; %bb.1222:                             ;   in Loop: Header=BB8_979 Depth=4
	v_and_b32_e32 v21, 0xffff, v48
	v_or_b32_e32 v51, 0x10000, v48
	s_delay_alu instid0(VALU_DEP_2) | instskip(NEXT) | instid1(VALU_DEP_2)
	v_cmp_eq_u32_e32 vcc_lo, 0, v21
	v_cndmask_b32_e32 v21, v51, v48, vcc_lo
; %bb.1223:                             ;   in Loop: Header=BB8_979 Depth=4
	s_or_b32 exec_lo, exec_lo, s41
	v_and_b32_e32 v48, 0xffff0000, v49
	v_lshlrev_b32_e32 v49, 16, v22
	s_delay_alu instid0(VALU_DEP_1) | instskip(NEXT) | instid1(VALU_DEP_1)
	v_add_f32_e32 v49, v49, v48
	v_and_b32_e32 v48, 0x7f800000, v49
	s_delay_alu instid0(VALU_DEP_1) | instskip(SKIP_1) | instid1(SALU_CYCLE_1)
	v_cmp_ne_u32_e32 vcc_lo, 0x7f800000, v48
                                        ; implicit-def: $vgpr48
	s_and_saveexec_b32 s41, vcc_lo
	s_xor_b32 s41, exec_lo, s41
; %bb.1224:                             ;   in Loop: Header=BB8_979 Depth=4
	v_bfe_u32 v48, v49, 16, 1
	s_delay_alu instid0(VALU_DEP_1)
	v_add3_u32 v48, v49, v48, 0x7fff
                                        ; implicit-def: $vgpr49
; %bb.1225:                             ;   in Loop: Header=BB8_979 Depth=4
	s_and_not1_saveexec_b32 s41, s41
; %bb.1226:                             ;   in Loop: Header=BB8_979 Depth=4
	v_and_b32_e32 v48, 0xffff, v49
	v_or_b32_e32 v51, 0x10000, v49
	s_delay_alu instid0(VALU_DEP_2) | instskip(NEXT) | instid1(VALU_DEP_2)
	v_cmp_eq_u32_e32 vcc_lo, 0, v48
	v_cndmask_b32_e32 v48, v51, v49, vcc_lo
; %bb.1227:                             ;   in Loop: Header=BB8_979 Depth=4
	s_or_b32 exec_lo, exec_lo, s41
	v_and_b32_e32 v22, 0xffff0000, v22
	v_and_b32_e32 v36, 0xffff0000, v36
	s_delay_alu instid0(VALU_DEP_1) | instskip(NEXT) | instid1(VALU_DEP_1)
	v_add_f32_e32 v36, v22, v36
	v_and_b32_e32 v22, 0x7f800000, v36
	s_delay_alu instid0(VALU_DEP_1) | instskip(SKIP_1) | instid1(SALU_CYCLE_1)
	v_cmp_ne_u32_e32 vcc_lo, 0x7f800000, v22
                                        ; implicit-def: $vgpr22
	s_and_saveexec_b32 s41, vcc_lo
	s_xor_b32 s41, exec_lo, s41
; %bb.1228:                             ;   in Loop: Header=BB8_979 Depth=4
	v_bfe_u32 v22, v36, 16, 1
	s_delay_alu instid0(VALU_DEP_1)
	v_add3_u32 v22, v36, v22, 0x7fff
                                        ; implicit-def: $vgpr36
; %bb.1229:                             ;   in Loop: Header=BB8_979 Depth=4
	s_and_not1_saveexec_b32 s41, s41
; %bb.1230:                             ;   in Loop: Header=BB8_979 Depth=4
	v_and_b32_e32 v22, 0xffff, v36
	v_or_b32_e32 v49, 0x10000, v36
	s_delay_alu instid0(VALU_DEP_2) | instskip(NEXT) | instid1(VALU_DEP_2)
	v_cmp_eq_u32_e32 vcc_lo, 0, v22
	v_cndmask_b32_e32 v22, v49, v36, vcc_lo
; %bb.1231:                             ;   in Loop: Header=BB8_979 Depth=4
	s_or_b32 exec_lo, exec_lo, s41
	v_and_b32_e32 v36, 0xffff0000, v37
	v_lshlrev_b32_e32 v37, 16, v23
	s_delay_alu instid0(VALU_DEP_1) | instskip(NEXT) | instid1(VALU_DEP_1)
	v_add_f32_e32 v37, v37, v36
	v_and_b32_e32 v36, 0x7f800000, v37
	s_delay_alu instid0(VALU_DEP_1) | instskip(SKIP_1) | instid1(SALU_CYCLE_1)
	v_cmp_ne_u32_e32 vcc_lo, 0x7f800000, v36
                                        ; implicit-def: $vgpr36
	s_and_saveexec_b32 s41, vcc_lo
	s_xor_b32 s41, exec_lo, s41
; %bb.1232:                             ;   in Loop: Header=BB8_979 Depth=4
	v_bfe_u32 v36, v37, 16, 1
	s_delay_alu instid0(VALU_DEP_1)
	v_add3_u32 v36, v37, v36, 0x7fff
                                        ; implicit-def: $vgpr37
; %bb.1233:                             ;   in Loop: Header=BB8_979 Depth=4
	s_and_not1_saveexec_b32 s41, s41
; %bb.1234:                             ;   in Loop: Header=BB8_979 Depth=4
	v_and_b32_e32 v36, 0xffff, v37
	v_or_b32_e32 v49, 0x10000, v37
	s_delay_alu instid0(VALU_DEP_2) | instskip(NEXT) | instid1(VALU_DEP_2)
	v_cmp_eq_u32_e32 vcc_lo, 0, v36
	v_cndmask_b32_e32 v36, v49, v37, vcc_lo
; %bb.1235:                             ;   in Loop: Header=BB8_979 Depth=4
	s_or_b32 exec_lo, exec_lo, s41
	v_and_b32_e32 v23, 0xffff0000, v23
	v_and_b32_e32 v29, 0xffff0000, v29
	s_delay_alu instid0(VALU_DEP_1) | instskip(NEXT) | instid1(VALU_DEP_1)
	v_add_f32_e32 v29, v23, v29
	v_and_b32_e32 v23, 0x7f800000, v29
	s_delay_alu instid0(VALU_DEP_1) | instskip(SKIP_1) | instid1(SALU_CYCLE_1)
	v_cmp_ne_u32_e32 vcc_lo, 0x7f800000, v23
                                        ; implicit-def: $vgpr23
	s_and_saveexec_b32 s41, vcc_lo
	s_xor_b32 s41, exec_lo, s41
; %bb.1236:                             ;   in Loop: Header=BB8_979 Depth=4
	v_bfe_u32 v23, v29, 16, 1
	s_delay_alu instid0(VALU_DEP_1)
	v_add3_u32 v23, v29, v23, 0x7fff
                                        ; implicit-def: $vgpr29
; %bb.1237:                             ;   in Loop: Header=BB8_979 Depth=4
	s_and_not1_saveexec_b32 s41, s41
	s_cbranch_execz .LBB8_978
; %bb.1238:                             ;   in Loop: Header=BB8_979 Depth=4
	v_and_b32_e32 v23, 0xffff, v29
	v_or_b32_e32 v37, 0x10000, v29
	s_delay_alu instid0(VALU_DEP_2) | instskip(NEXT) | instid1(VALU_DEP_2)
	v_cmp_eq_u32_e32 vcc_lo, 0, v23
	v_cndmask_b32_e32 v23, v37, v29, vcc_lo
	s_branch .LBB8_978
.LBB8_1239:                             ;   in Loop: Header=BB8_895 Depth=3
	v_dual_mov_b32 v4, v0 :: v_dual_mov_b32 v19, v109
	s_and_saveexec_b32 s15, s77
	s_cbranch_execnz .LBB8_1583
	s_branch .LBB8_1822
.LBB8_1240:                             ;   in Loop: Header=BB8_895 Depth=3
	s_or_b32 exec_lo, exec_lo, s14
	s_delay_alu instid0(SALU_CYCLE_1)
	s_and_b32 s14, s15, exec_lo
.LBB8_1241:                             ;   in Loop: Header=BB8_895 Depth=3
	s_or_b32 exec_lo, exec_lo, s13
	s_and_saveexec_b32 s13, s14
	s_cbranch_execz .LBB8_1371
; %bb.1242:                             ;   in Loop: Header=BB8_895 Depth=3
	s_trap 2
	ds_load_b32 v4, v0
	s_mov_b32 s14, exec_lo
                                        ; implicit-def: $vgpr36
	s_wait_dscnt 0x0
	v_lshlrev_b32_e32 v21, 16, v4
	s_delay_alu instid0(VALU_DEP_1) | instskip(NEXT) | instid1(VALU_DEP_1)
	v_dual_lshlrev_b32 v20, 16, v32 :: v_dual_mov_b32 v4, v21
	v_pk_mul_f32 v[22:23], v[4:5], v[20:21]
	s_delay_alu instid0(VALU_DEP_1) | instskip(NEXT) | instid1(VALU_DEP_1)
	v_and_b32_e32 v4, 0x7f800000, v22
	v_cmpx_ne_u32_e32 0x7f800000, v4
	s_xor_b32 s14, exec_lo, s14
; %bb.1243:                             ;   in Loop: Header=BB8_895 Depth=3
	v_bfe_u32 v4, v22, 16, 1
	s_delay_alu instid0(VALU_DEP_1)
	v_add3_u32 v36, v22, v4, 0x7fff
                                        ; implicit-def: $vgpr22_vgpr23
; %bb.1244:                             ;   in Loop: Header=BB8_895 Depth=3
	s_and_not1_saveexec_b32 s14, s14
; %bb.1245:                             ;   in Loop: Header=BB8_895 Depth=3
	v_and_b32_e32 v4, 0xffff, v22
	v_or_b32_e32 v5, 0x10000, v22
	s_delay_alu instid0(VALU_DEP_2) | instskip(NEXT) | instid1(VALU_DEP_2)
	v_cmp_eq_u32_e32 vcc_lo, 0, v4
	v_cndmask_b32_e32 v36, v5, v22, vcc_lo
; %bb.1246:                             ;   in Loop: Header=BB8_895 Depth=3
	s_or_b32 exec_lo, exec_lo, s14
	v_and_b32_e32 v4, 0xffff0000, v32
	s_delay_alu instid0(VALU_DEP_1) | instskip(NEXT) | instid1(VALU_DEP_1)
	v_mul_f32_e32 v5, v21, v4
	v_and_b32_e32 v4, 0x7f800000, v5
	s_delay_alu instid0(VALU_DEP_1) | instskip(SKIP_1) | instid1(SALU_CYCLE_1)
	v_cmp_ne_u32_e32 vcc_lo, 0x7f800000, v4
                                        ; implicit-def: $vgpr4
	s_and_saveexec_b32 s14, vcc_lo
	s_xor_b32 s14, exec_lo, s14
; %bb.1247:                             ;   in Loop: Header=BB8_895 Depth=3
	v_bfe_u32 v4, v5, 16, 1
	s_delay_alu instid0(VALU_DEP_1)
	v_add3_u32 v4, v5, v4, 0x7fff
                                        ; implicit-def: $vgpr5
; %bb.1248:                             ;   in Loop: Header=BB8_895 Depth=3
	s_and_not1_saveexec_b32 s14, s14
; %bb.1249:                             ;   in Loop: Header=BB8_895 Depth=3
	v_and_b32_e32 v4, 0xffff, v5
	v_or_b32_e32 v20, 0x10000, v5
	s_delay_alu instid0(VALU_DEP_2) | instskip(NEXT) | instid1(VALU_DEP_2)
	v_cmp_eq_u32_e32 vcc_lo, 0, v4
	v_cndmask_b32_e32 v4, v20, v5, vcc_lo
; %bb.1250:                             ;   in Loop: Header=BB8_895 Depth=3
	s_or_b32 exec_lo, exec_lo, s14
	v_lshlrev_b32_e32 v5, 16, v33
	s_delay_alu instid0(VALU_DEP_1) | instskip(NEXT) | instid1(VALU_DEP_1)
	v_mul_f32_e32 v20, v21, v5
	v_and_b32_e32 v5, 0x7f800000, v20
	s_delay_alu instid0(VALU_DEP_1) | instskip(SKIP_1) | instid1(SALU_CYCLE_1)
	v_cmp_ne_u32_e32 vcc_lo, 0x7f800000, v5
                                        ; implicit-def: $vgpr5
	s_and_saveexec_b32 s14, vcc_lo
	s_xor_b32 s14, exec_lo, s14
; %bb.1251:                             ;   in Loop: Header=BB8_895 Depth=3
	v_bfe_u32 v5, v20, 16, 1
	s_delay_alu instid0(VALU_DEP_1)
	v_add3_u32 v5, v20, v5, 0x7fff
                                        ; implicit-def: $vgpr20
; %bb.1252:                             ;   in Loop: Header=BB8_895 Depth=3
	s_and_not1_saveexec_b32 s14, s14
; %bb.1253:                             ;   in Loop: Header=BB8_895 Depth=3
	v_and_b32_e32 v5, 0xffff, v20
	v_or_b32_e32 v22, 0x10000, v20
	s_delay_alu instid0(VALU_DEP_2) | instskip(NEXT) | instid1(VALU_DEP_2)
	v_cmp_eq_u32_e32 vcc_lo, 0, v5
	v_cndmask_b32_e32 v5, v22, v20, vcc_lo
; %bb.1254:                             ;   in Loop: Header=BB8_895 Depth=3
	s_or_b32 exec_lo, exec_lo, s14
	v_and_b32_e32 v20, 0xffff0000, v33
	s_mov_b32 s14, exec_lo
                                        ; implicit-def: $vgpr32
	s_delay_alu instid0(VALU_DEP_1) | instskip(NEXT) | instid1(VALU_DEP_1)
	v_mul_f32_e32 v20, v21, v20
	v_and_b32_e32 v22, 0x7f800000, v20
	s_delay_alu instid0(VALU_DEP_1)
	v_cmpx_ne_u32_e32 0x7f800000, v22
	s_xor_b32 s14, exec_lo, s14
; %bb.1255:                             ;   in Loop: Header=BB8_895 Depth=3
	v_bfe_u32 v22, v20, 16, 1
	s_delay_alu instid0(VALU_DEP_1)
	v_add3_u32 v32, v20, v22, 0x7fff
                                        ; implicit-def: $vgpr20
; %bb.1256:                             ;   in Loop: Header=BB8_895 Depth=3
	s_and_not1_saveexec_b32 s14, s14
; %bb.1257:                             ;   in Loop: Header=BB8_895 Depth=3
	v_and_b32_e32 v22, 0xffff, v20
	v_or_b32_e32 v23, 0x10000, v20
	s_delay_alu instid0(VALU_DEP_2) | instskip(NEXT) | instid1(VALU_DEP_2)
	v_cmp_eq_u32_e32 vcc_lo, 0, v22
	v_cndmask_b32_e32 v32, v23, v20, vcc_lo
; %bb.1258:                             ;   in Loop: Header=BB8_895 Depth=3
	s_or_b32 exec_lo, exec_lo, s14
	v_lshlrev_b32_e32 v20, 16, v34
	s_mov_b32 s14, exec_lo
                                        ; implicit-def: $vgpr33
	s_delay_alu instid0(VALU_DEP_1) | instskip(NEXT) | instid1(VALU_DEP_1)
	v_mul_f32_e32 v20, v21, v20
	v_and_b32_e32 v22, 0x7f800000, v20
	s_delay_alu instid0(VALU_DEP_1)
	v_cmpx_ne_u32_e32 0x7f800000, v22
	s_xor_b32 s14, exec_lo, s14
; %bb.1259:                             ;   in Loop: Header=BB8_895 Depth=3
	v_bfe_u32 v22, v20, 16, 1
	s_delay_alu instid0(VALU_DEP_1)
	v_add3_u32 v33, v20, v22, 0x7fff
                                        ; implicit-def: $vgpr20
; %bb.1260:                             ;   in Loop: Header=BB8_895 Depth=3
	s_and_not1_saveexec_b32 s14, s14
; %bb.1261:                             ;   in Loop: Header=BB8_895 Depth=3
	v_and_b32_e32 v22, 0xffff, v20
	v_or_b32_e32 v23, 0x10000, v20
	s_delay_alu instid0(VALU_DEP_2) | instskip(NEXT) | instid1(VALU_DEP_2)
	v_cmp_eq_u32_e32 vcc_lo, 0, v22
	v_cndmask_b32_e32 v33, v23, v20, vcc_lo
; %bb.1262:                             ;   in Loop: Header=BB8_895 Depth=3
	s_or_b32 exec_lo, exec_lo, s14
	v_and_b32_e32 v20, 0xffff0000, v34
	s_mov_b32 s14, exec_lo
                                        ; implicit-def: $vgpr28
	s_delay_alu instid0(VALU_DEP_1) | instskip(NEXT) | instid1(VALU_DEP_1)
	v_mul_f32_e32 v20, v21, v20
	v_and_b32_e32 v22, 0x7f800000, v20
	s_delay_alu instid0(VALU_DEP_1)
	v_cmpx_ne_u32_e32 0x7f800000, v22
	s_xor_b32 s14, exec_lo, s14
; %bb.1263:                             ;   in Loop: Header=BB8_895 Depth=3
	v_bfe_u32 v22, v20, 16, 1
	s_delay_alu instid0(VALU_DEP_1)
	v_add3_u32 v28, v20, v22, 0x7fff
                                        ; implicit-def: $vgpr20
; %bb.1264:                             ;   in Loop: Header=BB8_895 Depth=3
	s_and_not1_saveexec_b32 s14, s14
; %bb.1265:                             ;   in Loop: Header=BB8_895 Depth=3
	v_and_b32_e32 v22, 0xffff, v20
	v_or_b32_e32 v23, 0x10000, v20
	s_delay_alu instid0(VALU_DEP_2) | instskip(NEXT) | instid1(VALU_DEP_2)
	v_cmp_eq_u32_e32 vcc_lo, 0, v22
	v_cndmask_b32_e32 v28, v23, v20, vcc_lo
; %bb.1266:                             ;   in Loop: Header=BB8_895 Depth=3
	s_or_b32 exec_lo, exec_lo, s14
	v_lshlrev_b32_e32 v20, 16, v35
	s_mov_b32 s14, exec_lo
                                        ; implicit-def: $vgpr29
	s_delay_alu instid0(VALU_DEP_1) | instskip(NEXT) | instid1(VALU_DEP_1)
	v_mul_f32_e32 v20, v21, v20
	v_and_b32_e32 v22, 0x7f800000, v20
	s_delay_alu instid0(VALU_DEP_1)
	v_cmpx_ne_u32_e32 0x7f800000, v22
	s_xor_b32 s14, exec_lo, s14
; %bb.1267:                             ;   in Loop: Header=BB8_895 Depth=3
	v_bfe_u32 v22, v20, 16, 1
	s_delay_alu instid0(VALU_DEP_1)
	v_add3_u32 v29, v20, v22, 0x7fff
                                        ; implicit-def: $vgpr20
; %bb.1268:                             ;   in Loop: Header=BB8_895 Depth=3
	s_and_not1_saveexec_b32 s14, s14
; %bb.1269:                             ;   in Loop: Header=BB8_895 Depth=3
	v_and_b32_e32 v22, 0xffff, v20
	v_or_b32_e32 v23, 0x10000, v20
	s_delay_alu instid0(VALU_DEP_2) | instskip(NEXT) | instid1(VALU_DEP_2)
	v_cmp_eq_u32_e32 vcc_lo, 0, v22
	v_cndmask_b32_e32 v29, v23, v20, vcc_lo
; %bb.1270:                             ;   in Loop: Header=BB8_895 Depth=3
	s_or_b32 exec_lo, exec_lo, s14
	v_and_b32_e32 v20, 0xffff0000, v35
	s_mov_b32 s14, exec_lo
                                        ; implicit-def: $vgpr26
	s_delay_alu instid0(VALU_DEP_1) | instskip(NEXT) | instid1(VALU_DEP_1)
	v_mul_f32_e32 v20, v21, v20
	v_and_b32_e32 v22, 0x7f800000, v20
	s_delay_alu instid0(VALU_DEP_1)
	v_cmpx_ne_u32_e32 0x7f800000, v22
	s_xor_b32 s14, exec_lo, s14
; %bb.1271:                             ;   in Loop: Header=BB8_895 Depth=3
	v_bfe_u32 v22, v20, 16, 1
	s_delay_alu instid0(VALU_DEP_1)
	v_add3_u32 v26, v20, v22, 0x7fff
                                        ; implicit-def: $vgpr20
; %bb.1272:                             ;   in Loop: Header=BB8_895 Depth=3
	s_and_not1_saveexec_b32 s14, s14
; %bb.1273:                             ;   in Loop: Header=BB8_895 Depth=3
	v_and_b32_e32 v22, 0xffff, v20
	v_or_b32_e32 v23, 0x10000, v20
	s_delay_alu instid0(VALU_DEP_2) | instskip(NEXT) | instid1(VALU_DEP_2)
	v_cmp_eq_u32_e32 vcc_lo, 0, v22
	v_cndmask_b32_e32 v26, v23, v20, vcc_lo
; %bb.1274:                             ;   in Loop: Header=BB8_895 Depth=3
	s_or_b32 exec_lo, exec_lo, s14
	v_lshlrev_b32_e32 v20, 16, v16
	s_mov_b32 s14, exec_lo
                                        ; implicit-def: $vgpr27
	s_delay_alu instid0(VALU_DEP_1) | instskip(NEXT) | instid1(VALU_DEP_1)
	v_mul_f32_e32 v20, v21, v20
	v_and_b32_e32 v22, 0x7f800000, v20
	s_delay_alu instid0(VALU_DEP_1)
	v_cmpx_ne_u32_e32 0x7f800000, v22
	s_xor_b32 s14, exec_lo, s14
; %bb.1275:                             ;   in Loop: Header=BB8_895 Depth=3
	v_bfe_u32 v22, v20, 16, 1
	s_delay_alu instid0(VALU_DEP_1)
	v_add3_u32 v27, v20, v22, 0x7fff
                                        ; implicit-def: $vgpr20
; %bb.1276:                             ;   in Loop: Header=BB8_895 Depth=3
	s_and_not1_saveexec_b32 s14, s14
; %bb.1277:                             ;   in Loop: Header=BB8_895 Depth=3
	v_and_b32_e32 v22, 0xffff, v20
	v_or_b32_e32 v23, 0x10000, v20
	s_delay_alu instid0(VALU_DEP_2) | instskip(NEXT) | instid1(VALU_DEP_2)
	v_cmp_eq_u32_e32 vcc_lo, 0, v22
	v_cndmask_b32_e32 v27, v23, v20, vcc_lo
; %bb.1278:                             ;   in Loop: Header=BB8_895 Depth=3
	s_or_b32 exec_lo, exec_lo, s14
	v_and_b32_e32 v16, 0xffff0000, v16
	s_mov_b32 s14, exec_lo
                                        ; implicit-def: $vgpr24
	s_delay_alu instid0(VALU_DEP_1) | instskip(NEXT) | instid1(VALU_DEP_1)
	v_mul_f32_e32 v16, v21, v16
	v_and_b32_e32 v20, 0x7f800000, v16
	s_delay_alu instid0(VALU_DEP_1)
	v_cmpx_ne_u32_e32 0x7f800000, v20
	s_xor_b32 s14, exec_lo, s14
; %bb.1279:                             ;   in Loop: Header=BB8_895 Depth=3
	v_bfe_u32 v20, v16, 16, 1
	s_delay_alu instid0(VALU_DEP_1)
	v_add3_u32 v24, v16, v20, 0x7fff
                                        ; implicit-def: $vgpr16
; %bb.1280:                             ;   in Loop: Header=BB8_895 Depth=3
	s_and_not1_saveexec_b32 s14, s14
; %bb.1281:                             ;   in Loop: Header=BB8_895 Depth=3
	v_and_b32_e32 v20, 0xffff, v16
	v_or_b32_e32 v22, 0x10000, v16
	s_delay_alu instid0(VALU_DEP_2) | instskip(NEXT) | instid1(VALU_DEP_2)
	v_cmp_eq_u32_e32 vcc_lo, 0, v20
	v_cndmask_b32_e32 v24, v22, v16, vcc_lo
; %bb.1282:                             ;   in Loop: Header=BB8_895 Depth=3
	s_or_b32 exec_lo, exec_lo, s14
	v_lshlrev_b32_e32 v16, 16, v17
	s_mov_b32 s14, exec_lo
                                        ; implicit-def: $vgpr25
	s_delay_alu instid0(VALU_DEP_1) | instskip(NEXT) | instid1(VALU_DEP_1)
	v_mul_f32_e32 v16, v21, v16
	v_and_b32_e32 v20, 0x7f800000, v16
	s_delay_alu instid0(VALU_DEP_1)
	v_cmpx_ne_u32_e32 0x7f800000, v20
	s_xor_b32 s14, exec_lo, s14
; %bb.1283:                             ;   in Loop: Header=BB8_895 Depth=3
	v_bfe_u32 v20, v16, 16, 1
	s_delay_alu instid0(VALU_DEP_1)
	v_add3_u32 v25, v16, v20, 0x7fff
                                        ; implicit-def: $vgpr16
; %bb.1284:                             ;   in Loop: Header=BB8_895 Depth=3
	s_and_not1_saveexec_b32 s14, s14
; %bb.1285:                             ;   in Loop: Header=BB8_895 Depth=3
	v_and_b32_e32 v20, 0xffff, v16
	v_or_b32_e32 v22, 0x10000, v16
	s_delay_alu instid0(VALU_DEP_2) | instskip(NEXT) | instid1(VALU_DEP_2)
	v_cmp_eq_u32_e32 vcc_lo, 0, v20
	v_cndmask_b32_e32 v25, v22, v16, vcc_lo
; %bb.1286:                             ;   in Loop: Header=BB8_895 Depth=3
	s_or_b32 exec_lo, exec_lo, s14
	v_and_b32_e32 v16, 0xffff0000, v17
	s_mov_b32 s14, exec_lo
                                        ; implicit-def: $vgpr22
	s_delay_alu instid0(VALU_DEP_1) | instskip(NEXT) | instid1(VALU_DEP_1)
	v_mul_f32_e32 v16, v21, v16
	v_and_b32_e32 v17, 0x7f800000, v16
	s_delay_alu instid0(VALU_DEP_1)
	v_cmpx_ne_u32_e32 0x7f800000, v17
	s_xor_b32 s14, exec_lo, s14
; %bb.1287:                             ;   in Loop: Header=BB8_895 Depth=3
	v_bfe_u32 v17, v16, 16, 1
	s_delay_alu instid0(VALU_DEP_1)
	v_add3_u32 v22, v16, v17, 0x7fff
                                        ; implicit-def: $vgpr16
; %bb.1288:                             ;   in Loop: Header=BB8_895 Depth=3
	s_and_not1_saveexec_b32 s14, s14
; %bb.1289:                             ;   in Loop: Header=BB8_895 Depth=3
	v_and_b32_e32 v17, 0xffff, v16
	v_or_b32_e32 v20, 0x10000, v16
	s_delay_alu instid0(VALU_DEP_2) | instskip(NEXT) | instid1(VALU_DEP_2)
	v_cmp_eq_u32_e32 vcc_lo, 0, v17
	v_cndmask_b32_e32 v22, v20, v16, vcc_lo
; %bb.1290:                             ;   in Loop: Header=BB8_895 Depth=3
	s_or_b32 exec_lo, exec_lo, s14
	v_lshlrev_b32_e32 v16, 16, v18
	s_mov_b32 s14, exec_lo
                                        ; implicit-def: $vgpr23
	s_delay_alu instid0(VALU_DEP_1) | instskip(NEXT) | instid1(VALU_DEP_1)
	v_mul_f32_e32 v16, v21, v16
	v_and_b32_e32 v17, 0x7f800000, v16
	s_delay_alu instid0(VALU_DEP_1)
	v_cmpx_ne_u32_e32 0x7f800000, v17
	s_xor_b32 s14, exec_lo, s14
; %bb.1291:                             ;   in Loop: Header=BB8_895 Depth=3
	v_bfe_u32 v17, v16, 16, 1
	s_delay_alu instid0(VALU_DEP_1)
	v_add3_u32 v23, v16, v17, 0x7fff
                                        ; implicit-def: $vgpr16
; %bb.1292:                             ;   in Loop: Header=BB8_895 Depth=3
	s_and_not1_saveexec_b32 s14, s14
; %bb.1293:                             ;   in Loop: Header=BB8_895 Depth=3
	v_and_b32_e32 v17, 0xffff, v16
	v_or_b32_e32 v20, 0x10000, v16
	s_delay_alu instid0(VALU_DEP_2) | instskip(NEXT) | instid1(VALU_DEP_2)
	v_cmp_eq_u32_e32 vcc_lo, 0, v17
	v_cndmask_b32_e32 v23, v20, v16, vcc_lo
; %bb.1294:                             ;   in Loop: Header=BB8_895 Depth=3
	s_or_b32 exec_lo, exec_lo, s14
	v_and_b32_e32 v16, 0xffff0000, v18
	s_mov_b32 s14, exec_lo
                                        ; implicit-def: $vgpr18
	s_delay_alu instid0(VALU_DEP_1) | instskip(NEXT) | instid1(VALU_DEP_1)
	v_mul_f32_e32 v16, v21, v16
	v_and_b32_e32 v17, 0x7f800000, v16
	s_delay_alu instid0(VALU_DEP_1)
	v_cmpx_ne_u32_e32 0x7f800000, v17
	s_xor_b32 s14, exec_lo, s14
; %bb.1295:                             ;   in Loop: Header=BB8_895 Depth=3
	v_bfe_u32 v17, v16, 16, 1
	s_delay_alu instid0(VALU_DEP_1)
	v_add3_u32 v18, v16, v17, 0x7fff
                                        ; implicit-def: $vgpr16
; %bb.1296:                             ;   in Loop: Header=BB8_895 Depth=3
	s_and_not1_saveexec_b32 s14, s14
; %bb.1297:                             ;   in Loop: Header=BB8_895 Depth=3
	v_and_b32_e32 v17, 0xffff, v16
	v_or_b32_e32 v18, 0x10000, v16
	s_delay_alu instid0(VALU_DEP_2) | instskip(NEXT) | instid1(VALU_DEP_2)
	v_cmp_eq_u32_e32 vcc_lo, 0, v17
	v_cndmask_b32_e32 v18, v18, v16, vcc_lo
; %bb.1298:                             ;   in Loop: Header=BB8_895 Depth=3
	s_or_b32 exec_lo, exec_lo, s14
	v_lshlrev_b32_e32 v16, 16, v19
	s_mov_b32 s14, exec_lo
                                        ; implicit-def: $vgpr20
	s_delay_alu instid0(VALU_DEP_1) | instskip(NEXT) | instid1(VALU_DEP_1)
	v_mul_f32_e32 v16, v21, v16
	v_and_b32_e32 v17, 0x7f800000, v16
	s_delay_alu instid0(VALU_DEP_1)
	v_cmpx_ne_u32_e32 0x7f800000, v17
	s_xor_b32 s14, exec_lo, s14
; %bb.1299:                             ;   in Loop: Header=BB8_895 Depth=3
	v_bfe_u32 v17, v16, 16, 1
	s_delay_alu instid0(VALU_DEP_1)
	v_add3_u32 v20, v16, v17, 0x7fff
                                        ; implicit-def: $vgpr16
; %bb.1300:                             ;   in Loop: Header=BB8_895 Depth=3
	s_and_not1_saveexec_b32 s14, s14
; %bb.1301:                             ;   in Loop: Header=BB8_895 Depth=3
	v_and_b32_e32 v17, 0xffff, v16
	v_or_b32_e32 v20, 0x10000, v16
	s_delay_alu instid0(VALU_DEP_2) | instskip(NEXT) | instid1(VALU_DEP_2)
	v_cmp_eq_u32_e32 vcc_lo, 0, v17
	v_cndmask_b32_e32 v20, v20, v16, vcc_lo
; %bb.1302:                             ;   in Loop: Header=BB8_895 Depth=3
	s_or_b32 exec_lo, exec_lo, s14
	v_and_b32_e32 v16, 0xffff0000, v19
	s_delay_alu instid0(VALU_DEP_1) | instskip(NEXT) | instid1(VALU_DEP_1)
	v_mul_f32_e32 v16, v21, v16
	v_and_b32_e32 v17, 0x7f800000, v16
	s_delay_alu instid0(VALU_DEP_1) | instskip(SKIP_1) | instid1(SALU_CYCLE_1)
	v_cmp_ne_u32_e32 vcc_lo, 0x7f800000, v17
                                        ; implicit-def: $vgpr17
	s_and_saveexec_b32 s14, vcc_lo
	s_xor_b32 s14, exec_lo, s14
; %bb.1303:                             ;   in Loop: Header=BB8_895 Depth=3
	v_bfe_u32 v17, v16, 16, 1
	s_delay_alu instid0(VALU_DEP_1)
	v_add3_u32 v17, v16, v17, 0x7fff
                                        ; implicit-def: $vgpr16
; %bb.1304:                             ;   in Loop: Header=BB8_895 Depth=3
	s_and_not1_saveexec_b32 s14, s14
; %bb.1305:                             ;   in Loop: Header=BB8_895 Depth=3
	v_and_b32_e32 v17, 0xffff, v16
	v_or_b32_e32 v19, 0x10000, v16
	s_delay_alu instid0(VALU_DEP_2) | instskip(NEXT) | instid1(VALU_DEP_2)
	v_cmp_eq_u32_e32 vcc_lo, 0, v17
	v_cndmask_b32_e32 v17, v19, v16, vcc_lo
; %bb.1306:                             ;   in Loop: Header=BB8_895 Depth=3
	s_or_b32 exec_lo, exec_lo, s14
	v_and_b32_e32 v16, 0xffff0000, v36
	v_lshlrev_b32_e32 v19, 16, v12
	s_delay_alu instid0(VALU_DEP_1) | instskip(NEXT) | instid1(VALU_DEP_1)
	v_add_f32_e32 v19, v19, v16
	v_and_b32_e32 v16, 0x7f800000, v19
	s_delay_alu instid0(VALU_DEP_1) | instskip(SKIP_1) | instid1(SALU_CYCLE_1)
	v_cmp_ne_u32_e32 vcc_lo, 0x7f800000, v16
                                        ; implicit-def: $vgpr16
	s_and_saveexec_b32 s14, vcc_lo
	s_xor_b32 s14, exec_lo, s14
; %bb.1307:                             ;   in Loop: Header=BB8_895 Depth=3
	v_bfe_u32 v16, v19, 16, 1
	s_delay_alu instid0(VALU_DEP_1)
	v_add3_u32 v16, v19, v16, 0x7fff
                                        ; implicit-def: $vgpr19
; %bb.1308:                             ;   in Loop: Header=BB8_895 Depth=3
	s_and_not1_saveexec_b32 s14, s14
; %bb.1309:                             ;   in Loop: Header=BB8_895 Depth=3
	v_and_b32_e32 v16, 0xffff, v19
	v_or_b32_e32 v21, 0x10000, v19
	s_delay_alu instid0(VALU_DEP_2) | instskip(NEXT) | instid1(VALU_DEP_2)
	v_cmp_eq_u32_e32 vcc_lo, 0, v16
	v_cndmask_b32_e32 v16, v21, v19, vcc_lo
; %bb.1310:                             ;   in Loop: Header=BB8_895 Depth=3
	s_or_b32 exec_lo, exec_lo, s14
	v_and_b32_e32 v12, 0xffff0000, v12
	v_and_b32_e32 v4, 0xffff0000, v4
	s_delay_alu instid0(VALU_DEP_1) | instskip(NEXT) | instid1(VALU_DEP_1)
	v_add_f32_e32 v12, v12, v4
	v_and_b32_e32 v4, 0x7f800000, v12
	s_delay_alu instid0(VALU_DEP_1) | instskip(SKIP_1) | instid1(SALU_CYCLE_1)
	v_cmp_ne_u32_e32 vcc_lo, 0x7f800000, v4
                                        ; implicit-def: $vgpr4
	s_and_saveexec_b32 s14, vcc_lo
	s_xor_b32 s14, exec_lo, s14
; %bb.1311:                             ;   in Loop: Header=BB8_895 Depth=3
	v_bfe_u32 v4, v12, 16, 1
	s_delay_alu instid0(VALU_DEP_1)
	v_add3_u32 v4, v12, v4, 0x7fff
                                        ; implicit-def: $vgpr12
; %bb.1312:                             ;   in Loop: Header=BB8_895 Depth=3
	s_and_not1_saveexec_b32 s14, s14
; %bb.1313:                             ;   in Loop: Header=BB8_895 Depth=3
	v_and_b32_e32 v4, 0xffff, v12
	v_or_b32_e32 v19, 0x10000, v12
	s_delay_alu instid0(VALU_DEP_2) | instskip(NEXT) | instid1(VALU_DEP_2)
	v_cmp_eq_u32_e32 vcc_lo, 0, v4
	v_cndmask_b32_e32 v4, v19, v12, vcc_lo
; %bb.1314:                             ;   in Loop: Header=BB8_895 Depth=3
	s_or_b32 exec_lo, exec_lo, s14
	v_and_b32_e32 v5, 0xffff0000, v5
	v_lshlrev_b32_e32 v12, 16, v13
	s_delay_alu instid0(VALU_DEP_1) | instskip(NEXT) | instid1(VALU_DEP_1)
	v_add_f32_e32 v12, v12, v5
	v_and_b32_e32 v5, 0x7f800000, v12
	s_delay_alu instid0(VALU_DEP_1) | instskip(SKIP_1) | instid1(SALU_CYCLE_1)
	v_cmp_ne_u32_e32 vcc_lo, 0x7f800000, v5
                                        ; implicit-def: $vgpr5
	s_and_saveexec_b32 s14, vcc_lo
	s_xor_b32 s14, exec_lo, s14
; %bb.1315:                             ;   in Loop: Header=BB8_895 Depth=3
	v_bfe_u32 v5, v12, 16, 1
	s_delay_alu instid0(VALU_DEP_1)
	v_add3_u32 v5, v12, v5, 0x7fff
                                        ; implicit-def: $vgpr12
; %bb.1316:                             ;   in Loop: Header=BB8_895 Depth=3
	s_and_not1_saveexec_b32 s14, s14
; %bb.1317:                             ;   in Loop: Header=BB8_895 Depth=3
	v_and_b32_e32 v5, 0xffff, v12
	v_or_b32_e32 v19, 0x10000, v12
	s_delay_alu instid0(VALU_DEP_2) | instskip(NEXT) | instid1(VALU_DEP_2)
	v_cmp_eq_u32_e32 vcc_lo, 0, v5
	v_cndmask_b32_e32 v5, v19, v12, vcc_lo
; %bb.1318:                             ;   in Loop: Header=BB8_895 Depth=3
	s_or_b32 exec_lo, exec_lo, s14
	v_and_b32_e32 v12, 0xffff0000, v13
	v_and_b32_e32 v13, 0xffff0000, v32
	s_delay_alu instid0(VALU_DEP_1) | instskip(NEXT) | instid1(VALU_DEP_1)
	v_add_f32_e32 v13, v12, v13
	v_and_b32_e32 v12, 0x7f800000, v13
	s_delay_alu instid0(VALU_DEP_1) | instskip(SKIP_1) | instid1(SALU_CYCLE_1)
	v_cmp_ne_u32_e32 vcc_lo, 0x7f800000, v12
                                        ; implicit-def: $vgpr12
	s_and_saveexec_b32 s14, vcc_lo
	s_xor_b32 s14, exec_lo, s14
; %bb.1319:                             ;   in Loop: Header=BB8_895 Depth=3
	v_bfe_u32 v12, v13, 16, 1
	s_delay_alu instid0(VALU_DEP_1)
	v_add3_u32 v12, v13, v12, 0x7fff
                                        ; implicit-def: $vgpr13
; %bb.1320:                             ;   in Loop: Header=BB8_895 Depth=3
	s_and_not1_saveexec_b32 s14, s14
; %bb.1321:                             ;   in Loop: Header=BB8_895 Depth=3
	v_and_b32_e32 v12, 0xffff, v13
	v_or_b32_e32 v19, 0x10000, v13
	s_delay_alu instid0(VALU_DEP_2) | instskip(NEXT) | instid1(VALU_DEP_2)
	v_cmp_eq_u32_e32 vcc_lo, 0, v12
	v_cndmask_b32_e32 v12, v19, v13, vcc_lo
; %bb.1322:                             ;   in Loop: Header=BB8_895 Depth=3
	s_or_b32 exec_lo, exec_lo, s14
	v_and_b32_e32 v13, 0xffff0000, v33
	v_lshlrev_b32_e32 v19, 16, v14
	s_delay_alu instid0(VALU_DEP_1) | instskip(NEXT) | instid1(VALU_DEP_1)
	v_add_f32_e32 v19, v19, v13
	v_and_b32_e32 v13, 0x7f800000, v19
	s_delay_alu instid0(VALU_DEP_1) | instskip(SKIP_1) | instid1(SALU_CYCLE_1)
	v_cmp_ne_u32_e32 vcc_lo, 0x7f800000, v13
                                        ; implicit-def: $vgpr13
	s_and_saveexec_b32 s14, vcc_lo
	s_xor_b32 s14, exec_lo, s14
; %bb.1323:                             ;   in Loop: Header=BB8_895 Depth=3
	v_bfe_u32 v13, v19, 16, 1
	s_delay_alu instid0(VALU_DEP_1)
	v_add3_u32 v13, v19, v13, 0x7fff
                                        ; implicit-def: $vgpr19
; %bb.1324:                             ;   in Loop: Header=BB8_895 Depth=3
	s_and_not1_saveexec_b32 s14, s14
; %bb.1325:                             ;   in Loop: Header=BB8_895 Depth=3
	v_and_b32_e32 v13, 0xffff, v19
	v_or_b32_e32 v21, 0x10000, v19
	s_delay_alu instid0(VALU_DEP_2) | instskip(NEXT) | instid1(VALU_DEP_2)
	v_cmp_eq_u32_e32 vcc_lo, 0, v13
	v_cndmask_b32_e32 v13, v21, v19, vcc_lo
; %bb.1326:                             ;   in Loop: Header=BB8_895 Depth=3
	s_or_b32 exec_lo, exec_lo, s14
	v_and_b32_e32 v14, 0xffff0000, v14
	v_and_b32_e32 v19, 0xffff0000, v28
	s_delay_alu instid0(VALU_DEP_1) | instskip(NEXT) | instid1(VALU_DEP_1)
	v_add_f32_e32 v19, v14, v19
	v_and_b32_e32 v14, 0x7f800000, v19
	s_delay_alu instid0(VALU_DEP_1) | instskip(SKIP_1) | instid1(SALU_CYCLE_1)
	v_cmp_ne_u32_e32 vcc_lo, 0x7f800000, v14
                                        ; implicit-def: $vgpr14
	s_and_saveexec_b32 s14, vcc_lo
	s_xor_b32 s14, exec_lo, s14
; %bb.1327:                             ;   in Loop: Header=BB8_895 Depth=3
	v_bfe_u32 v14, v19, 16, 1
	s_delay_alu instid0(VALU_DEP_1)
	v_add3_u32 v14, v19, v14, 0x7fff
                                        ; implicit-def: $vgpr19
; %bb.1328:                             ;   in Loop: Header=BB8_895 Depth=3
	s_and_not1_saveexec_b32 s14, s14
; %bb.1329:                             ;   in Loop: Header=BB8_895 Depth=3
	v_and_b32_e32 v14, 0xffff, v19
	v_or_b32_e32 v21, 0x10000, v19
	s_delay_alu instid0(VALU_DEP_2) | instskip(NEXT) | instid1(VALU_DEP_2)
	v_cmp_eq_u32_e32 vcc_lo, 0, v14
	v_cndmask_b32_e32 v14, v21, v19, vcc_lo
; %bb.1330:                             ;   in Loop: Header=BB8_895 Depth=3
	s_or_b32 exec_lo, exec_lo, s14
	v_and_b32_e32 v19, 0xffff0000, v29
	v_lshlrev_b32_e32 v21, 16, v15
	s_delay_alu instid0(VALU_DEP_1) | instskip(NEXT) | instid1(VALU_DEP_1)
	v_add_f32_e32 v21, v21, v19
	v_and_b32_e32 v19, 0x7f800000, v21
	s_delay_alu instid0(VALU_DEP_1) | instskip(SKIP_1) | instid1(SALU_CYCLE_1)
	v_cmp_ne_u32_e32 vcc_lo, 0x7f800000, v19
                                        ; implicit-def: $vgpr19
	s_and_saveexec_b32 s14, vcc_lo
	s_xor_b32 s14, exec_lo, s14
; %bb.1331:                             ;   in Loop: Header=BB8_895 Depth=3
	v_bfe_u32 v19, v21, 16, 1
	s_delay_alu instid0(VALU_DEP_1)
	v_add3_u32 v19, v21, v19, 0x7fff
                                        ; implicit-def: $vgpr21
; %bb.1332:                             ;   in Loop: Header=BB8_895 Depth=3
	s_and_not1_saveexec_b32 s14, s14
; %bb.1333:                             ;   in Loop: Header=BB8_895 Depth=3
	v_and_b32_e32 v19, 0xffff, v21
	v_or_b32_e32 v28, 0x10000, v21
	s_delay_alu instid0(VALU_DEP_2) | instskip(NEXT) | instid1(VALU_DEP_2)
	v_cmp_eq_u32_e32 vcc_lo, 0, v19
	v_cndmask_b32_e32 v19, v28, v21, vcc_lo
; %bb.1334:                             ;   in Loop: Header=BB8_895 Depth=3
	s_or_b32 exec_lo, exec_lo, s14
	v_and_b32_e32 v15, 0xffff0000, v15
	v_and_b32_e32 v21, 0xffff0000, v26
	s_delay_alu instid0(VALU_DEP_1) | instskip(NEXT) | instid1(VALU_DEP_1)
	v_add_f32_e32 v21, v15, v21
	v_and_b32_e32 v15, 0x7f800000, v21
	s_delay_alu instid0(VALU_DEP_1) | instskip(SKIP_1) | instid1(SALU_CYCLE_1)
	v_cmp_ne_u32_e32 vcc_lo, 0x7f800000, v15
                                        ; implicit-def: $vgpr15
	s_and_saveexec_b32 s14, vcc_lo
	s_xor_b32 s14, exec_lo, s14
; %bb.1335:                             ;   in Loop: Header=BB8_895 Depth=3
	v_bfe_u32 v15, v21, 16, 1
	s_delay_alu instid0(VALU_DEP_1)
	v_add3_u32 v15, v21, v15, 0x7fff
                                        ; implicit-def: $vgpr21
; %bb.1336:                             ;   in Loop: Header=BB8_895 Depth=3
	s_and_not1_saveexec_b32 s14, s14
; %bb.1337:                             ;   in Loop: Header=BB8_895 Depth=3
	v_and_b32_e32 v15, 0xffff, v21
	v_or_b32_e32 v26, 0x10000, v21
	s_delay_alu instid0(VALU_DEP_2) | instskip(NEXT) | instid1(VALU_DEP_2)
	v_cmp_eq_u32_e32 vcc_lo, 0, v15
	v_cndmask_b32_e32 v15, v26, v21, vcc_lo
; %bb.1338:                             ;   in Loop: Header=BB8_895 Depth=3
	s_or_b32 exec_lo, exec_lo, s14
	v_and_b32_e32 v21, 0xffff0000, v27
	v_lshlrev_b32_e32 v26, 16, v8
	s_delay_alu instid0(VALU_DEP_1) | instskip(NEXT) | instid1(VALU_DEP_1)
	v_add_f32_e32 v26, v26, v21
	v_and_b32_e32 v21, 0x7f800000, v26
	s_delay_alu instid0(VALU_DEP_1) | instskip(SKIP_1) | instid1(SALU_CYCLE_1)
	v_cmp_ne_u32_e32 vcc_lo, 0x7f800000, v21
                                        ; implicit-def: $vgpr21
	s_and_saveexec_b32 s14, vcc_lo
	s_xor_b32 s14, exec_lo, s14
; %bb.1339:                             ;   in Loop: Header=BB8_895 Depth=3
	v_bfe_u32 v21, v26, 16, 1
	s_delay_alu instid0(VALU_DEP_1)
	v_add3_u32 v21, v26, v21, 0x7fff
                                        ; implicit-def: $vgpr26
; %bb.1340:                             ;   in Loop: Header=BB8_895 Depth=3
	s_and_not1_saveexec_b32 s14, s14
; %bb.1341:                             ;   in Loop: Header=BB8_895 Depth=3
	v_and_b32_e32 v21, 0xffff, v26
	v_or_b32_e32 v27, 0x10000, v26
	s_delay_alu instid0(VALU_DEP_2) | instskip(NEXT) | instid1(VALU_DEP_2)
	v_cmp_eq_u32_e32 vcc_lo, 0, v21
	v_cndmask_b32_e32 v21, v27, v26, vcc_lo
; %bb.1342:                             ;   in Loop: Header=BB8_895 Depth=3
	s_or_b32 exec_lo, exec_lo, s14
	v_and_b32_e32 v8, 0xffff0000, v8
	v_and_b32_e32 v24, 0xffff0000, v24
	s_delay_alu instid0(VALU_DEP_1) | instskip(NEXT) | instid1(VALU_DEP_1)
	v_add_f32_e32 v24, v8, v24
	v_and_b32_e32 v8, 0x7f800000, v24
	s_delay_alu instid0(VALU_DEP_1) | instskip(SKIP_1) | instid1(SALU_CYCLE_1)
	v_cmp_ne_u32_e32 vcc_lo, 0x7f800000, v8
                                        ; implicit-def: $vgpr8
	s_and_saveexec_b32 s14, vcc_lo
	s_xor_b32 s14, exec_lo, s14
; %bb.1343:                             ;   in Loop: Header=BB8_895 Depth=3
	v_bfe_u32 v8, v24, 16, 1
	s_delay_alu instid0(VALU_DEP_1)
	v_add3_u32 v8, v24, v8, 0x7fff
                                        ; implicit-def: $vgpr24
; %bb.1344:                             ;   in Loop: Header=BB8_895 Depth=3
	s_and_not1_saveexec_b32 s14, s14
; %bb.1345:                             ;   in Loop: Header=BB8_895 Depth=3
	v_and_b32_e32 v8, 0xffff, v24
	v_or_b32_e32 v26, 0x10000, v24
	s_delay_alu instid0(VALU_DEP_2) | instskip(NEXT) | instid1(VALU_DEP_2)
	v_cmp_eq_u32_e32 vcc_lo, 0, v8
	v_cndmask_b32_e32 v8, v26, v24, vcc_lo
; %bb.1346:                             ;   in Loop: Header=BB8_895 Depth=3
	s_or_b32 exec_lo, exec_lo, s14
	v_and_b32_e32 v24, 0xffff0000, v25
	v_lshlrev_b32_e32 v25, 16, v9
	s_delay_alu instid0(VALU_DEP_1) | instskip(NEXT) | instid1(VALU_DEP_1)
	v_add_f32_e32 v25, v25, v24
	v_and_b32_e32 v24, 0x7f800000, v25
	s_delay_alu instid0(VALU_DEP_1) | instskip(SKIP_1) | instid1(SALU_CYCLE_1)
	v_cmp_ne_u32_e32 vcc_lo, 0x7f800000, v24
                                        ; implicit-def: $vgpr24
	s_and_saveexec_b32 s14, vcc_lo
	s_xor_b32 s14, exec_lo, s14
; %bb.1347:                             ;   in Loop: Header=BB8_895 Depth=3
	v_bfe_u32 v24, v25, 16, 1
	s_delay_alu instid0(VALU_DEP_1)
	v_add3_u32 v24, v25, v24, 0x7fff
                                        ; implicit-def: $vgpr25
; %bb.1348:                             ;   in Loop: Header=BB8_895 Depth=3
	s_and_not1_saveexec_b32 s14, s14
; %bb.1349:                             ;   in Loop: Header=BB8_895 Depth=3
	v_and_b32_e32 v24, 0xffff, v25
	v_or_b32_e32 v26, 0x10000, v25
	s_delay_alu instid0(VALU_DEP_2) | instskip(NEXT) | instid1(VALU_DEP_2)
	v_cmp_eq_u32_e32 vcc_lo, 0, v24
	v_cndmask_b32_e32 v24, v26, v25, vcc_lo
; %bb.1350:                             ;   in Loop: Header=BB8_895 Depth=3
	s_or_b32 exec_lo, exec_lo, s14
	v_and_b32_e32 v9, 0xffff0000, v9
	v_and_b32_e32 v22, 0xffff0000, v22
	s_delay_alu instid0(VALU_DEP_1) | instskip(NEXT) | instid1(VALU_DEP_1)
	v_add_f32_e32 v22, v9, v22
	v_and_b32_e32 v9, 0x7f800000, v22
	s_delay_alu instid0(VALU_DEP_1) | instskip(SKIP_1) | instid1(SALU_CYCLE_1)
	v_cmp_ne_u32_e32 vcc_lo, 0x7f800000, v9
                                        ; implicit-def: $vgpr9
	s_and_saveexec_b32 s14, vcc_lo
	s_xor_b32 s14, exec_lo, s14
; %bb.1351:                             ;   in Loop: Header=BB8_895 Depth=3
	v_bfe_u32 v9, v22, 16, 1
	s_delay_alu instid0(VALU_DEP_1)
	v_add3_u32 v9, v22, v9, 0x7fff
                                        ; implicit-def: $vgpr22
; %bb.1352:                             ;   in Loop: Header=BB8_895 Depth=3
	s_and_not1_saveexec_b32 s14, s14
; %bb.1353:                             ;   in Loop: Header=BB8_895 Depth=3
	v_and_b32_e32 v9, 0xffff, v22
	v_or_b32_e32 v25, 0x10000, v22
	s_delay_alu instid0(VALU_DEP_2) | instskip(NEXT) | instid1(VALU_DEP_2)
	v_cmp_eq_u32_e32 vcc_lo, 0, v9
	v_cndmask_b32_e32 v9, v25, v22, vcc_lo
; %bb.1354:                             ;   in Loop: Header=BB8_895 Depth=3
	s_or_b32 exec_lo, exec_lo, s14
	v_and_b32_e32 v22, 0xffff0000, v23
	v_lshlrev_b32_e32 v23, 16, v10
	s_delay_alu instid0(VALU_DEP_1) | instskip(NEXT) | instid1(VALU_DEP_1)
	v_add_f32_e32 v23, v23, v22
	v_and_b32_e32 v22, 0x7f800000, v23
	s_delay_alu instid0(VALU_DEP_1) | instskip(SKIP_1) | instid1(SALU_CYCLE_1)
	v_cmp_ne_u32_e32 vcc_lo, 0x7f800000, v22
                                        ; implicit-def: $vgpr22
	s_and_saveexec_b32 s14, vcc_lo
	s_xor_b32 s14, exec_lo, s14
; %bb.1355:                             ;   in Loop: Header=BB8_895 Depth=3
	v_bfe_u32 v22, v23, 16, 1
	s_delay_alu instid0(VALU_DEP_1)
	v_add3_u32 v22, v23, v22, 0x7fff
                                        ; implicit-def: $vgpr23
; %bb.1356:                             ;   in Loop: Header=BB8_895 Depth=3
	s_and_not1_saveexec_b32 s14, s14
; %bb.1357:                             ;   in Loop: Header=BB8_895 Depth=3
	v_and_b32_e32 v22, 0xffff, v23
	v_or_b32_e32 v25, 0x10000, v23
	s_delay_alu instid0(VALU_DEP_2) | instskip(NEXT) | instid1(VALU_DEP_2)
	v_cmp_eq_u32_e32 vcc_lo, 0, v22
	v_cndmask_b32_e32 v22, v25, v23, vcc_lo
; %bb.1358:                             ;   in Loop: Header=BB8_895 Depth=3
	s_or_b32 exec_lo, exec_lo, s14
	v_and_b32_e32 v10, 0xffff0000, v10
	v_and_b32_e32 v18, 0xffff0000, v18
	s_delay_alu instid0(VALU_DEP_1) | instskip(NEXT) | instid1(VALU_DEP_1)
	v_add_f32_e32 v18, v10, v18
	v_and_b32_e32 v10, 0x7f800000, v18
	s_delay_alu instid0(VALU_DEP_1) | instskip(SKIP_1) | instid1(SALU_CYCLE_1)
	v_cmp_ne_u32_e32 vcc_lo, 0x7f800000, v10
                                        ; implicit-def: $vgpr10
	s_and_saveexec_b32 s14, vcc_lo
	s_xor_b32 s14, exec_lo, s14
; %bb.1359:                             ;   in Loop: Header=BB8_895 Depth=3
	v_bfe_u32 v10, v18, 16, 1
	s_delay_alu instid0(VALU_DEP_1)
	v_add3_u32 v10, v18, v10, 0x7fff
                                        ; implicit-def: $vgpr18
; %bb.1360:                             ;   in Loop: Header=BB8_895 Depth=3
	s_and_not1_saveexec_b32 s14, s14
; %bb.1361:                             ;   in Loop: Header=BB8_895 Depth=3
	v_and_b32_e32 v10, 0xffff, v18
	v_or_b32_e32 v23, 0x10000, v18
	s_delay_alu instid0(VALU_DEP_2) | instskip(NEXT) | instid1(VALU_DEP_2)
	v_cmp_eq_u32_e32 vcc_lo, 0, v10
	v_cndmask_b32_e32 v10, v23, v18, vcc_lo
; %bb.1362:                             ;   in Loop: Header=BB8_895 Depth=3
	s_or_b32 exec_lo, exec_lo, s14
	v_and_b32_e32 v18, 0xffff0000, v20
	v_lshlrev_b32_e32 v20, 16, v11
	s_delay_alu instid0(VALU_DEP_1) | instskip(NEXT) | instid1(VALU_DEP_1)
	v_add_f32_e32 v20, v20, v18
	v_and_b32_e32 v18, 0x7f800000, v20
	s_delay_alu instid0(VALU_DEP_1) | instskip(SKIP_1) | instid1(SALU_CYCLE_1)
	v_cmp_ne_u32_e32 vcc_lo, 0x7f800000, v18
                                        ; implicit-def: $vgpr18
	s_and_saveexec_b32 s14, vcc_lo
	s_xor_b32 s14, exec_lo, s14
; %bb.1363:                             ;   in Loop: Header=BB8_895 Depth=3
	v_bfe_u32 v18, v20, 16, 1
	s_delay_alu instid0(VALU_DEP_1)
	v_add3_u32 v18, v20, v18, 0x7fff
                                        ; implicit-def: $vgpr20
; %bb.1364:                             ;   in Loop: Header=BB8_895 Depth=3
	s_and_not1_saveexec_b32 s14, s14
; %bb.1365:                             ;   in Loop: Header=BB8_895 Depth=3
	v_and_b32_e32 v18, 0xffff, v20
	v_or_b32_e32 v23, 0x10000, v20
	s_delay_alu instid0(VALU_DEP_2) | instskip(NEXT) | instid1(VALU_DEP_2)
	v_cmp_eq_u32_e32 vcc_lo, 0, v18
	v_cndmask_b32_e32 v18, v23, v20, vcc_lo
; %bb.1366:                             ;   in Loop: Header=BB8_895 Depth=3
	s_or_b32 exec_lo, exec_lo, s14
	v_and_b32_e32 v11, 0xffff0000, v11
	v_and_b32_e32 v17, 0xffff0000, v17
	s_delay_alu instid0(VALU_DEP_1) | instskip(NEXT) | instid1(VALU_DEP_1)
	v_add_f32_e32 v17, v11, v17
	v_and_b32_e32 v11, 0x7f800000, v17
	s_delay_alu instid0(VALU_DEP_1) | instskip(SKIP_1) | instid1(SALU_CYCLE_1)
	v_cmp_ne_u32_e32 vcc_lo, 0x7f800000, v11
                                        ; implicit-def: $vgpr11
	s_and_saveexec_b32 s14, vcc_lo
	s_xor_b32 s14, exec_lo, s14
; %bb.1367:                             ;   in Loop: Header=BB8_895 Depth=3
	v_bfe_u32 v11, v17, 16, 1
	s_delay_alu instid0(VALU_DEP_1)
	v_add3_u32 v11, v17, v11, 0x7fff
                                        ; implicit-def: $vgpr17
; %bb.1368:                             ;   in Loop: Header=BB8_895 Depth=3
	s_and_not1_saveexec_b32 s14, s14
; %bb.1369:                             ;   in Loop: Header=BB8_895 Depth=3
	v_and_b32_e32 v11, 0xffff, v17
	v_or_b32_e32 v20, 0x10000, v17
	s_delay_alu instid0(VALU_DEP_2) | instskip(NEXT) | instid1(VALU_DEP_2)
	v_cmp_eq_u32_e32 vcc_lo, 0, v11
	v_cndmask_b32_e32 v11, v20, v17, vcc_lo
; %bb.1370:                             ;   in Loop: Header=BB8_895 Depth=3
	s_or_b32 exec_lo, exec_lo, s14
	v_dual_lshrrev_b32 v5, 16, v5 :: v_dual_lshrrev_b32 v16, 16, v16
	v_dual_lshrrev_b32 v17, 16, v13 :: v_dual_lshrrev_b32 v18, 16, v18
	s_delay_alu instid0(VALU_DEP_2) | instskip(NEXT) | instid1(VALU_DEP_3)
	v_and_or_b32 v13, 0xffff0000, v12, v5
	v_and_or_b32 v12, 0xffff0000, v4, v16
	v_lshrrev_b32_e32 v4, 16, v19
	s_delay_alu instid0(VALU_DEP_4) | instskip(SKIP_2) | instid1(VALU_DEP_4)
	v_and_or_b32 v14, 0xffff0000, v14, v17
	v_dual_lshrrev_b32 v5, 16, v24 :: v_dual_lshrrev_b32 v16, 16, v21
	v_lshrrev_b32_e32 v17, 16, v22
	v_and_or_b32 v15, 0xffff0000, v15, v4
	v_and_or_b32 v11, 0xffff0000, v11, v18
	s_delay_alu instid0(VALU_DEP_4)
	v_and_or_b32 v9, 0xffff0000, v9, v5
	v_and_or_b32 v8, 0xffff0000, v8, v16
	;; [unrolled: 1-line block ×3, first 2 shown]
	s_clause 0x1
	global_store_b128 v[90:91], v[12:15], off th:TH_STORE_NT
	global_store_b128 v[90:91], v[8:11], off offset:512 th:TH_STORE_NT
.LBB8_1371:                             ;   in Loop: Header=BB8_895 Depth=3
	s_wait_xcnt 0x0
	s_or_b32 exec_lo, exec_lo, s13
	v_lshlrev_b32_e32 v20, 10, v75
	s_mov_b32 s78, exec_lo
                                        ; implicit-def: $vgpr18
                                        ; implicit-def: $vgpr4
                                        ; implicit-def: $vgpr19
	s_delay_alu instid0(VALU_DEP_1)
	v_cmpx_ne_u32_e64 v73, v20
	s_cbranch_execz .LBB8_1582
; %bb.1372:                             ;   in Loop: Header=BB8_895 Depth=3
	v_dual_lshlrev_b32 v4, 5, v106 :: v_dual_sub_nc_u32 v10, v73, v20
	s_mov_b32 s15, 0
	s_mov_b32 s79, exec_lo
	s_delay_alu instid0(VALU_DEP_1) | instskip(NEXT) | instid1(VALU_DEP_1)
	v_dual_sub_nc_u32 v4, v109, v4 :: v_dual_ashrrev_i32 v9, 31, v10
	v_ashrrev_i32_e32 v5, 31, v4
	s_delay_alu instid0(VALU_DEP_1) | instskip(NEXT) | instid1(VALU_DEP_1)
	v_lshrrev_b32_e32 v5, 27, v5
	v_add_nc_u32_e32 v5, v4, v5
	s_delay_alu instid0(VALU_DEP_1) | instskip(NEXT) | instid1(VALU_DEP_1)
	v_and_b32_e32 v8, 0xffffffe0, v5
	v_dual_sub_nc_u32 v21, v4, v8 :: v_dual_lshrrev_b32 v4, 23, v9
	v_ashrrev_i32_e32 v5, 5, v5
	s_delay_alu instid0(VALU_DEP_2) | instskip(NEXT) | instid1(VALU_DEP_1)
	v_dual_lshlrev_b32 v8, 4, v21 :: v_dual_add_nc_u32 v4, v10, v4
	v_lshl_add_u32 v11, v5, 9, v8
	s_delay_alu instid0(VALU_DEP_2) | instskip(NEXT) | instid1(VALU_DEP_2)
	v_and_b32_e32 v22, 0xfffffe00, v4
	v_dual_ashrrev_i32 v4, 9, v4 :: v_dual_sub_nc_u32 v25, v10, v11
	s_delay_alu instid0(VALU_DEP_2) | instskip(NEXT) | instid1(VALU_DEP_1)
	v_dual_add_nc_u32 v8, v11, v20 :: v_dual_sub_nc_u32 v23, v10, v22
	v_cmp_lt_i32_e64 s13, 15, v23
	s_delay_alu instid0(VALU_DEP_1) | instskip(NEXT) | instid1(VALU_DEP_1)
	v_add_co_ci_u32_e64 v4, null, 0, v4, s13
	v_dual_ashrrev_i32 v9, 31, v8 :: v_dual_sub_nc_u32 v24, v4, v5
	s_delay_alu instid0(VALU_DEP_1)
	v_add_nc_u64_e32 v[12:13], v[8:9], v[88:89]
	v_cmpx_lt_i32_e32 15, v25
	s_cbranch_execz .LBB8_1513
; %bb.1373:                             ;   in Loop: Header=BB8_895 Depth=3
	s_trap 2
	ds_load_b64 v[4:5], v0
	ds_load_b32 v10, v0
	v_add_nc_u64_e32 v[14:15], v[8:9], v[78:79]
	s_mov_b32 s90, 0
	s_mov_b32 s88, 0
                                        ; implicit-def: $sgpr89
	s_wait_dscnt 0x1
	v_add_nc_u64_e32 v[16:17], v[4:5], v[8:9]
	s_wait_dscnt 0x0
	v_lshlrev_b32_e32 v26, 16, v10
	s_branch .LBB8_1375
.LBB8_1374:                             ;   in Loop: Header=BB8_1375 Depth=4
	s_or_b32 exec_lo, exec_lo, s14
	s_delay_alu instid0(VALU_DEP_1) | instskip(SKIP_3) | instid1(SALU_CYCLE_1)
	v_cmp_gt_i32_e32 vcc_lo, 16, v25
	s_or_b32 s88, vcc_lo, s88
	s_and_not1_b32 s14, s89, exec_lo
	s_and_b32 s15, s90, exec_lo
	s_or_b32 s89, s14, s15
	s_and_not1_b32 exec_lo, exec_lo, s88
	s_cbranch_execz .LBB8_1512
.LBB8_1375:                             ;   Parent Loop BB8_47 Depth=1
                                        ;     Parent Loop BB8_892 Depth=2
                                        ;       Parent Loop BB8_895 Depth=3
                                        ; =>      This Loop Header: Depth=4
                                        ;           Child Loop BB8_1376 Depth 5
                                        ;           Child Loop BB8_1445 Depth 5
	s_add_co_i32 s14, s33, 0xc0
	s_mov_b64 s[40:41], 0
	s_mov_b32 s91, s14
	s_mov_b32 s92, -1
.LBB8_1376:                             ;   Parent Loop BB8_47 Depth=1
                                        ;     Parent Loop BB8_892 Depth=2
                                        ;       Parent Loop BB8_895 Depth=3
                                        ;         Parent Loop BB8_1375 Depth=4
                                        ; =>        This Inner Loop Header: Depth=5
	s_cmp_eq_u32 s40, 1
	s_cselect_b32 vcc_lo, -1, 0
	s_cmp_eq_u32 s40, 0
	v_dual_cndmask_b32 v5, v15, v17 :: v_dual_cndmask_b32 v4, v14, v16
	s_cselect_b32 s14, -1, 0
	s_and_b32 s15, exec_lo, s92
	s_mov_b64 s[40:41], 1
	s_mov_b32 s92, 0
	global_load_b128 v[8:11], v[4:5], off th:TH_LOAD_NT
	s_wait_xcnt 0x0
	v_add_nc_u64_e32 v[4:5], 0x200, v[4:5]
	s_delay_alu instid0(VALU_DEP_1)
	v_dual_cndmask_b32 v15, v15, v5, s14 :: v_dual_cndmask_b32 v14, v14, v4, s14
	v_dual_cndmask_b32 v17, v17, v5 :: v_dual_cndmask_b32 v16, v16, v4
	s_mov_b32 vcc_lo, s15
	s_wait_loadcnt 0x0
	scratch_store_b128 off, v[8:11], s91
	s_wait_xcnt 0x0
	s_mov_b32 s91, s56
	s_cbranch_vccnz .LBB8_1376
; %bb.1377:                             ;   in Loop: Header=BB8_1375 Depth=4
	s_and_saveexec_b32 s14, s90
	s_cbranch_execz .LBB8_1443
; %bb.1378:                             ;   in Loop: Header=BB8_1375 Depth=4
	scratch_load_b128 v[8:11], off, s33 offset:224
	s_wait_loadcnt 0x0
	v_lshlrev_b32_e32 v4, 16, v8
	s_delay_alu instid0(VALU_DEP_1) | instskip(NEXT) | instid1(VALU_DEP_1)
	v_mul_f32_e32 v4, v26, v4
	v_and_b32_e32 v5, 0x7f800000, v4
	s_delay_alu instid0(VALU_DEP_1) | instskip(SKIP_2) | instid1(SALU_CYCLE_1)
	v_cmp_ne_u32_e32 vcc_lo, 0x7f800000, v5
                                        ; implicit-def: $vgpr5
	s_wait_xcnt 0x0
	s_and_saveexec_b32 s15, vcc_lo
	s_xor_b32 s15, exec_lo, s15
; %bb.1379:                             ;   in Loop: Header=BB8_1375 Depth=4
	v_bfe_u32 v5, v4, 16, 1
	s_delay_alu instid0(VALU_DEP_1)
	v_add3_u32 v5, v4, v5, 0x7fff
                                        ; implicit-def: $vgpr4
; %bb.1380:                             ;   in Loop: Header=BB8_1375 Depth=4
	s_and_not1_saveexec_b32 s15, s15
; %bb.1381:                             ;   in Loop: Header=BB8_1375 Depth=4
	v_and_b32_e32 v5, 0xffff, v4
	v_or_b32_e32 v18, 0x10000, v4
	s_delay_alu instid0(VALU_DEP_2) | instskip(NEXT) | instid1(VALU_DEP_2)
	v_cmp_eq_u32_e32 vcc_lo, 0, v5
	v_cndmask_b32_e32 v5, v18, v4, vcc_lo
; %bb.1382:                             ;   in Loop: Header=BB8_1375 Depth=4
	s_or_b32 exec_lo, exec_lo, s15
	v_and_b32_e32 v4, 0xffff0000, v8
	s_mov_b32 s15, exec_lo
                                        ; implicit-def: $vgpr18
	s_delay_alu instid0(VALU_DEP_1) | instskip(NEXT) | instid1(VALU_DEP_1)
	v_mul_f32_e32 v4, v26, v4
	v_and_b32_e32 v8, 0x7f800000, v4
	s_delay_alu instid0(VALU_DEP_1)
	v_cmpx_ne_u32_e32 0x7f800000, v8
	s_xor_b32 s15, exec_lo, s15
; %bb.1383:                             ;   in Loop: Header=BB8_1375 Depth=4
	v_bfe_u32 v8, v4, 16, 1
	s_delay_alu instid0(VALU_DEP_1)
	v_add3_u32 v18, v4, v8, 0x7fff
                                        ; implicit-def: $vgpr4
; %bb.1384:                             ;   in Loop: Header=BB8_1375 Depth=4
	s_and_not1_saveexec_b32 s15, s15
; %bb.1385:                             ;   in Loop: Header=BB8_1375 Depth=4
	v_and_b32_e32 v8, 0xffff, v4
	v_or_b32_e32 v18, 0x10000, v4
	s_delay_alu instid0(VALU_DEP_2) | instskip(NEXT) | instid1(VALU_DEP_2)
	v_cmp_eq_u32_e32 vcc_lo, 0, v8
	v_cndmask_b32_e32 v18, v18, v4, vcc_lo
; %bb.1386:                             ;   in Loop: Header=BB8_1375 Depth=4
	s_or_b32 exec_lo, exec_lo, s15
	v_lshlrev_b32_e32 v4, 16, v9
	s_mov_b32 s15, exec_lo
                                        ; implicit-def: $vgpr33
	s_delay_alu instid0(VALU_DEP_1) | instskip(NEXT) | instid1(VALU_DEP_1)
	v_mul_f32_e32 v4, v26, v4
	v_and_b32_e32 v8, 0x7f800000, v4
	s_delay_alu instid0(VALU_DEP_1)
	v_cmpx_ne_u32_e32 0x7f800000, v8
	s_xor_b32 s15, exec_lo, s15
; %bb.1387:                             ;   in Loop: Header=BB8_1375 Depth=4
	v_bfe_u32 v8, v4, 16, 1
	s_delay_alu instid0(VALU_DEP_1)
	v_add3_u32 v33, v4, v8, 0x7fff
                                        ; implicit-def: $vgpr4
; %bb.1388:                             ;   in Loop: Header=BB8_1375 Depth=4
	s_and_not1_saveexec_b32 s15, s15
; %bb.1389:                             ;   in Loop: Header=BB8_1375 Depth=4
	v_and_b32_e32 v8, 0xffff, v4
	v_or_b32_e32 v19, 0x10000, v4
	s_delay_alu instid0(VALU_DEP_2) | instskip(NEXT) | instid1(VALU_DEP_2)
	v_cmp_eq_u32_e32 vcc_lo, 0, v8
	v_cndmask_b32_e32 v33, v19, v4, vcc_lo
; %bb.1390:                             ;   in Loop: Header=BB8_1375 Depth=4
	s_or_b32 exec_lo, exec_lo, s15
	v_and_b32_e32 v4, 0xffff0000, v9
	s_mov_b32 s15, exec_lo
                                        ; implicit-def: $vgpr29
	s_delay_alu instid0(VALU_DEP_1) | instskip(NEXT) | instid1(VALU_DEP_1)
	v_mul_f32_e32 v4, v26, v4
	v_and_b32_e32 v8, 0x7f800000, v4
	s_delay_alu instid0(VALU_DEP_1)
	v_cmpx_ne_u32_e32 0x7f800000, v8
	s_xor_b32 s15, exec_lo, s15
; %bb.1391:                             ;   in Loop: Header=BB8_1375 Depth=4
	v_bfe_u32 v8, v4, 16, 1
	s_delay_alu instid0(VALU_DEP_1)
	v_add3_u32 v29, v4, v8, 0x7fff
                                        ; implicit-def: $vgpr4
; %bb.1392:                             ;   in Loop: Header=BB8_1375 Depth=4
	s_and_not1_saveexec_b32 s15, s15
; %bb.1393:                             ;   in Loop: Header=BB8_1375 Depth=4
	v_and_b32_e32 v8, 0xffff, v4
	v_or_b32_e32 v9, 0x10000, v4
	s_delay_alu instid0(VALU_DEP_2) | instskip(NEXT) | instid1(VALU_DEP_2)
	v_cmp_eq_u32_e32 vcc_lo, 0, v8
	v_cndmask_b32_e32 v29, v9, v4, vcc_lo
; %bb.1394:                             ;   in Loop: Header=BB8_1375 Depth=4
	s_or_b32 exec_lo, exec_lo, s15
	v_lshlrev_b32_e32 v4, 16, v10
	s_mov_b32 s15, exec_lo
                                        ; implicit-def: $vgpr32
	s_delay_alu instid0(VALU_DEP_1) | instskip(NEXT) | instid1(VALU_DEP_1)
	v_mul_f32_e32 v4, v26, v4
	v_and_b32_e32 v8, 0x7f800000, v4
	s_delay_alu instid0(VALU_DEP_1)
	v_cmpx_ne_u32_e32 0x7f800000, v8
	s_xor_b32 s15, exec_lo, s15
; %bb.1395:                             ;   in Loop: Header=BB8_1375 Depth=4
	v_bfe_u32 v8, v4, 16, 1
	s_delay_alu instid0(VALU_DEP_1)
	v_add3_u32 v32, v4, v8, 0x7fff
                                        ; implicit-def: $vgpr4
; %bb.1396:                             ;   in Loop: Header=BB8_1375 Depth=4
	s_and_not1_saveexec_b32 s15, s15
; %bb.1397:                             ;   in Loop: Header=BB8_1375 Depth=4
	v_and_b32_e32 v8, 0xffff, v4
	v_or_b32_e32 v9, 0x10000, v4
	s_delay_alu instid0(VALU_DEP_2) | instskip(NEXT) | instid1(VALU_DEP_2)
	v_cmp_eq_u32_e32 vcc_lo, 0, v8
	v_cndmask_b32_e32 v32, v9, v4, vcc_lo
; %bb.1398:                             ;   in Loop: Header=BB8_1375 Depth=4
	s_or_b32 exec_lo, exec_lo, s15
	v_and_b32_e32 v4, 0xffff0000, v10
	s_mov_b32 s15, exec_lo
                                        ; implicit-def: $vgpr27
	s_delay_alu instid0(VALU_DEP_1) | instskip(NEXT) | instid1(VALU_DEP_1)
	v_mul_f32_e32 v4, v26, v4
	v_and_b32_e32 v8, 0x7f800000, v4
	s_delay_alu instid0(VALU_DEP_1)
	v_cmpx_ne_u32_e32 0x7f800000, v8
	s_xor_b32 s15, exec_lo, s15
; %bb.1399:                             ;   in Loop: Header=BB8_1375 Depth=4
	v_bfe_u32 v8, v4, 16, 1
	s_delay_alu instid0(VALU_DEP_1)
	v_add3_u32 v27, v4, v8, 0x7fff
                                        ; implicit-def: $vgpr4
; %bb.1400:                             ;   in Loop: Header=BB8_1375 Depth=4
	s_and_not1_saveexec_b32 s15, s15
; %bb.1401:                             ;   in Loop: Header=BB8_1375 Depth=4
	v_and_b32_e32 v8, 0xffff, v4
	v_or_b32_e32 v9, 0x10000, v4
	s_delay_alu instid0(VALU_DEP_2) | instskip(NEXT) | instid1(VALU_DEP_2)
	v_cmp_eq_u32_e32 vcc_lo, 0, v8
	v_cndmask_b32_e32 v27, v9, v4, vcc_lo
; %bb.1402:                             ;   in Loop: Header=BB8_1375 Depth=4
	s_or_b32 exec_lo, exec_lo, s15
	v_lshlrev_b32_e32 v4, 16, v11
	s_mov_b32 s15, exec_lo
                                        ; implicit-def: $vgpr28
	s_delay_alu instid0(VALU_DEP_1) | instskip(NEXT) | instid1(VALU_DEP_1)
	v_mul_f32_e32 v4, v26, v4
	v_and_b32_e32 v8, 0x7f800000, v4
	s_delay_alu instid0(VALU_DEP_1)
	v_cmpx_ne_u32_e32 0x7f800000, v8
	s_xor_b32 s15, exec_lo, s15
; %bb.1403:                             ;   in Loop: Header=BB8_1375 Depth=4
	v_bfe_u32 v8, v4, 16, 1
	s_delay_alu instid0(VALU_DEP_1)
	v_add3_u32 v28, v4, v8, 0x7fff
                                        ; implicit-def: $vgpr4
; %bb.1404:                             ;   in Loop: Header=BB8_1375 Depth=4
	s_and_not1_saveexec_b32 s15, s15
; %bb.1405:                             ;   in Loop: Header=BB8_1375 Depth=4
	v_and_b32_e32 v8, 0xffff, v4
	v_or_b32_e32 v9, 0x10000, v4
	s_delay_alu instid0(VALU_DEP_2) | instskip(NEXT) | instid1(VALU_DEP_2)
	v_cmp_eq_u32_e32 vcc_lo, 0, v8
	v_cndmask_b32_e32 v28, v9, v4, vcc_lo
; %bb.1406:                             ;   in Loop: Header=BB8_1375 Depth=4
	s_or_b32 exec_lo, exec_lo, s15
	v_and_b32_e32 v4, 0xffff0000, v11
	s_delay_alu instid0(VALU_DEP_1) | instskip(NEXT) | instid1(VALU_DEP_1)
	v_mul_f32_e32 v8, v26, v4
	v_and_b32_e32 v4, 0x7f800000, v8
	s_delay_alu instid0(VALU_DEP_1) | instskip(SKIP_1) | instid1(SALU_CYCLE_1)
	v_cmp_ne_u32_e32 vcc_lo, 0x7f800000, v4
                                        ; implicit-def: $vgpr4
	s_and_saveexec_b32 s15, vcc_lo
	s_xor_b32 s15, exec_lo, s15
; %bb.1407:                             ;   in Loop: Header=BB8_1375 Depth=4
	v_bfe_u32 v4, v8, 16, 1
	s_delay_alu instid0(VALU_DEP_1)
	v_add3_u32 v4, v8, v4, 0x7fff
                                        ; implicit-def: $vgpr8
; %bb.1408:                             ;   in Loop: Header=BB8_1375 Depth=4
	s_and_not1_saveexec_b32 s15, s15
; %bb.1409:                             ;   in Loop: Header=BB8_1375 Depth=4
	v_and_b32_e32 v4, 0xffff, v8
	v_or_b32_e32 v9, 0x10000, v8
	s_delay_alu instid0(VALU_DEP_2) | instskip(NEXT) | instid1(VALU_DEP_2)
	v_cmp_eq_u32_e32 vcc_lo, 0, v4
	v_cndmask_b32_e32 v4, v9, v8, vcc_lo
; %bb.1410:                             ;   in Loop: Header=BB8_1375 Depth=4
	s_or_b32 exec_lo, exec_lo, s15
	scratch_load_b128 v[8:11], off, s33 offset:240
	v_and_b32_e32 v5, 0xffff0000, v5
	s_wait_loadcnt 0x0
	v_lshlrev_b32_e32 v19, 16, v8
	s_delay_alu instid0(VALU_DEP_1) | instskip(NEXT) | instid1(VALU_DEP_1)
	v_add_f32_e32 v19, v5, v19
	v_and_b32_e32 v5, 0x7f800000, v19
	s_delay_alu instid0(VALU_DEP_1) | instskip(SKIP_2) | instid1(SALU_CYCLE_1)
	v_cmp_ne_u32_e32 vcc_lo, 0x7f800000, v5
                                        ; implicit-def: $vgpr5
	s_wait_xcnt 0x0
	s_and_saveexec_b32 s15, vcc_lo
	s_xor_b32 s15, exec_lo, s15
; %bb.1411:                             ;   in Loop: Header=BB8_1375 Depth=4
	v_bfe_u32 v5, v19, 16, 1
	s_delay_alu instid0(VALU_DEP_1)
	v_add3_u32 v5, v19, v5, 0x7fff
                                        ; implicit-def: $vgpr19
; %bb.1412:                             ;   in Loop: Header=BB8_1375 Depth=4
	s_and_not1_saveexec_b32 s15, s15
; %bb.1413:                             ;   in Loop: Header=BB8_1375 Depth=4
	v_and_b32_e32 v5, 0xffff, v19
	v_or_b32_e32 v34, 0x10000, v19
	s_delay_alu instid0(VALU_DEP_2) | instskip(NEXT) | instid1(VALU_DEP_2)
	v_cmp_eq_u32_e32 vcc_lo, 0, v5
	v_cndmask_b32_e32 v5, v34, v19, vcc_lo
; %bb.1414:                             ;   in Loop: Header=BB8_1375 Depth=4
	s_or_b32 exec_lo, exec_lo, s15
	v_and_b32_e32 v19, 0xffff0000, v8
	v_and_b32_e32 v18, 0xffff0000, v18
	s_delay_alu instid0(VALU_DEP_2) | instskip(NEXT) | instid1(VALU_DEP_1)
	v_mov_b32_e32 v8, v19
	v_pk_add_f32 v[18:19], v[8:9], v[18:19]
	s_delay_alu instid0(VALU_DEP_1) | instskip(NEXT) | instid1(VALU_DEP_1)
	v_and_b32_e32 v8, 0x7f800000, v18
	v_cmp_ne_u32_e32 vcc_lo, 0x7f800000, v8
                                        ; implicit-def: $vgpr8
	s_and_saveexec_b32 s15, vcc_lo
	s_delay_alu instid0(SALU_CYCLE_1)
	s_xor_b32 s15, exec_lo, s15
; %bb.1415:                             ;   in Loop: Header=BB8_1375 Depth=4
	v_bfe_u32 v8, v18, 16, 1
	s_delay_alu instid0(VALU_DEP_1)
	v_add3_u32 v8, v18, v8, 0x7fff
                                        ; implicit-def: $vgpr18_vgpr19
; %bb.1416:                             ;   in Loop: Header=BB8_1375 Depth=4
	s_and_not1_saveexec_b32 s15, s15
; %bb.1417:                             ;   in Loop: Header=BB8_1375 Depth=4
	v_and_b32_e32 v8, 0xffff, v18
	v_or_b32_e32 v19, 0x10000, v18
	s_delay_alu instid0(VALU_DEP_2) | instskip(NEXT) | instid1(VALU_DEP_2)
	v_cmp_eq_u32_e32 vcc_lo, 0, v8
	v_cndmask_b32_e32 v8, v19, v18, vcc_lo
; %bb.1418:                             ;   in Loop: Header=BB8_1375 Depth=4
	s_or_b32 exec_lo, exec_lo, s15
	v_and_b32_e32 v18, 0xffff0000, v33
	v_lshlrev_b32_e32 v19, 16, v9
	s_delay_alu instid0(VALU_DEP_1) | instskip(NEXT) | instid1(VALU_DEP_1)
	v_add_f32_e32 v19, v18, v19
	v_and_b32_e32 v18, 0x7f800000, v19
	s_delay_alu instid0(VALU_DEP_1) | instskip(SKIP_1) | instid1(SALU_CYCLE_1)
	v_cmp_ne_u32_e32 vcc_lo, 0x7f800000, v18
                                        ; implicit-def: $vgpr18
	s_and_saveexec_b32 s15, vcc_lo
	s_xor_b32 s15, exec_lo, s15
; %bb.1419:                             ;   in Loop: Header=BB8_1375 Depth=4
	v_bfe_u32 v18, v19, 16, 1
	s_delay_alu instid0(VALU_DEP_1)
	v_add3_u32 v18, v19, v18, 0x7fff
                                        ; implicit-def: $vgpr19
; %bb.1420:                             ;   in Loop: Header=BB8_1375 Depth=4
	s_and_not1_saveexec_b32 s15, s15
; %bb.1421:                             ;   in Loop: Header=BB8_1375 Depth=4
	v_and_b32_e32 v18, 0xffff, v19
	v_or_b32_e32 v33, 0x10000, v19
	s_delay_alu instid0(VALU_DEP_2) | instskip(NEXT) | instid1(VALU_DEP_2)
	v_cmp_eq_u32_e32 vcc_lo, 0, v18
	v_cndmask_b32_e32 v18, v33, v19, vcc_lo
; %bb.1422:                             ;   in Loop: Header=BB8_1375 Depth=4
	s_or_b32 exec_lo, exec_lo, s15
	v_and_b32_e32 v9, 0xffff0000, v9
	v_and_b32_e32 v19, 0xffff0000, v29
	s_delay_alu instid0(VALU_DEP_1) | instskip(NEXT) | instid1(VALU_DEP_1)
	v_add_f32_e32 v19, v19, v9
	v_and_b32_e32 v9, 0x7f800000, v19
	s_delay_alu instid0(VALU_DEP_1) | instskip(SKIP_1) | instid1(SALU_CYCLE_1)
	v_cmp_ne_u32_e32 vcc_lo, 0x7f800000, v9
                                        ; implicit-def: $vgpr9
	s_and_saveexec_b32 s15, vcc_lo
	s_xor_b32 s15, exec_lo, s15
; %bb.1423:                             ;   in Loop: Header=BB8_1375 Depth=4
	v_bfe_u32 v9, v19, 16, 1
	s_delay_alu instid0(VALU_DEP_1)
	v_add3_u32 v9, v19, v9, 0x7fff
                                        ; implicit-def: $vgpr19
; %bb.1424:                             ;   in Loop: Header=BB8_1375 Depth=4
	s_and_not1_saveexec_b32 s15, s15
; %bb.1425:                             ;   in Loop: Header=BB8_1375 Depth=4
	v_and_b32_e32 v9, 0xffff, v19
	v_or_b32_e32 v29, 0x10000, v19
	s_delay_alu instid0(VALU_DEP_2) | instskip(NEXT) | instid1(VALU_DEP_2)
	v_cmp_eq_u32_e32 vcc_lo, 0, v9
	v_cndmask_b32_e32 v9, v29, v19, vcc_lo
; %bb.1426:                             ;   in Loop: Header=BB8_1375 Depth=4
	s_or_b32 exec_lo, exec_lo, s15
	v_and_b32_e32 v19, 0xffff0000, v32
	v_lshlrev_b32_e32 v29, 16, v10
	s_delay_alu instid0(VALU_DEP_1) | instskip(NEXT) | instid1(VALU_DEP_1)
	v_add_f32_e32 v29, v19, v29
	v_and_b32_e32 v19, 0x7f800000, v29
	s_delay_alu instid0(VALU_DEP_1) | instskip(SKIP_1) | instid1(SALU_CYCLE_1)
	v_cmp_ne_u32_e32 vcc_lo, 0x7f800000, v19
                                        ; implicit-def: $vgpr19
	s_and_saveexec_b32 s15, vcc_lo
	s_xor_b32 s15, exec_lo, s15
; %bb.1427:                             ;   in Loop: Header=BB8_1375 Depth=4
	v_bfe_u32 v19, v29, 16, 1
	s_delay_alu instid0(VALU_DEP_1)
	v_add3_u32 v19, v29, v19, 0x7fff
                                        ; implicit-def: $vgpr29
; %bb.1428:                             ;   in Loop: Header=BB8_1375 Depth=4
	s_and_not1_saveexec_b32 s15, s15
; %bb.1429:                             ;   in Loop: Header=BB8_1375 Depth=4
	v_and_b32_e32 v19, 0xffff, v29
	v_or_b32_e32 v32, 0x10000, v29
	s_delay_alu instid0(VALU_DEP_2) | instskip(NEXT) | instid1(VALU_DEP_2)
	v_cmp_eq_u32_e32 vcc_lo, 0, v19
	v_cndmask_b32_e32 v19, v32, v29, vcc_lo
; %bb.1430:                             ;   in Loop: Header=BB8_1375 Depth=4
	s_or_b32 exec_lo, exec_lo, s15
	v_and_b32_e32 v10, 0xffff0000, v10
	v_and_b32_e32 v27, 0xffff0000, v27
	s_delay_alu instid0(VALU_DEP_1) | instskip(NEXT) | instid1(VALU_DEP_1)
	v_add_f32_e32 v27, v27, v10
	v_and_b32_e32 v10, 0x7f800000, v27
	s_delay_alu instid0(VALU_DEP_1) | instskip(SKIP_1) | instid1(SALU_CYCLE_1)
	v_cmp_ne_u32_e32 vcc_lo, 0x7f800000, v10
                                        ; implicit-def: $vgpr10
	s_and_saveexec_b32 s15, vcc_lo
	s_xor_b32 s15, exec_lo, s15
; %bb.1431:                             ;   in Loop: Header=BB8_1375 Depth=4
	v_bfe_u32 v10, v27, 16, 1
	s_delay_alu instid0(VALU_DEP_1)
	v_add3_u32 v10, v27, v10, 0x7fff
                                        ; implicit-def: $vgpr27
; %bb.1432:                             ;   in Loop: Header=BB8_1375 Depth=4
	s_and_not1_saveexec_b32 s15, s15
; %bb.1433:                             ;   in Loop: Header=BB8_1375 Depth=4
	v_and_b32_e32 v10, 0xffff, v27
	v_or_b32_e32 v29, 0x10000, v27
	s_delay_alu instid0(VALU_DEP_2) | instskip(NEXT) | instid1(VALU_DEP_2)
	v_cmp_eq_u32_e32 vcc_lo, 0, v10
	v_cndmask_b32_e32 v10, v29, v27, vcc_lo
; %bb.1434:                             ;   in Loop: Header=BB8_1375 Depth=4
	s_or_b32 exec_lo, exec_lo, s15
	v_and_b32_e32 v27, 0xffff0000, v28
	v_lshlrev_b32_e32 v28, 16, v11
	s_delay_alu instid0(VALU_DEP_1) | instskip(NEXT) | instid1(VALU_DEP_1)
	v_add_f32_e32 v28, v27, v28
	v_and_b32_e32 v27, 0x7f800000, v28
	s_delay_alu instid0(VALU_DEP_1) | instskip(SKIP_1) | instid1(SALU_CYCLE_1)
	v_cmp_ne_u32_e32 vcc_lo, 0x7f800000, v27
                                        ; implicit-def: $vgpr27
	s_and_saveexec_b32 s15, vcc_lo
	s_xor_b32 s15, exec_lo, s15
; %bb.1435:                             ;   in Loop: Header=BB8_1375 Depth=4
	v_bfe_u32 v27, v28, 16, 1
	s_delay_alu instid0(VALU_DEP_1)
	v_add3_u32 v27, v28, v27, 0x7fff
                                        ; implicit-def: $vgpr28
; %bb.1436:                             ;   in Loop: Header=BB8_1375 Depth=4
	s_and_not1_saveexec_b32 s15, s15
; %bb.1437:                             ;   in Loop: Header=BB8_1375 Depth=4
	v_and_b32_e32 v27, 0xffff, v28
	v_or_b32_e32 v29, 0x10000, v28
	s_delay_alu instid0(VALU_DEP_2) | instskip(NEXT) | instid1(VALU_DEP_2)
	v_cmp_eq_u32_e32 vcc_lo, 0, v27
	v_cndmask_b32_e32 v27, v29, v28, vcc_lo
; %bb.1438:                             ;   in Loop: Header=BB8_1375 Depth=4
	s_or_b32 exec_lo, exec_lo, s15
	v_and_b32_e32 v11, 0xffff0000, v11
	v_and_b32_e32 v4, 0xffff0000, v4
	s_delay_alu instid0(VALU_DEP_1) | instskip(NEXT) | instid1(VALU_DEP_1)
	v_add_f32_e32 v11, v4, v11
	v_and_b32_e32 v4, 0x7f800000, v11
	s_delay_alu instid0(VALU_DEP_1) | instskip(SKIP_1) | instid1(SALU_CYCLE_1)
	v_cmp_ne_u32_e32 vcc_lo, 0x7f800000, v4
                                        ; implicit-def: $vgpr4
	s_and_saveexec_b32 s15, vcc_lo
	s_xor_b32 s15, exec_lo, s15
; %bb.1439:                             ;   in Loop: Header=BB8_1375 Depth=4
	v_bfe_u32 v4, v11, 16, 1
	s_delay_alu instid0(VALU_DEP_1)
	v_add3_u32 v4, v11, v4, 0x7fff
                                        ; implicit-def: $vgpr11
; %bb.1440:                             ;   in Loop: Header=BB8_1375 Depth=4
	s_and_not1_saveexec_b32 s15, s15
; %bb.1441:                             ;   in Loop: Header=BB8_1375 Depth=4
	v_and_b32_e32 v4, 0xffff, v11
	v_or_b32_e32 v28, 0x10000, v11
	s_delay_alu instid0(VALU_DEP_2) | instskip(NEXT) | instid1(VALU_DEP_2)
	v_cmp_eq_u32_e32 vcc_lo, 0, v4
	v_cndmask_b32_e32 v4, v28, v11, vcc_lo
; %bb.1442:                             ;   in Loop: Header=BB8_1375 Depth=4
	s_or_b32 exec_lo, exec_lo, s15
	v_dual_lshrrev_b32 v11, 16, v18 :: v_dual_lshrrev_b32 v5, 16, v5
	v_lshrrev_b32_e32 v18, 16, v19
	v_lshrrev_b32_e32 v19, 16, v27
	s_delay_alu instid0(VALU_DEP_3) | instskip(NEXT) | instid1(VALU_DEP_4)
	v_and_or_b32 v9, 0xffff0000, v9, v11
	v_and_or_b32 v8, 0xffff0000, v8, v5
	s_delay_alu instid0(VALU_DEP_4) | instskip(NEXT) | instid1(VALU_DEP_4)
	v_and_or_b32 v10, 0xffff0000, v10, v18
	v_and_or_b32 v11, 0xffff0000, v4, v19
	global_store_b128 v[12:13], v[8:11], off th:TH_STORE_NT
	s_wait_xcnt 0x0
	v_add_nc_u64_e32 v[12:13], v[44:45], v[12:13]
	scratch_store_b128 off, v[8:11], s33 offset:224
.LBB8_1443:                             ;   in Loop: Header=BB8_1375 Depth=4
	s_wait_xcnt 0x0
	s_or_b32 exec_lo, exec_lo, s14
	v_sub_nc_u32_e32 v25, v25, v122
	v_add_nc_u64_e32 v[14:15], v[14:15], v[116:117]
	v_add_nc_u64_e32 v[16:17], v[16:17], v[116:117]
	s_delay_alu instid0(VALU_DEP_3)
	v_cmp_lt_i32_e64 s90, 15, v25
	s_and_saveexec_b32 s91, s90
	s_cbranch_execz .LBB8_1446
; %bb.1444:                             ;   in Loop: Header=BB8_1375 Depth=4
	s_add_co_i32 s14, s33, 0xe0
	s_mov_b64 s[40:41], 0
	s_mov_b32 s92, s14
	s_mov_b32 s93, -1
.LBB8_1445:                             ;   Parent Loop BB8_47 Depth=1
                                        ;     Parent Loop BB8_892 Depth=2
                                        ;       Parent Loop BB8_895 Depth=3
                                        ;         Parent Loop BB8_1375 Depth=4
                                        ; =>        This Inner Loop Header: Depth=5
	s_cmp_eq_u32 s40, 1
	s_cselect_b32 vcc_lo, -1, 0
	s_cmp_eq_u32 s40, 0
	v_dual_cndmask_b32 v5, v15, v17 :: v_dual_cndmask_b32 v4, v14, v16
	s_cselect_b32 s14, -1, 0
	s_and_b32 s15, exec_lo, s93
	s_mov_b64 s[40:41], 1
	s_mov_b32 s93, 0
	global_load_b128 v[8:11], v[4:5], off th:TH_LOAD_NT
	s_wait_xcnt 0x0
	v_add_nc_u64_e32 v[4:5], 0x200, v[4:5]
	s_delay_alu instid0(VALU_DEP_1)
	v_dual_cndmask_b32 v15, v15, v5, s14 :: v_dual_cndmask_b32 v14, v14, v4, s14
	v_dual_cndmask_b32 v17, v17, v5 :: v_dual_cndmask_b32 v16, v16, v4
	s_mov_b32 vcc_lo, s15
	s_wait_loadcnt 0x0
	scratch_store_b128 off, v[8:11], s92
	s_wait_xcnt 0x0
	s_mov_b32 s92, s47
	s_cbranch_vccnz .LBB8_1445
.LBB8_1446:                             ;   in Loop: Header=BB8_1375 Depth=4
	s_or_b32 exec_lo, exec_lo, s91
	scratch_load_b128 v[8:11], off, s33 offset:192
	s_wait_loadcnt 0x0
	v_lshlrev_b32_e32 v4, 16, v8
	s_delay_alu instid0(VALU_DEP_1) | instskip(NEXT) | instid1(VALU_DEP_1)
	v_mul_f32_e32 v5, v26, v4
	v_and_b32_e32 v4, 0x7f800000, v5
	s_delay_alu instid0(VALU_DEP_1) | instskip(SKIP_2) | instid1(SALU_CYCLE_1)
	v_cmp_ne_u32_e32 vcc_lo, 0x7f800000, v4
                                        ; implicit-def: $vgpr4
	s_wait_xcnt 0x0
	s_and_saveexec_b32 s14, vcc_lo
	s_xor_b32 s14, exec_lo, s14
; %bb.1447:                             ;   in Loop: Header=BB8_1375 Depth=4
	v_bfe_u32 v4, v5, 16, 1
	s_delay_alu instid0(VALU_DEP_1)
	v_add3_u32 v4, v5, v4, 0x7fff
                                        ; implicit-def: $vgpr5
; %bb.1448:                             ;   in Loop: Header=BB8_1375 Depth=4
	s_and_not1_saveexec_b32 s14, s14
; %bb.1449:                             ;   in Loop: Header=BB8_1375 Depth=4
	v_and_b32_e32 v4, 0xffff, v5
	v_or_b32_e32 v18, 0x10000, v5
	s_delay_alu instid0(VALU_DEP_2) | instskip(NEXT) | instid1(VALU_DEP_2)
	v_cmp_eq_u32_e32 vcc_lo, 0, v4
	v_cndmask_b32_e32 v4, v18, v5, vcc_lo
; %bb.1450:                             ;   in Loop: Header=BB8_1375 Depth=4
	s_or_b32 exec_lo, exec_lo, s14
	v_and_b32_e32 v5, 0xffff0000, v8
	s_mov_b32 s14, exec_lo
                                        ; implicit-def: $vgpr18
	s_delay_alu instid0(VALU_DEP_1) | instskip(NEXT) | instid1(VALU_DEP_1)
	v_mul_f32_e32 v5, v26, v5
	v_and_b32_e32 v8, 0x7f800000, v5
	s_delay_alu instid0(VALU_DEP_1)
	v_cmpx_ne_u32_e32 0x7f800000, v8
	s_xor_b32 s14, exec_lo, s14
; %bb.1451:                             ;   in Loop: Header=BB8_1375 Depth=4
	v_bfe_u32 v8, v5, 16, 1
	s_delay_alu instid0(VALU_DEP_1)
	v_add3_u32 v18, v5, v8, 0x7fff
                                        ; implicit-def: $vgpr5
; %bb.1452:                             ;   in Loop: Header=BB8_1375 Depth=4
	s_and_not1_saveexec_b32 s14, s14
; %bb.1453:                             ;   in Loop: Header=BB8_1375 Depth=4
	v_and_b32_e32 v8, 0xffff, v5
	v_or_b32_e32 v18, 0x10000, v5
	s_delay_alu instid0(VALU_DEP_2) | instskip(NEXT) | instid1(VALU_DEP_2)
	v_cmp_eq_u32_e32 vcc_lo, 0, v8
	v_cndmask_b32_e32 v18, v18, v5, vcc_lo
; %bb.1454:                             ;   in Loop: Header=BB8_1375 Depth=4
	s_or_b32 exec_lo, exec_lo, s14
	v_lshlrev_b32_e32 v5, 16, v9
	s_mov_b32 s14, exec_lo
                                        ; implicit-def: $vgpr33
	s_delay_alu instid0(VALU_DEP_1) | instskip(NEXT) | instid1(VALU_DEP_1)
	v_mul_f32_e32 v5, v26, v5
	v_and_b32_e32 v8, 0x7f800000, v5
	s_delay_alu instid0(VALU_DEP_1)
	v_cmpx_ne_u32_e32 0x7f800000, v8
	s_xor_b32 s14, exec_lo, s14
; %bb.1455:                             ;   in Loop: Header=BB8_1375 Depth=4
	v_bfe_u32 v8, v5, 16, 1
	s_delay_alu instid0(VALU_DEP_1)
	v_add3_u32 v33, v5, v8, 0x7fff
                                        ; implicit-def: $vgpr5
; %bb.1456:                             ;   in Loop: Header=BB8_1375 Depth=4
	s_and_not1_saveexec_b32 s14, s14
; %bb.1457:                             ;   in Loop: Header=BB8_1375 Depth=4
	v_and_b32_e32 v8, 0xffff, v5
	v_or_b32_e32 v19, 0x10000, v5
	s_delay_alu instid0(VALU_DEP_2) | instskip(NEXT) | instid1(VALU_DEP_2)
	v_cmp_eq_u32_e32 vcc_lo, 0, v8
	v_cndmask_b32_e32 v33, v19, v5, vcc_lo
; %bb.1458:                             ;   in Loop: Header=BB8_1375 Depth=4
	s_or_b32 exec_lo, exec_lo, s14
	v_and_b32_e32 v5, 0xffff0000, v9
	s_mov_b32 s14, exec_lo
                                        ; implicit-def: $vgpr29
	s_delay_alu instid0(VALU_DEP_1) | instskip(NEXT) | instid1(VALU_DEP_1)
	v_mul_f32_e32 v5, v26, v5
	v_and_b32_e32 v8, 0x7f800000, v5
	s_delay_alu instid0(VALU_DEP_1)
	v_cmpx_ne_u32_e32 0x7f800000, v8
	s_xor_b32 s14, exec_lo, s14
; %bb.1459:                             ;   in Loop: Header=BB8_1375 Depth=4
	v_bfe_u32 v8, v5, 16, 1
	s_delay_alu instid0(VALU_DEP_1)
	v_add3_u32 v29, v5, v8, 0x7fff
                                        ; implicit-def: $vgpr5
; %bb.1460:                             ;   in Loop: Header=BB8_1375 Depth=4
	s_and_not1_saveexec_b32 s14, s14
; %bb.1461:                             ;   in Loop: Header=BB8_1375 Depth=4
	v_and_b32_e32 v8, 0xffff, v5
	v_or_b32_e32 v9, 0x10000, v5
	s_delay_alu instid0(VALU_DEP_2) | instskip(NEXT) | instid1(VALU_DEP_2)
	v_cmp_eq_u32_e32 vcc_lo, 0, v8
	v_cndmask_b32_e32 v29, v9, v5, vcc_lo
; %bb.1462:                             ;   in Loop: Header=BB8_1375 Depth=4
	s_or_b32 exec_lo, exec_lo, s14
	v_lshlrev_b32_e32 v5, 16, v10
	s_mov_b32 s14, exec_lo
                                        ; implicit-def: $vgpr32
	s_delay_alu instid0(VALU_DEP_1) | instskip(NEXT) | instid1(VALU_DEP_1)
	v_mul_f32_e32 v5, v26, v5
	v_and_b32_e32 v8, 0x7f800000, v5
	s_delay_alu instid0(VALU_DEP_1)
	v_cmpx_ne_u32_e32 0x7f800000, v8
	s_xor_b32 s14, exec_lo, s14
; %bb.1463:                             ;   in Loop: Header=BB8_1375 Depth=4
	v_bfe_u32 v8, v5, 16, 1
	s_delay_alu instid0(VALU_DEP_1)
	v_add3_u32 v32, v5, v8, 0x7fff
                                        ; implicit-def: $vgpr5
; %bb.1464:                             ;   in Loop: Header=BB8_1375 Depth=4
	s_and_not1_saveexec_b32 s14, s14
; %bb.1465:                             ;   in Loop: Header=BB8_1375 Depth=4
	v_and_b32_e32 v8, 0xffff, v5
	v_or_b32_e32 v9, 0x10000, v5
	s_delay_alu instid0(VALU_DEP_2) | instskip(NEXT) | instid1(VALU_DEP_2)
	v_cmp_eq_u32_e32 vcc_lo, 0, v8
	v_cndmask_b32_e32 v32, v9, v5, vcc_lo
; %bb.1466:                             ;   in Loop: Header=BB8_1375 Depth=4
	s_or_b32 exec_lo, exec_lo, s14
	v_and_b32_e32 v5, 0xffff0000, v10
	s_mov_b32 s14, exec_lo
                                        ; implicit-def: $vgpr27
	s_delay_alu instid0(VALU_DEP_1) | instskip(NEXT) | instid1(VALU_DEP_1)
	v_mul_f32_e32 v5, v26, v5
	v_and_b32_e32 v8, 0x7f800000, v5
	s_delay_alu instid0(VALU_DEP_1)
	v_cmpx_ne_u32_e32 0x7f800000, v8
	s_xor_b32 s14, exec_lo, s14
; %bb.1467:                             ;   in Loop: Header=BB8_1375 Depth=4
	v_bfe_u32 v8, v5, 16, 1
	s_delay_alu instid0(VALU_DEP_1)
	v_add3_u32 v27, v5, v8, 0x7fff
                                        ; implicit-def: $vgpr5
; %bb.1468:                             ;   in Loop: Header=BB8_1375 Depth=4
	s_and_not1_saveexec_b32 s14, s14
; %bb.1469:                             ;   in Loop: Header=BB8_1375 Depth=4
	v_and_b32_e32 v8, 0xffff, v5
	v_or_b32_e32 v9, 0x10000, v5
	s_delay_alu instid0(VALU_DEP_2) | instskip(NEXT) | instid1(VALU_DEP_2)
	v_cmp_eq_u32_e32 vcc_lo, 0, v8
	v_cndmask_b32_e32 v27, v9, v5, vcc_lo
; %bb.1470:                             ;   in Loop: Header=BB8_1375 Depth=4
	s_or_b32 exec_lo, exec_lo, s14
	v_lshlrev_b32_e32 v5, 16, v11
	s_mov_b32 s14, exec_lo
                                        ; implicit-def: $vgpr28
	s_delay_alu instid0(VALU_DEP_1) | instskip(NEXT) | instid1(VALU_DEP_1)
	v_mul_f32_e32 v5, v26, v5
	v_and_b32_e32 v8, 0x7f800000, v5
	s_delay_alu instid0(VALU_DEP_1)
	v_cmpx_ne_u32_e32 0x7f800000, v8
	s_xor_b32 s14, exec_lo, s14
; %bb.1471:                             ;   in Loop: Header=BB8_1375 Depth=4
	v_bfe_u32 v8, v5, 16, 1
	s_delay_alu instid0(VALU_DEP_1)
	v_add3_u32 v28, v5, v8, 0x7fff
                                        ; implicit-def: $vgpr5
; %bb.1472:                             ;   in Loop: Header=BB8_1375 Depth=4
	s_and_not1_saveexec_b32 s14, s14
; %bb.1473:                             ;   in Loop: Header=BB8_1375 Depth=4
	v_and_b32_e32 v8, 0xffff, v5
	v_or_b32_e32 v9, 0x10000, v5
	s_delay_alu instid0(VALU_DEP_2) | instskip(NEXT) | instid1(VALU_DEP_2)
	v_cmp_eq_u32_e32 vcc_lo, 0, v8
	v_cndmask_b32_e32 v28, v9, v5, vcc_lo
; %bb.1474:                             ;   in Loop: Header=BB8_1375 Depth=4
	s_or_b32 exec_lo, exec_lo, s14
	v_and_b32_e32 v5, 0xffff0000, v11
	s_delay_alu instid0(VALU_DEP_1) | instskip(NEXT) | instid1(VALU_DEP_1)
	v_mul_f32_e32 v8, v26, v5
	v_and_b32_e32 v5, 0x7f800000, v8
	s_delay_alu instid0(VALU_DEP_1) | instskip(SKIP_1) | instid1(SALU_CYCLE_1)
	v_cmp_ne_u32_e32 vcc_lo, 0x7f800000, v5
                                        ; implicit-def: $vgpr5
	s_and_saveexec_b32 s14, vcc_lo
	s_xor_b32 s14, exec_lo, s14
; %bb.1475:                             ;   in Loop: Header=BB8_1375 Depth=4
	v_bfe_u32 v5, v8, 16, 1
	s_delay_alu instid0(VALU_DEP_1)
	v_add3_u32 v5, v8, v5, 0x7fff
                                        ; implicit-def: $vgpr8
; %bb.1476:                             ;   in Loop: Header=BB8_1375 Depth=4
	s_and_not1_saveexec_b32 s14, s14
; %bb.1477:                             ;   in Loop: Header=BB8_1375 Depth=4
	v_and_b32_e32 v5, 0xffff, v8
	v_or_b32_e32 v9, 0x10000, v8
	s_delay_alu instid0(VALU_DEP_2) | instskip(NEXT) | instid1(VALU_DEP_2)
	v_cmp_eq_u32_e32 vcc_lo, 0, v5
	v_cndmask_b32_e32 v5, v9, v8, vcc_lo
; %bb.1478:                             ;   in Loop: Header=BB8_1375 Depth=4
	s_or_b32 exec_lo, exec_lo, s14
	scratch_load_b128 v[8:11], off, s33 offset:208
	v_and_b32_e32 v4, 0xffff0000, v4
	s_wait_loadcnt 0x0
	v_lshlrev_b32_e32 v19, 16, v8
	s_delay_alu instid0(VALU_DEP_1) | instskip(NEXT) | instid1(VALU_DEP_1)
	v_add_f32_e32 v19, v4, v19
	v_and_b32_e32 v4, 0x7f800000, v19
	s_delay_alu instid0(VALU_DEP_1) | instskip(SKIP_2) | instid1(SALU_CYCLE_1)
	v_cmp_ne_u32_e32 vcc_lo, 0x7f800000, v4
                                        ; implicit-def: $vgpr4
	s_wait_xcnt 0x0
	s_and_saveexec_b32 s14, vcc_lo
	s_xor_b32 s14, exec_lo, s14
; %bb.1479:                             ;   in Loop: Header=BB8_1375 Depth=4
	v_bfe_u32 v4, v19, 16, 1
	s_delay_alu instid0(VALU_DEP_1)
	v_add3_u32 v4, v19, v4, 0x7fff
                                        ; implicit-def: $vgpr19
; %bb.1480:                             ;   in Loop: Header=BB8_1375 Depth=4
	s_and_not1_saveexec_b32 s14, s14
; %bb.1481:                             ;   in Loop: Header=BB8_1375 Depth=4
	v_and_b32_e32 v4, 0xffff, v19
	v_or_b32_e32 v34, 0x10000, v19
	s_delay_alu instid0(VALU_DEP_2) | instskip(NEXT) | instid1(VALU_DEP_2)
	v_cmp_eq_u32_e32 vcc_lo, 0, v4
	v_cndmask_b32_e32 v4, v34, v19, vcc_lo
; %bb.1482:                             ;   in Loop: Header=BB8_1375 Depth=4
	s_or_b32 exec_lo, exec_lo, s14
	v_and_b32_e32 v19, 0xffff0000, v8
	v_and_b32_e32 v18, 0xffff0000, v18
	s_delay_alu instid0(VALU_DEP_2) | instskip(NEXT) | instid1(VALU_DEP_1)
	v_mov_b32_e32 v8, v19
	v_pk_add_f32 v[18:19], v[8:9], v[18:19]
	s_delay_alu instid0(VALU_DEP_1) | instskip(NEXT) | instid1(VALU_DEP_1)
	v_and_b32_e32 v8, 0x7f800000, v18
	v_cmp_ne_u32_e32 vcc_lo, 0x7f800000, v8
                                        ; implicit-def: $vgpr8
	s_and_saveexec_b32 s14, vcc_lo
	s_delay_alu instid0(SALU_CYCLE_1)
	s_xor_b32 s14, exec_lo, s14
; %bb.1483:                             ;   in Loop: Header=BB8_1375 Depth=4
	v_bfe_u32 v8, v18, 16, 1
	s_delay_alu instid0(VALU_DEP_1)
	v_add3_u32 v8, v18, v8, 0x7fff
                                        ; implicit-def: $vgpr18_vgpr19
; %bb.1484:                             ;   in Loop: Header=BB8_1375 Depth=4
	s_and_not1_saveexec_b32 s14, s14
; %bb.1485:                             ;   in Loop: Header=BB8_1375 Depth=4
	v_and_b32_e32 v8, 0xffff, v18
	v_or_b32_e32 v19, 0x10000, v18
	s_delay_alu instid0(VALU_DEP_2) | instskip(NEXT) | instid1(VALU_DEP_2)
	v_cmp_eq_u32_e32 vcc_lo, 0, v8
	v_cndmask_b32_e32 v8, v19, v18, vcc_lo
; %bb.1486:                             ;   in Loop: Header=BB8_1375 Depth=4
	s_or_b32 exec_lo, exec_lo, s14
	v_and_b32_e32 v18, 0xffff0000, v33
	v_lshlrev_b32_e32 v19, 16, v9
	s_delay_alu instid0(VALU_DEP_1) | instskip(NEXT) | instid1(VALU_DEP_1)
	v_add_f32_e32 v19, v18, v19
	v_and_b32_e32 v18, 0x7f800000, v19
	s_delay_alu instid0(VALU_DEP_1) | instskip(SKIP_1) | instid1(SALU_CYCLE_1)
	v_cmp_ne_u32_e32 vcc_lo, 0x7f800000, v18
                                        ; implicit-def: $vgpr18
	s_and_saveexec_b32 s14, vcc_lo
	s_xor_b32 s14, exec_lo, s14
; %bb.1487:                             ;   in Loop: Header=BB8_1375 Depth=4
	v_bfe_u32 v18, v19, 16, 1
	s_delay_alu instid0(VALU_DEP_1)
	v_add3_u32 v18, v19, v18, 0x7fff
                                        ; implicit-def: $vgpr19
; %bb.1488:                             ;   in Loop: Header=BB8_1375 Depth=4
	s_and_not1_saveexec_b32 s14, s14
; %bb.1489:                             ;   in Loop: Header=BB8_1375 Depth=4
	v_and_b32_e32 v18, 0xffff, v19
	v_or_b32_e32 v33, 0x10000, v19
	s_delay_alu instid0(VALU_DEP_2) | instskip(NEXT) | instid1(VALU_DEP_2)
	v_cmp_eq_u32_e32 vcc_lo, 0, v18
	v_cndmask_b32_e32 v18, v33, v19, vcc_lo
; %bb.1490:                             ;   in Loop: Header=BB8_1375 Depth=4
	s_or_b32 exec_lo, exec_lo, s14
	v_and_b32_e32 v9, 0xffff0000, v9
	v_and_b32_e32 v19, 0xffff0000, v29
	s_delay_alu instid0(VALU_DEP_1) | instskip(NEXT) | instid1(VALU_DEP_1)
	v_add_f32_e32 v19, v19, v9
	v_and_b32_e32 v9, 0x7f800000, v19
	s_delay_alu instid0(VALU_DEP_1) | instskip(SKIP_1) | instid1(SALU_CYCLE_1)
	v_cmp_ne_u32_e32 vcc_lo, 0x7f800000, v9
                                        ; implicit-def: $vgpr9
	s_and_saveexec_b32 s14, vcc_lo
	s_xor_b32 s14, exec_lo, s14
; %bb.1491:                             ;   in Loop: Header=BB8_1375 Depth=4
	v_bfe_u32 v9, v19, 16, 1
	s_delay_alu instid0(VALU_DEP_1)
	v_add3_u32 v9, v19, v9, 0x7fff
                                        ; implicit-def: $vgpr19
; %bb.1492:                             ;   in Loop: Header=BB8_1375 Depth=4
	s_and_not1_saveexec_b32 s14, s14
; %bb.1493:                             ;   in Loop: Header=BB8_1375 Depth=4
	v_and_b32_e32 v9, 0xffff, v19
	v_or_b32_e32 v29, 0x10000, v19
	s_delay_alu instid0(VALU_DEP_2) | instskip(NEXT) | instid1(VALU_DEP_2)
	v_cmp_eq_u32_e32 vcc_lo, 0, v9
	v_cndmask_b32_e32 v9, v29, v19, vcc_lo
; %bb.1494:                             ;   in Loop: Header=BB8_1375 Depth=4
	s_or_b32 exec_lo, exec_lo, s14
	v_and_b32_e32 v19, 0xffff0000, v32
	v_lshlrev_b32_e32 v29, 16, v10
	s_delay_alu instid0(VALU_DEP_1) | instskip(NEXT) | instid1(VALU_DEP_1)
	v_add_f32_e32 v29, v19, v29
	v_and_b32_e32 v19, 0x7f800000, v29
	s_delay_alu instid0(VALU_DEP_1) | instskip(SKIP_1) | instid1(SALU_CYCLE_1)
	v_cmp_ne_u32_e32 vcc_lo, 0x7f800000, v19
                                        ; implicit-def: $vgpr19
	s_and_saveexec_b32 s14, vcc_lo
	s_xor_b32 s14, exec_lo, s14
; %bb.1495:                             ;   in Loop: Header=BB8_1375 Depth=4
	v_bfe_u32 v19, v29, 16, 1
	s_delay_alu instid0(VALU_DEP_1)
	v_add3_u32 v19, v29, v19, 0x7fff
                                        ; implicit-def: $vgpr29
; %bb.1496:                             ;   in Loop: Header=BB8_1375 Depth=4
	s_and_not1_saveexec_b32 s14, s14
; %bb.1497:                             ;   in Loop: Header=BB8_1375 Depth=4
	v_and_b32_e32 v19, 0xffff, v29
	v_or_b32_e32 v32, 0x10000, v29
	s_delay_alu instid0(VALU_DEP_2) | instskip(NEXT) | instid1(VALU_DEP_2)
	v_cmp_eq_u32_e32 vcc_lo, 0, v19
	v_cndmask_b32_e32 v19, v32, v29, vcc_lo
; %bb.1498:                             ;   in Loop: Header=BB8_1375 Depth=4
	s_or_b32 exec_lo, exec_lo, s14
	v_and_b32_e32 v10, 0xffff0000, v10
	v_and_b32_e32 v27, 0xffff0000, v27
	s_delay_alu instid0(VALU_DEP_1) | instskip(NEXT) | instid1(VALU_DEP_1)
	v_add_f32_e32 v27, v27, v10
	v_and_b32_e32 v10, 0x7f800000, v27
	s_delay_alu instid0(VALU_DEP_1) | instskip(SKIP_1) | instid1(SALU_CYCLE_1)
	v_cmp_ne_u32_e32 vcc_lo, 0x7f800000, v10
                                        ; implicit-def: $vgpr10
	s_and_saveexec_b32 s14, vcc_lo
	s_xor_b32 s14, exec_lo, s14
; %bb.1499:                             ;   in Loop: Header=BB8_1375 Depth=4
	v_bfe_u32 v10, v27, 16, 1
	s_delay_alu instid0(VALU_DEP_1)
	v_add3_u32 v10, v27, v10, 0x7fff
                                        ; implicit-def: $vgpr27
; %bb.1500:                             ;   in Loop: Header=BB8_1375 Depth=4
	s_and_not1_saveexec_b32 s14, s14
; %bb.1501:                             ;   in Loop: Header=BB8_1375 Depth=4
	v_and_b32_e32 v10, 0xffff, v27
	v_or_b32_e32 v29, 0x10000, v27
	s_delay_alu instid0(VALU_DEP_2) | instskip(NEXT) | instid1(VALU_DEP_2)
	v_cmp_eq_u32_e32 vcc_lo, 0, v10
	v_cndmask_b32_e32 v10, v29, v27, vcc_lo
; %bb.1502:                             ;   in Loop: Header=BB8_1375 Depth=4
	s_or_b32 exec_lo, exec_lo, s14
	v_and_b32_e32 v27, 0xffff0000, v28
	v_lshlrev_b32_e32 v28, 16, v11
	s_delay_alu instid0(VALU_DEP_1) | instskip(NEXT) | instid1(VALU_DEP_1)
	v_add_f32_e32 v28, v27, v28
	v_and_b32_e32 v27, 0x7f800000, v28
	s_delay_alu instid0(VALU_DEP_1) | instskip(SKIP_1) | instid1(SALU_CYCLE_1)
	v_cmp_ne_u32_e32 vcc_lo, 0x7f800000, v27
                                        ; implicit-def: $vgpr27
	s_and_saveexec_b32 s14, vcc_lo
	s_xor_b32 s14, exec_lo, s14
; %bb.1503:                             ;   in Loop: Header=BB8_1375 Depth=4
	v_bfe_u32 v27, v28, 16, 1
	s_delay_alu instid0(VALU_DEP_1)
	v_add3_u32 v27, v28, v27, 0x7fff
                                        ; implicit-def: $vgpr28
; %bb.1504:                             ;   in Loop: Header=BB8_1375 Depth=4
	s_and_not1_saveexec_b32 s14, s14
; %bb.1505:                             ;   in Loop: Header=BB8_1375 Depth=4
	v_and_b32_e32 v27, 0xffff, v28
	v_or_b32_e32 v29, 0x10000, v28
	s_delay_alu instid0(VALU_DEP_2) | instskip(NEXT) | instid1(VALU_DEP_2)
	v_cmp_eq_u32_e32 vcc_lo, 0, v27
	v_cndmask_b32_e32 v27, v29, v28, vcc_lo
; %bb.1506:                             ;   in Loop: Header=BB8_1375 Depth=4
	s_or_b32 exec_lo, exec_lo, s14
	v_and_b32_e32 v11, 0xffff0000, v11
	v_and_b32_e32 v5, 0xffff0000, v5
	s_delay_alu instid0(VALU_DEP_1) | instskip(NEXT) | instid1(VALU_DEP_1)
	v_add_f32_e32 v11, v5, v11
	v_and_b32_e32 v5, 0x7f800000, v11
	s_delay_alu instid0(VALU_DEP_1) | instskip(SKIP_1) | instid1(SALU_CYCLE_1)
	v_cmp_ne_u32_e32 vcc_lo, 0x7f800000, v5
                                        ; implicit-def: $vgpr5
	s_and_saveexec_b32 s14, vcc_lo
	s_xor_b32 s14, exec_lo, s14
; %bb.1507:                             ;   in Loop: Header=BB8_1375 Depth=4
	v_bfe_u32 v5, v11, 16, 1
	s_delay_alu instid0(VALU_DEP_1)
	v_add3_u32 v5, v11, v5, 0x7fff
                                        ; implicit-def: $vgpr11
; %bb.1508:                             ;   in Loop: Header=BB8_1375 Depth=4
	s_and_not1_saveexec_b32 s14, s14
; %bb.1509:                             ;   in Loop: Header=BB8_1375 Depth=4
	v_and_b32_e32 v5, 0xffff, v11
	v_or_b32_e32 v28, 0x10000, v11
	s_delay_alu instid0(VALU_DEP_2) | instskip(NEXT) | instid1(VALU_DEP_2)
	v_cmp_eq_u32_e32 vcc_lo, 0, v5
	v_cndmask_b32_e32 v5, v28, v11, vcc_lo
; %bb.1510:                             ;   in Loop: Header=BB8_1375 Depth=4
	s_or_b32 exec_lo, exec_lo, s14
	v_dual_lshrrev_b32 v11, 16, v18 :: v_dual_lshrrev_b32 v4, 16, v4
	v_dual_lshrrev_b32 v18, 16, v19 :: v_dual_sub_nc_u32 v24, v24, v84
	v_lshrrev_b32_e32 v19, 16, v27
	s_delay_alu instid0(VALU_DEP_3) | instskip(NEXT) | instid1(VALU_DEP_4)
	v_and_or_b32 v9, 0xffff0000, v9, v11
	v_and_or_b32 v8, 0xffff0000, v8, v4
	s_delay_alu instid0(VALU_DEP_4) | instskip(NEXT) | instid1(VALU_DEP_4)
	v_and_or_b32 v10, 0xffff0000, v10, v18
	v_and_or_b32 v11, 0xffff0000, v5, v19
	global_store_b128 v[12:13], v[8:11], off th:TH_STORE_NT
	s_wait_xcnt 0x0
	v_add_nc_u64_e32 v[12:13], 0x200, v[12:13]
	scratch_store_b128 off, v[8:11], s33 offset:192
	s_wait_xcnt 0x0
	s_and_saveexec_b32 s14, s90
	s_cbranch_execz .LBB8_1374
; %bb.1511:                             ;   in Loop: Header=BB8_1375 Depth=4
	v_add_nc_u64_e32 v[14:15], v[14:15], v[116:117]
	v_add_nc_u64_e32 v[16:17], v[16:17], v[116:117]
	;; [unrolled: 1-line block ×3, first 2 shown]
	v_dual_sub_nc_u32 v25, v25, v122 :: v_dual_sub_nc_u32 v24, v24, v84
	s_branch .LBB8_1374
.LBB8_1512:                             ;   in Loop: Header=BB8_895 Depth=3
	s_or_b32 exec_lo, exec_lo, s88
	s_delay_alu instid0(SALU_CYCLE_1)
	s_and_b32 s15, s89, exec_lo
.LBB8_1513:                             ;   in Loop: Header=BB8_895 Depth=3
	s_or_b32 exec_lo, exec_lo, s79
	s_and_saveexec_b32 s14, s15
	s_cbranch_execz .LBB8_1579
; %bb.1514:                             ;   in Loop: Header=BB8_895 Depth=3
	s_trap 2
	scratch_load_b128 v[8:11], off, s33 offset:224
	ds_load_b32 v4, v0
	s_wait_dscnt 0x0
	v_lshlrev_b32_e32 v4, 16, v4
	s_wait_loadcnt 0x0
	v_lshlrev_b32_e32 v5, 16, v8
	s_delay_alu instid0(VALU_DEP_1) | instskip(NEXT) | instid1(VALU_DEP_1)
	v_mul_f32_e32 v14, v4, v5
	v_and_b32_e32 v5, 0x7f800000, v14
	s_delay_alu instid0(VALU_DEP_1) | instskip(SKIP_2) | instid1(SALU_CYCLE_1)
	v_cmp_ne_u32_e32 vcc_lo, 0x7f800000, v5
                                        ; implicit-def: $vgpr5
	s_wait_xcnt 0x0
	s_and_saveexec_b32 s15, vcc_lo
	s_xor_b32 s15, exec_lo, s15
; %bb.1515:                             ;   in Loop: Header=BB8_895 Depth=3
	v_bfe_u32 v5, v14, 16, 1
	s_delay_alu instid0(VALU_DEP_1)
	v_add3_u32 v5, v14, v5, 0x7fff
                                        ; implicit-def: $vgpr14
; %bb.1516:                             ;   in Loop: Header=BB8_895 Depth=3
	s_and_not1_saveexec_b32 s15, s15
; %bb.1517:                             ;   in Loop: Header=BB8_895 Depth=3
	v_and_b32_e32 v5, 0xffff, v14
	v_or_b32_e32 v15, 0x10000, v14
	s_delay_alu instid0(VALU_DEP_2) | instskip(NEXT) | instid1(VALU_DEP_2)
	v_cmp_eq_u32_e32 vcc_lo, 0, v5
	v_cndmask_b32_e32 v5, v15, v14, vcc_lo
; %bb.1518:                             ;   in Loop: Header=BB8_895 Depth=3
	s_or_b32 exec_lo, exec_lo, s15
	v_and_b32_e32 v8, 0xffff0000, v8
	s_delay_alu instid0(VALU_DEP_1) | instskip(NEXT) | instid1(VALU_DEP_1)
	v_mul_f32_e32 v8, v4, v8
	v_and_b32_e32 v14, 0x7f800000, v8
	s_delay_alu instid0(VALU_DEP_1) | instskip(SKIP_1) | instid1(SALU_CYCLE_1)
	v_cmp_ne_u32_e32 vcc_lo, 0x7f800000, v14
                                        ; implicit-def: $vgpr14
	s_and_saveexec_b32 s15, vcc_lo
	s_xor_b32 s15, exec_lo, s15
; %bb.1519:                             ;   in Loop: Header=BB8_895 Depth=3
	v_bfe_u32 v14, v8, 16, 1
	s_delay_alu instid0(VALU_DEP_1)
	v_add3_u32 v14, v8, v14, 0x7fff
                                        ; implicit-def: $vgpr8
; %bb.1520:                             ;   in Loop: Header=BB8_895 Depth=3
	s_and_not1_saveexec_b32 s15, s15
; %bb.1521:                             ;   in Loop: Header=BB8_895 Depth=3
	v_and_b32_e32 v14, 0xffff, v8
	v_or_b32_e32 v15, 0x10000, v8
	s_delay_alu instid0(VALU_DEP_2) | instskip(NEXT) | instid1(VALU_DEP_2)
	v_cmp_eq_u32_e32 vcc_lo, 0, v14
	v_cndmask_b32_e32 v14, v15, v8, vcc_lo
; %bb.1522:                             ;   in Loop: Header=BB8_895 Depth=3
	s_or_b32 exec_lo, exec_lo, s15
	v_lshlrev_b32_e32 v8, 16, v9
	s_mov_b32 s15, exec_lo
                                        ; implicit-def: $vgpr25
	s_delay_alu instid0(VALU_DEP_1) | instskip(NEXT) | instid1(VALU_DEP_1)
	v_mul_f32_e32 v8, v4, v8
	v_and_b32_e32 v15, 0x7f800000, v8
	s_delay_alu instid0(VALU_DEP_1)
	v_cmpx_ne_u32_e32 0x7f800000, v15
	s_xor_b32 s15, exec_lo, s15
; %bb.1523:                             ;   in Loop: Header=BB8_895 Depth=3
	v_bfe_u32 v15, v8, 16, 1
	s_delay_alu instid0(VALU_DEP_1)
	v_add3_u32 v25, v8, v15, 0x7fff
                                        ; implicit-def: $vgpr8
; %bb.1524:                             ;   in Loop: Header=BB8_895 Depth=3
	s_and_not1_saveexec_b32 s15, s15
; %bb.1525:                             ;   in Loop: Header=BB8_895 Depth=3
	v_and_b32_e32 v15, 0xffff, v8
	v_or_b32_e32 v16, 0x10000, v8
	s_delay_alu instid0(VALU_DEP_2) | instskip(NEXT) | instid1(VALU_DEP_2)
	v_cmp_eq_u32_e32 vcc_lo, 0, v15
	v_cndmask_b32_e32 v25, v16, v8, vcc_lo
; %bb.1526:                             ;   in Loop: Header=BB8_895 Depth=3
	s_or_b32 exec_lo, exec_lo, s15
	v_and_b32_e32 v8, 0xffff0000, v9
	s_mov_b32 s15, exec_lo
                                        ; implicit-def: $vgpr18
	s_delay_alu instid0(VALU_DEP_1) | instskip(NEXT) | instid1(VALU_DEP_1)
	v_mul_f32_e32 v8, v4, v8
	v_and_b32_e32 v9, 0x7f800000, v8
	s_delay_alu instid0(VALU_DEP_1)
	v_cmpx_ne_u32_e32 0x7f800000, v9
	s_xor_b32 s15, exec_lo, s15
; %bb.1527:                             ;   in Loop: Header=BB8_895 Depth=3
	v_bfe_u32 v9, v8, 16, 1
	s_delay_alu instid0(VALU_DEP_1)
	v_add3_u32 v18, v8, v9, 0x7fff
                                        ; implicit-def: $vgpr8
; %bb.1528:                             ;   in Loop: Header=BB8_895 Depth=3
	s_and_not1_saveexec_b32 s15, s15
; %bb.1529:                             ;   in Loop: Header=BB8_895 Depth=3
	v_and_b32_e32 v9, 0xffff, v8
	v_or_b32_e32 v15, 0x10000, v8
	s_delay_alu instid0(VALU_DEP_2) | instskip(NEXT) | instid1(VALU_DEP_2)
	v_cmp_eq_u32_e32 vcc_lo, 0, v9
	v_cndmask_b32_e32 v18, v15, v8, vcc_lo
; %bb.1530:                             ;   in Loop: Header=BB8_895 Depth=3
	s_or_b32 exec_lo, exec_lo, s15
	v_lshlrev_b32_e32 v8, 16, v10
	s_mov_b32 s15, exec_lo
                                        ; implicit-def: $vgpr19
	s_delay_alu instid0(VALU_DEP_1) | instskip(NEXT) | instid1(VALU_DEP_1)
	v_mul_f32_e32 v8, v4, v8
	v_and_b32_e32 v9, 0x7f800000, v8
	s_delay_alu instid0(VALU_DEP_1)
	v_cmpx_ne_u32_e32 0x7f800000, v9
	s_xor_b32 s15, exec_lo, s15
; %bb.1531:                             ;   in Loop: Header=BB8_895 Depth=3
	v_bfe_u32 v9, v8, 16, 1
	s_delay_alu instid0(VALU_DEP_1)
	v_add3_u32 v19, v8, v9, 0x7fff
                                        ; implicit-def: $vgpr8
; %bb.1532:                             ;   in Loop: Header=BB8_895 Depth=3
	s_and_not1_saveexec_b32 s15, s15
; %bb.1533:                             ;   in Loop: Header=BB8_895 Depth=3
	v_and_b32_e32 v9, 0xffff, v8
	v_or_b32_e32 v15, 0x10000, v8
	s_delay_alu instid0(VALU_DEP_2) | instskip(NEXT) | instid1(VALU_DEP_2)
	v_cmp_eq_u32_e32 vcc_lo, 0, v9
	v_cndmask_b32_e32 v19, v15, v8, vcc_lo
; %bb.1534:                             ;   in Loop: Header=BB8_895 Depth=3
	s_or_b32 exec_lo, exec_lo, s15
	v_and_b32_e32 v8, 0xffff0000, v10
	s_mov_b32 s15, exec_lo
                                        ; implicit-def: $vgpr16
	s_delay_alu instid0(VALU_DEP_1) | instskip(NEXT) | instid1(VALU_DEP_1)
	v_mul_f32_e32 v8, v4, v8
	v_and_b32_e32 v9, 0x7f800000, v8
	s_delay_alu instid0(VALU_DEP_1)
	v_cmpx_ne_u32_e32 0x7f800000, v9
	s_xor_b32 s15, exec_lo, s15
; %bb.1535:                             ;   in Loop: Header=BB8_895 Depth=3
	v_bfe_u32 v9, v8, 16, 1
	s_delay_alu instid0(VALU_DEP_1)
	v_add3_u32 v16, v8, v9, 0x7fff
                                        ; implicit-def: $vgpr8
; %bb.1536:                             ;   in Loop: Header=BB8_895 Depth=3
	s_and_not1_saveexec_b32 s15, s15
; %bb.1537:                             ;   in Loop: Header=BB8_895 Depth=3
	v_and_b32_e32 v9, 0xffff, v8
	v_or_b32_e32 v10, 0x10000, v8
	s_delay_alu instid0(VALU_DEP_2) | instskip(NEXT) | instid1(VALU_DEP_2)
	v_cmp_eq_u32_e32 vcc_lo, 0, v9
	v_cndmask_b32_e32 v16, v10, v8, vcc_lo
; %bb.1538:                             ;   in Loop: Header=BB8_895 Depth=3
	s_or_b32 exec_lo, exec_lo, s15
	v_lshlrev_b32_e32 v8, 16, v11
	s_mov_b32 s15, exec_lo
                                        ; implicit-def: $vgpr17
	s_delay_alu instid0(VALU_DEP_1) | instskip(NEXT) | instid1(VALU_DEP_1)
	v_mul_f32_e32 v8, v4, v8
	v_and_b32_e32 v9, 0x7f800000, v8
	s_delay_alu instid0(VALU_DEP_1)
	v_cmpx_ne_u32_e32 0x7f800000, v9
	s_xor_b32 s15, exec_lo, s15
; %bb.1539:                             ;   in Loop: Header=BB8_895 Depth=3
	v_bfe_u32 v9, v8, 16, 1
	s_delay_alu instid0(VALU_DEP_1)
	v_add3_u32 v17, v8, v9, 0x7fff
                                        ; implicit-def: $vgpr8
; %bb.1540:                             ;   in Loop: Header=BB8_895 Depth=3
	s_and_not1_saveexec_b32 s15, s15
; %bb.1541:                             ;   in Loop: Header=BB8_895 Depth=3
	v_and_b32_e32 v9, 0xffff, v8
	v_or_b32_e32 v10, 0x10000, v8
	s_delay_alu instid0(VALU_DEP_2) | instskip(NEXT) | instid1(VALU_DEP_2)
	v_cmp_eq_u32_e32 vcc_lo, 0, v9
	v_cndmask_b32_e32 v17, v10, v8, vcc_lo
; %bb.1542:                             ;   in Loop: Header=BB8_895 Depth=3
	s_or_b32 exec_lo, exec_lo, s15
	v_and_b32_e32 v8, 0xffff0000, v11
	s_delay_alu instid0(VALU_DEP_1) | instskip(NEXT) | instid1(VALU_DEP_1)
	v_mul_f32_e32 v8, v4, v8
	v_and_b32_e32 v4, 0x7f800000, v8
	s_delay_alu instid0(VALU_DEP_1) | instskip(SKIP_1) | instid1(SALU_CYCLE_1)
	v_cmp_ne_u32_e32 vcc_lo, 0x7f800000, v4
                                        ; implicit-def: $vgpr4
	s_and_saveexec_b32 s15, vcc_lo
	s_xor_b32 s15, exec_lo, s15
; %bb.1543:                             ;   in Loop: Header=BB8_895 Depth=3
	v_bfe_u32 v4, v8, 16, 1
	s_delay_alu instid0(VALU_DEP_1)
	v_add3_u32 v4, v8, v4, 0x7fff
                                        ; implicit-def: $vgpr8
; %bb.1544:                             ;   in Loop: Header=BB8_895 Depth=3
	s_and_not1_saveexec_b32 s15, s15
; %bb.1545:                             ;   in Loop: Header=BB8_895 Depth=3
	v_and_b32_e32 v4, 0xffff, v8
	v_or_b32_e32 v9, 0x10000, v8
	s_delay_alu instid0(VALU_DEP_2) | instskip(NEXT) | instid1(VALU_DEP_2)
	v_cmp_eq_u32_e32 vcc_lo, 0, v4
	v_cndmask_b32_e32 v4, v9, v8, vcc_lo
; %bb.1546:                             ;   in Loop: Header=BB8_895 Depth=3
	s_or_b32 exec_lo, exec_lo, s15
	scratch_load_b128 v[8:11], off, s33 offset:240
	v_and_b32_e32 v5, 0xffff0000, v5
	s_wait_loadcnt 0x0
	v_lshlrev_b32_e32 v15, 16, v8
	s_delay_alu instid0(VALU_DEP_1) | instskip(NEXT) | instid1(VALU_DEP_1)
	v_add_f32_e32 v15, v5, v15
	v_and_b32_e32 v5, 0x7f800000, v15
	s_delay_alu instid0(VALU_DEP_1) | instskip(SKIP_2) | instid1(SALU_CYCLE_1)
	v_cmp_ne_u32_e32 vcc_lo, 0x7f800000, v5
                                        ; implicit-def: $vgpr5
	s_wait_xcnt 0x0
	s_and_saveexec_b32 s15, vcc_lo
	s_xor_b32 s15, exec_lo, s15
; %bb.1547:                             ;   in Loop: Header=BB8_895 Depth=3
	v_bfe_u32 v5, v15, 16, 1
	s_delay_alu instid0(VALU_DEP_1)
	v_add3_u32 v5, v15, v5, 0x7fff
                                        ; implicit-def: $vgpr15
; %bb.1548:                             ;   in Loop: Header=BB8_895 Depth=3
	s_and_not1_saveexec_b32 s15, s15
; %bb.1549:                             ;   in Loop: Header=BB8_895 Depth=3
	v_and_b32_e32 v5, 0xffff, v15
	v_or_b32_e32 v26, 0x10000, v15
	s_delay_alu instid0(VALU_DEP_2) | instskip(NEXT) | instid1(VALU_DEP_2)
	v_cmp_eq_u32_e32 vcc_lo, 0, v5
	v_cndmask_b32_e32 v5, v26, v15, vcc_lo
; %bb.1550:                             ;   in Loop: Header=BB8_895 Depth=3
	s_or_b32 exec_lo, exec_lo, s15
	v_and_b32_e32 v15, 0xffff0000, v8
	v_and_b32_e32 v14, 0xffff0000, v14
	s_delay_alu instid0(VALU_DEP_2) | instskip(NEXT) | instid1(VALU_DEP_1)
	v_mov_b32_e32 v8, v15
	v_pk_add_f32 v[14:15], v[8:9], v[14:15]
	s_delay_alu instid0(VALU_DEP_1) | instskip(NEXT) | instid1(VALU_DEP_1)
	v_and_b32_e32 v8, 0x7f800000, v14
	v_cmp_ne_u32_e32 vcc_lo, 0x7f800000, v8
                                        ; implicit-def: $vgpr8
	s_and_saveexec_b32 s15, vcc_lo
	s_delay_alu instid0(SALU_CYCLE_1)
	s_xor_b32 s15, exec_lo, s15
; %bb.1551:                             ;   in Loop: Header=BB8_895 Depth=3
	v_bfe_u32 v8, v14, 16, 1
	s_delay_alu instid0(VALU_DEP_1)
	v_add3_u32 v8, v14, v8, 0x7fff
                                        ; implicit-def: $vgpr14_vgpr15
; %bb.1552:                             ;   in Loop: Header=BB8_895 Depth=3
	s_and_not1_saveexec_b32 s15, s15
; %bb.1553:                             ;   in Loop: Header=BB8_895 Depth=3
	v_and_b32_e32 v8, 0xffff, v14
	v_or_b32_e32 v15, 0x10000, v14
	s_delay_alu instid0(VALU_DEP_2) | instskip(NEXT) | instid1(VALU_DEP_2)
	v_cmp_eq_u32_e32 vcc_lo, 0, v8
	v_cndmask_b32_e32 v8, v15, v14, vcc_lo
; %bb.1554:                             ;   in Loop: Header=BB8_895 Depth=3
	s_or_b32 exec_lo, exec_lo, s15
	v_and_b32_e32 v14, 0xffff0000, v25
	v_lshlrev_b32_e32 v15, 16, v9
	s_delay_alu instid0(VALU_DEP_1) | instskip(NEXT) | instid1(VALU_DEP_1)
	v_add_f32_e32 v15, v14, v15
	v_and_b32_e32 v14, 0x7f800000, v15
	s_delay_alu instid0(VALU_DEP_1) | instskip(SKIP_1) | instid1(SALU_CYCLE_1)
	v_cmp_ne_u32_e32 vcc_lo, 0x7f800000, v14
                                        ; implicit-def: $vgpr14
	s_and_saveexec_b32 s15, vcc_lo
	s_xor_b32 s15, exec_lo, s15
; %bb.1555:                             ;   in Loop: Header=BB8_895 Depth=3
	v_bfe_u32 v14, v15, 16, 1
	s_delay_alu instid0(VALU_DEP_1)
	v_add3_u32 v14, v15, v14, 0x7fff
                                        ; implicit-def: $vgpr15
; %bb.1556:                             ;   in Loop: Header=BB8_895 Depth=3
	s_and_not1_saveexec_b32 s15, s15
; %bb.1557:                             ;   in Loop: Header=BB8_895 Depth=3
	v_and_b32_e32 v14, 0xffff, v15
	v_or_b32_e32 v25, 0x10000, v15
	s_delay_alu instid0(VALU_DEP_2) | instskip(NEXT) | instid1(VALU_DEP_2)
	v_cmp_eq_u32_e32 vcc_lo, 0, v14
	v_cndmask_b32_e32 v14, v25, v15, vcc_lo
; %bb.1558:                             ;   in Loop: Header=BB8_895 Depth=3
	s_or_b32 exec_lo, exec_lo, s15
	v_and_b32_e32 v9, 0xffff0000, v9
	v_and_b32_e32 v15, 0xffff0000, v18
	s_delay_alu instid0(VALU_DEP_1) | instskip(NEXT) | instid1(VALU_DEP_1)
	v_add_f32_e32 v15, v15, v9
	v_and_b32_e32 v9, 0x7f800000, v15
	s_delay_alu instid0(VALU_DEP_1) | instskip(SKIP_1) | instid1(SALU_CYCLE_1)
	v_cmp_ne_u32_e32 vcc_lo, 0x7f800000, v9
                                        ; implicit-def: $vgpr9
	s_and_saveexec_b32 s15, vcc_lo
	s_xor_b32 s15, exec_lo, s15
; %bb.1559:                             ;   in Loop: Header=BB8_895 Depth=3
	v_bfe_u32 v9, v15, 16, 1
	s_delay_alu instid0(VALU_DEP_1)
	v_add3_u32 v9, v15, v9, 0x7fff
                                        ; implicit-def: $vgpr15
; %bb.1560:                             ;   in Loop: Header=BB8_895 Depth=3
	s_and_not1_saveexec_b32 s15, s15
; %bb.1561:                             ;   in Loop: Header=BB8_895 Depth=3
	v_and_b32_e32 v9, 0xffff, v15
	v_or_b32_e32 v18, 0x10000, v15
	s_delay_alu instid0(VALU_DEP_2) | instskip(NEXT) | instid1(VALU_DEP_2)
	v_cmp_eq_u32_e32 vcc_lo, 0, v9
	v_cndmask_b32_e32 v9, v18, v15, vcc_lo
; %bb.1562:                             ;   in Loop: Header=BB8_895 Depth=3
	s_or_b32 exec_lo, exec_lo, s15
	v_and_b32_e32 v15, 0xffff0000, v19
	v_lshlrev_b32_e32 v18, 16, v10
	s_delay_alu instid0(VALU_DEP_1) | instskip(NEXT) | instid1(VALU_DEP_1)
	v_add_f32_e32 v18, v15, v18
	v_and_b32_e32 v15, 0x7f800000, v18
	s_delay_alu instid0(VALU_DEP_1) | instskip(SKIP_1) | instid1(SALU_CYCLE_1)
	v_cmp_ne_u32_e32 vcc_lo, 0x7f800000, v15
                                        ; implicit-def: $vgpr15
	s_and_saveexec_b32 s15, vcc_lo
	s_xor_b32 s15, exec_lo, s15
; %bb.1563:                             ;   in Loop: Header=BB8_895 Depth=3
	v_bfe_u32 v15, v18, 16, 1
	s_delay_alu instid0(VALU_DEP_1)
	v_add3_u32 v15, v18, v15, 0x7fff
                                        ; implicit-def: $vgpr18
; %bb.1564:                             ;   in Loop: Header=BB8_895 Depth=3
	s_and_not1_saveexec_b32 s15, s15
; %bb.1565:                             ;   in Loop: Header=BB8_895 Depth=3
	v_and_b32_e32 v15, 0xffff, v18
	v_or_b32_e32 v19, 0x10000, v18
	s_delay_alu instid0(VALU_DEP_2) | instskip(NEXT) | instid1(VALU_DEP_2)
	v_cmp_eq_u32_e32 vcc_lo, 0, v15
	v_cndmask_b32_e32 v15, v19, v18, vcc_lo
; %bb.1566:                             ;   in Loop: Header=BB8_895 Depth=3
	s_or_b32 exec_lo, exec_lo, s15
	v_and_b32_e32 v10, 0xffff0000, v10
	v_and_b32_e32 v16, 0xffff0000, v16
	s_delay_alu instid0(VALU_DEP_1) | instskip(NEXT) | instid1(VALU_DEP_1)
	v_add_f32_e32 v16, v16, v10
	v_and_b32_e32 v10, 0x7f800000, v16
	s_delay_alu instid0(VALU_DEP_1) | instskip(SKIP_1) | instid1(SALU_CYCLE_1)
	v_cmp_ne_u32_e32 vcc_lo, 0x7f800000, v10
                                        ; implicit-def: $vgpr10
	s_and_saveexec_b32 s15, vcc_lo
	s_xor_b32 s15, exec_lo, s15
; %bb.1567:                             ;   in Loop: Header=BB8_895 Depth=3
	v_bfe_u32 v10, v16, 16, 1
	s_delay_alu instid0(VALU_DEP_1)
	v_add3_u32 v10, v16, v10, 0x7fff
                                        ; implicit-def: $vgpr16
; %bb.1568:                             ;   in Loop: Header=BB8_895 Depth=3
	s_and_not1_saveexec_b32 s15, s15
; %bb.1569:                             ;   in Loop: Header=BB8_895 Depth=3
	v_and_b32_e32 v10, 0xffff, v16
	v_or_b32_e32 v18, 0x10000, v16
	s_delay_alu instid0(VALU_DEP_2) | instskip(NEXT) | instid1(VALU_DEP_2)
	v_cmp_eq_u32_e32 vcc_lo, 0, v10
	v_cndmask_b32_e32 v10, v18, v16, vcc_lo
; %bb.1570:                             ;   in Loop: Header=BB8_895 Depth=3
	s_or_b32 exec_lo, exec_lo, s15
	v_and_b32_e32 v16, 0xffff0000, v17
	v_lshlrev_b32_e32 v17, 16, v11
	s_delay_alu instid0(VALU_DEP_1) | instskip(NEXT) | instid1(VALU_DEP_1)
	v_add_f32_e32 v17, v16, v17
	v_and_b32_e32 v16, 0x7f800000, v17
	s_delay_alu instid0(VALU_DEP_1) | instskip(SKIP_1) | instid1(SALU_CYCLE_1)
	v_cmp_ne_u32_e32 vcc_lo, 0x7f800000, v16
                                        ; implicit-def: $vgpr16
	s_and_saveexec_b32 s15, vcc_lo
	s_xor_b32 s15, exec_lo, s15
; %bb.1571:                             ;   in Loop: Header=BB8_895 Depth=3
	v_bfe_u32 v16, v17, 16, 1
	s_delay_alu instid0(VALU_DEP_1)
	v_add3_u32 v16, v17, v16, 0x7fff
                                        ; implicit-def: $vgpr17
; %bb.1572:                             ;   in Loop: Header=BB8_895 Depth=3
	s_and_not1_saveexec_b32 s15, s15
; %bb.1573:                             ;   in Loop: Header=BB8_895 Depth=3
	v_and_b32_e32 v16, 0xffff, v17
	v_or_b32_e32 v18, 0x10000, v17
	s_delay_alu instid0(VALU_DEP_2) | instskip(NEXT) | instid1(VALU_DEP_2)
	v_cmp_eq_u32_e32 vcc_lo, 0, v16
	v_cndmask_b32_e32 v16, v18, v17, vcc_lo
; %bb.1574:                             ;   in Loop: Header=BB8_895 Depth=3
	s_or_b32 exec_lo, exec_lo, s15
	v_and_b32_e32 v11, 0xffff0000, v11
	v_and_b32_e32 v4, 0xffff0000, v4
	s_delay_alu instid0(VALU_DEP_1) | instskip(NEXT) | instid1(VALU_DEP_1)
	v_add_f32_e32 v11, v4, v11
	v_and_b32_e32 v4, 0x7f800000, v11
	s_delay_alu instid0(VALU_DEP_1) | instskip(SKIP_1) | instid1(SALU_CYCLE_1)
	v_cmp_ne_u32_e32 vcc_lo, 0x7f800000, v4
                                        ; implicit-def: $vgpr4
	s_and_saveexec_b32 s15, vcc_lo
	s_xor_b32 s15, exec_lo, s15
; %bb.1575:                             ;   in Loop: Header=BB8_895 Depth=3
	v_bfe_u32 v4, v11, 16, 1
	s_delay_alu instid0(VALU_DEP_1)
	v_add3_u32 v4, v11, v4, 0x7fff
                                        ; implicit-def: $vgpr11
; %bb.1576:                             ;   in Loop: Header=BB8_895 Depth=3
	s_and_not1_saveexec_b32 s15, s15
; %bb.1577:                             ;   in Loop: Header=BB8_895 Depth=3
	v_and_b32_e32 v4, 0xffff, v11
	v_or_b32_e32 v17, 0x10000, v11
	s_delay_alu instid0(VALU_DEP_2) | instskip(NEXT) | instid1(VALU_DEP_2)
	v_cmp_eq_u32_e32 vcc_lo, 0, v4
	v_cndmask_b32_e32 v4, v17, v11, vcc_lo
; %bb.1578:                             ;   in Loop: Header=BB8_895 Depth=3
	s_or_b32 exec_lo, exec_lo, s15
	v_dual_lshrrev_b32 v11, 16, v14 :: v_dual_lshrrev_b32 v5, 16, v5
	v_dual_lshrrev_b32 v14, 16, v15 :: v_dual_lshrrev_b32 v15, 16, v16
	s_delay_alu instid0(VALU_DEP_2) | instskip(NEXT) | instid1(VALU_DEP_3)
	v_and_or_b32 v9, 0xffff0000, v9, v11
	v_and_or_b32 v8, 0xffff0000, v8, v5
	s_delay_alu instid0(VALU_DEP_3) | instskip(NEXT) | instid1(VALU_DEP_4)
	v_and_or_b32 v10, 0xffff0000, v10, v14
	v_and_or_b32 v11, 0xffff0000, v4, v15
	global_store_b128 v[12:13], v[8:11], off th:TH_STORE_NT
.LBB8_1579:                             ;   in Loop: Header=BB8_895 Depth=3
	s_wait_xcnt 0x0
	s_or_b32 exec_lo, exec_lo, s14
	v_and_b32_e32 v5, 14, v73
	s_mov_b32 s15, s77
	s_mov_b32 s14, exec_lo
                                        ; implicit-def: $vgpr18
                                        ; implicit-def: $vgpr4
                                        ; implicit-def: $vgpr19
	s_delay_alu instid0(VALU_DEP_1) | instskip(NEXT) | instid1(VALU_DEP_1)
	v_cndmask_b32_e64 v73, v23, v5, s13
	v_cmpx_ne_u32_e32 0, v73
	s_cbranch_execz .LBB8_1581
; %bb.1580:                             ;   in Loop: Header=BB8_895 Depth=3
	v_cmp_lt_i32_e32 vcc_lo, 0, v24
	s_or_b32 s15, s77, exec_lo
	v_dual_cndmask_b32 v4, 0, v84 :: v_dual_sub_nc_u32 v5, v23, v5
	s_delay_alu instid0(VALU_DEP_1) | instskip(NEXT) | instid1(VALU_DEP_1)
	v_dual_cndmask_b32 v5, 0, v5, s13 :: v_dual_sub_nc_u32 v4, v4, v24
	v_add3_u32 v18, v22, v20, v5
	s_delay_alu instid0(VALU_DEP_2) | instskip(NEXT) | instid1(VALU_DEP_1)
	v_lshl_add_u32 v4, v4, 5, v21
	v_ashrrev_i32_e32 v8, 31, v4
	s_delay_alu instid0(VALU_DEP_1) | instskip(NEXT) | instid1(VALU_DEP_1)
	v_lshrrev_b32_e32 v8, 27, v8
	v_add_nc_u32_e32 v8, v4, v8
	s_delay_alu instid0(VALU_DEP_1) | instskip(NEXT) | instid1(VALU_DEP_1)
	v_and_b32_e32 v8, 0xffffffe0, v8
	v_sub_nc_u32_e32 v19, v4, v8
.LBB8_1581:                             ;   in Loop: Header=BB8_895 Depth=3
	s_or_b32 exec_lo, exec_lo, s14
	s_delay_alu instid0(SALU_CYCLE_1) | instskip(SKIP_1) | instid1(SALU_CYCLE_1)
	s_and_not1_b32 s13, s77, exec_lo
	s_and_b32 s14, s15, exec_lo
	s_or_b32 s77, s13, s14
.LBB8_1582:                             ;   in Loop: Header=BB8_895 Depth=3
	s_or_b32 exec_lo, exec_lo, s78
	s_and_saveexec_b32 s15, s77
	s_cbranch_execz .LBB8_1822
.LBB8_1583:                             ;   in Loop: Header=BB8_895 Depth=3
	s_delay_alu instid0(VALU_DEP_1) | instskip(SKIP_2) | instid1(VALU_DEP_3)
	v_dual_ashrrev_i32 v5, 31, v4 :: v_dual_ashrrev_i32 v8, 31, v73
	v_dual_mov_b32 v34, 0 :: v_dual_mov_b32 v29, 0
	v_dual_mov_b32 v17, 0 :: v_dual_mov_b32 v16, 0
	v_dual_lshrrev_b32 v5, 27, v5 :: v_dual_mov_b32 v39, 0
	s_delay_alu instid0(VALU_DEP_4) | instskip(NEXT) | instid1(VALU_DEP_2)
	v_dual_lshrrev_b32 v8, 23, v8 :: v_dual_mov_b32 v38, 0
	v_dual_mov_b32 v36, 0 :: v_dual_add_nc_u32 v4, v4, v5
	s_delay_alu instid0(VALU_DEP_2) | instskip(SKIP_1) | instid1(VALU_DEP_3)
	v_dual_lshlrev_b32 v5, 1, v19 :: v_dual_add_nc_u32 v8, v73, v8
	v_dual_mov_b32 v11, 0 :: v_dual_mov_b32 v37, 0
	v_dual_ashrrev_i32 v4, 5, v4 :: v_dual_mov_b32 v28, 0
	s_delay_alu instid0(VALU_DEP_3) | instskip(SKIP_1) | instid1(VALU_DEP_2)
	v_ashrrev_i32_e32 v20, 9, v8
	s_mov_b32 s14, 0
	v_dual_mov_b32 v35, 0 :: v_dual_lshlrev_b32 v9, 9, v4
	s_delay_alu instid0(VALU_DEP_2) | instskip(SKIP_1) | instid1(VALU_DEP_3)
	v_dual_mov_b32 v15, 0 :: v_dual_sub_nc_u32 v33, v20, v4
	v_dual_mov_b32 v4, 0 :: v_dual_mov_b32 v10, 0
	v_add3_u32 v12, v18, v5, v9
	v_mov_b32_e32 v5, 0
	s_mov_b32 s13, exec_lo
	s_delay_alu instid0(VALU_DEP_2) | instskip(NEXT) | instid1(VALU_DEP_1)
	v_dual_mov_b32 v14, 0 :: v_dual_ashrrev_i32 v13, 31, v12
	v_add_nc_u64_e32 v[8:9], v[88:89], v[12:13]
	v_cmpx_lt_i32_e32 0, v33
	s_cbranch_execz .LBB8_1719
; %bb.1584:                             ;   in Loop: Header=BB8_895 Depth=3
	s_trap 2
	ds_load_b64 v[4:5], v0
	v_add_nc_u64_e32 v[10:11], v[12:13], v[78:79]
	s_mov_b32 s41, 0
	s_mov_b32 s40, 0
                                        ; implicit-def: $sgpr14
                                        ; implicit-def: $vgpr106
                                        ; implicit-def: $vgpr52
                                        ; implicit-def: $vgpr95
                                        ; implicit-def: $vgpr93
                                        ; implicit-def: $vgpr90
                                        ; implicit-def: $vgpr51
                                        ; implicit-def: $vgpr49
                                        ; implicit-def: $vgpr48
                                        ; implicit-def: $vgpr21
                                        ; implicit-def: $vgpr22
                                        ; implicit-def: $vgpr23
                                        ; implicit-def: $vgpr24
                                        ; implicit-def: $vgpr25
                                        ; implicit-def: $vgpr26
                                        ; implicit-def: $vgpr27
                                        ; implicit-def: $vgpr32
	s_wait_dscnt 0x0
	v_add_nc_u64_e32 v[12:13], v[4:5], v[12:13]
	s_branch .LBB8_1586
.LBB8_1585:                             ;   in Loop: Header=BB8_1586 Depth=4
	s_or_b32 exec_lo, exec_lo, s77
	v_dual_cndmask_b32 v33, 0, v84, s41 :: v_dual_cndmask_b32 v55, 0, v45, s41
	v_add_nc_u64_e32 v[34:35], v[10:11], v[116:117]
	v_add_nc_u64_e32 v[36:37], v[12:13], v[116:117]
	v_cndmask_b32_e64 v54, 0x200, v44, s41
	s_delay_alu instid0(VALU_DEP_4)
	v_sub_nc_u32_e32 v33, v28, v33
	s_clause 0x7
	flat_store_d16_hi_b16 v[8:9], v4 th:TH_STORE_NT
	flat_store_d16_hi_b16 v[8:9], v15 offset:64 th:TH_STORE_NT
	flat_store_d16_hi_b16 v[8:9], v39 offset:128 th:TH_STORE_NT
	;; [unrolled: 1-line block ×7, first 2 shown]
	v_cndmask_b32_e64 v11, v11, v35, s41
	v_cmp_gt_i32_e32 vcc_lo, 1, v33
	s_wait_xcnt 0x0
	v_add_nc_u64_e32 v[8:9], v[8:9], v[54:55]
	v_dual_cndmask_b32 v10, v10, v34, s41 :: v_dual_cndmask_b32 v13, v13, v37, s41
	v_cndmask_b32_e64 v12, v12, v36, s41
	s_or_b32 s40, vcc_lo, s40
	s_and_not1_b32 s14, s14, exec_lo
	s_and_b32 s77, s41, exec_lo
	s_delay_alu instid0(SALU_CYCLE_1)
	s_or_b32 s14, s14, s77
	s_and_not1_b32 exec_lo, exec_lo, s40
	s_cbranch_execz .LBB8_1718
.LBB8_1586:                             ;   Parent Loop BB8_47 Depth=1
                                        ;     Parent Loop BB8_892 Depth=2
                                        ;       Parent Loop BB8_895 Depth=3
                                        ; =>      This Inner Loop Header: Depth=4
	s_clause 0x7
	flat_load_u16 v55, v[10:11] th:TH_LOAD_NT
	flat_load_u16 v54, v[10:11] offset:64 th:TH_LOAD_NT
	flat_load_u16 v107, v[10:11] offset:128 th:TH_LOAD_NT
	;; [unrolled: 1-line block ×7, first 2 shown]
	s_clause 0x7
	flat_load_u16 v75, v[12:13] th:TH_LOAD_NT
	flat_load_u16 v50, v[12:13] offset:64 th:TH_LOAD_NT
	flat_load_u16 v39, v[12:13] offset:128 th:TH_LOAD_NT
	;; [unrolled: 1-line block ×7, first 2 shown]
	s_wait_xcnt 0x0
	s_and_saveexec_b32 s77, s41
	s_cbranch_execz .LBB8_1652
; %bb.1587:                             ;   in Loop: Header=BB8_1586 Depth=4
	s_trap 2
	ds_load_b32 v4, v0
	s_wait_dscnt 0x0
	v_dual_lshlrev_b32 v14, 16, v106 :: v_dual_lshlrev_b32 v15, 16, v4
	s_delay_alu instid0(VALU_DEP_1) | instskip(NEXT) | instid1(VALU_DEP_1)
	v_mov_b32_e32 v4, v15
	v_pk_mul_f32 v[16:17], v[4:5], v[14:15]
	s_delay_alu instid0(VALU_DEP_1) | instskip(NEXT) | instid1(VALU_DEP_1)
	v_and_b32_e32 v4, 0x7f800000, v16
	v_cmp_ne_u32_e32 vcc_lo, 0x7f800000, v4
                                        ; implicit-def: $vgpr4
	s_and_saveexec_b32 s41, vcc_lo
	s_delay_alu instid0(SALU_CYCLE_1)
	s_xor_b32 s41, exec_lo, s41
; %bb.1588:                             ;   in Loop: Header=BB8_1586 Depth=4
	v_bfe_u32 v4, v16, 16, 1
	s_delay_alu instid0(VALU_DEP_1)
	v_add3_u32 v4, v16, v4, 0x7fff
                                        ; implicit-def: $vgpr16_vgpr17
; %bb.1589:                             ;   in Loop: Header=BB8_1586 Depth=4
	s_and_not1_saveexec_b32 s41, s41
; %bb.1590:                             ;   in Loop: Header=BB8_1586 Depth=4
	v_and_b32_e32 v4, 0xffff, v16
	v_or_b32_e32 v5, 0x10000, v16
	s_delay_alu instid0(VALU_DEP_2) | instskip(NEXT) | instid1(VALU_DEP_2)
	v_cmp_eq_u32_e32 vcc_lo, 0, v4
	v_cndmask_b32_e32 v4, v5, v16, vcc_lo
; %bb.1591:                             ;   in Loop: Header=BB8_1586 Depth=4
	s_or_b32 exec_lo, exec_lo, s41
	v_lshlrev_b32_e32 v5, 16, v52
	s_mov_b32 s41, exec_lo
                                        ; implicit-def: $vgpr52
	s_delay_alu instid0(VALU_DEP_1) | instskip(NEXT) | instid1(VALU_DEP_1)
	v_mul_f32_e32 v5, v15, v5
	v_and_b32_e32 v14, 0x7f800000, v5
	s_delay_alu instid0(VALU_DEP_1)
	v_cmpx_ne_u32_e32 0x7f800000, v14
	s_xor_b32 s41, exec_lo, s41
; %bb.1592:                             ;   in Loop: Header=BB8_1586 Depth=4
	v_bfe_u32 v14, v5, 16, 1
	s_delay_alu instid0(VALU_DEP_1)
	v_add3_u32 v52, v5, v14, 0x7fff
                                        ; implicit-def: $vgpr5
; %bb.1593:                             ;   in Loop: Header=BB8_1586 Depth=4
	s_and_not1_saveexec_b32 s41, s41
; %bb.1594:                             ;   in Loop: Header=BB8_1586 Depth=4
	v_and_b32_e32 v14, 0xffff, v5
	v_or_b32_e32 v16, 0x10000, v5
	s_delay_alu instid0(VALU_DEP_2) | instskip(NEXT) | instid1(VALU_DEP_2)
	v_cmp_eq_u32_e32 vcc_lo, 0, v14
	v_cndmask_b32_e32 v52, v16, v5, vcc_lo
; %bb.1595:                             ;   in Loop: Header=BB8_1586 Depth=4
	s_or_b32 exec_lo, exec_lo, s41
	v_lshlrev_b32_e32 v5, 16, v95
	s_mov_b32 s41, exec_lo
                                        ; implicit-def: $vgpr29
	s_delay_alu instid0(VALU_DEP_1) | instskip(NEXT) | instid1(VALU_DEP_1)
	v_mul_f32_e32 v5, v15, v5
	v_and_b32_e32 v14, 0x7f800000, v5
	s_delay_alu instid0(VALU_DEP_1)
	v_cmpx_ne_u32_e32 0x7f800000, v14
	s_xor_b32 s41, exec_lo, s41
; %bb.1596:                             ;   in Loop: Header=BB8_1586 Depth=4
	v_bfe_u32 v14, v5, 16, 1
	s_delay_alu instid0(VALU_DEP_1)
	v_add3_u32 v29, v5, v14, 0x7fff
                                        ; implicit-def: $vgpr5
; %bb.1597:                             ;   in Loop: Header=BB8_1586 Depth=4
	s_and_not1_saveexec_b32 s41, s41
; %bb.1598:                             ;   in Loop: Header=BB8_1586 Depth=4
	v_and_b32_e32 v14, 0xffff, v5
	v_or_b32_e32 v16, 0x10000, v5
	s_delay_alu instid0(VALU_DEP_2) | instskip(NEXT) | instid1(VALU_DEP_2)
	v_cmp_eq_u32_e32 vcc_lo, 0, v14
	v_cndmask_b32_e32 v29, v16, v5, vcc_lo
; %bb.1599:                             ;   in Loop: Header=BB8_1586 Depth=4
	s_or_b32 exec_lo, exec_lo, s41
	v_lshlrev_b32_e32 v5, 16, v93
	s_mov_b32 s41, exec_lo
                                        ; implicit-def: $vgpr28
	s_delay_alu instid0(VALU_DEP_1) | instskip(NEXT) | instid1(VALU_DEP_1)
	v_mul_f32_e32 v5, v15, v5
	v_and_b32_e32 v14, 0x7f800000, v5
	s_delay_alu instid0(VALU_DEP_1)
	v_cmpx_ne_u32_e32 0x7f800000, v14
	s_xor_b32 s41, exec_lo, s41
; %bb.1600:                             ;   in Loop: Header=BB8_1586 Depth=4
	v_bfe_u32 v14, v5, 16, 1
	s_delay_alu instid0(VALU_DEP_1)
	v_add3_u32 v28, v5, v14, 0x7fff
                                        ; implicit-def: $vgpr5
; %bb.1601:                             ;   in Loop: Header=BB8_1586 Depth=4
	s_and_not1_saveexec_b32 s41, s41
; %bb.1602:                             ;   in Loop: Header=BB8_1586 Depth=4
	v_and_b32_e32 v14, 0xffff, v5
	v_or_b32_e32 v16, 0x10000, v5
	s_delay_alu instid0(VALU_DEP_2) | instskip(NEXT) | instid1(VALU_DEP_2)
	v_cmp_eq_u32_e32 vcc_lo, 0, v14
	v_cndmask_b32_e32 v28, v16, v5, vcc_lo
; %bb.1603:                             ;   in Loop: Header=BB8_1586 Depth=4
	s_or_b32 exec_lo, exec_lo, s41
	v_lshlrev_b32_e32 v5, 16, v90
	s_mov_b32 s41, exec_lo
                                        ; implicit-def: $vgpr17
	s_delay_alu instid0(VALU_DEP_1) | instskip(NEXT) | instid1(VALU_DEP_1)
	v_mul_f32_e32 v5, v15, v5
	v_and_b32_e32 v14, 0x7f800000, v5
	s_delay_alu instid0(VALU_DEP_1)
	v_cmpx_ne_u32_e32 0x7f800000, v14
	s_xor_b32 s41, exec_lo, s41
; %bb.1604:                             ;   in Loop: Header=BB8_1586 Depth=4
	v_bfe_u32 v14, v5, 16, 1
	s_delay_alu instid0(VALU_DEP_1)
	v_add3_u32 v17, v5, v14, 0x7fff
                                        ; implicit-def: $vgpr5
; %bb.1605:                             ;   in Loop: Header=BB8_1586 Depth=4
	s_and_not1_saveexec_b32 s41, s41
; %bb.1606:                             ;   in Loop: Header=BB8_1586 Depth=4
	v_and_b32_e32 v14, 0xffff, v5
	v_or_b32_e32 v16, 0x10000, v5
	s_delay_alu instid0(VALU_DEP_2) | instskip(NEXT) | instid1(VALU_DEP_2)
	v_cmp_eq_u32_e32 vcc_lo, 0, v14
	v_cndmask_b32_e32 v17, v16, v5, vcc_lo
; %bb.1607:                             ;   in Loop: Header=BB8_1586 Depth=4
	s_or_b32 exec_lo, exec_lo, s41
	v_lshlrev_b32_e32 v5, 16, v51
	s_mov_b32 s41, exec_lo
                                        ; implicit-def: $vgpr16
	s_delay_alu instid0(VALU_DEP_1) | instskip(NEXT) | instid1(VALU_DEP_1)
	v_mul_f32_e32 v5, v15, v5
	v_and_b32_e32 v14, 0x7f800000, v5
	s_delay_alu instid0(VALU_DEP_1)
	v_cmpx_ne_u32_e32 0x7f800000, v14
	s_xor_b32 s41, exec_lo, s41
; %bb.1608:                             ;   in Loop: Header=BB8_1586 Depth=4
	v_bfe_u32 v14, v5, 16, 1
	s_delay_alu instid0(VALU_DEP_1)
	v_add3_u32 v16, v5, v14, 0x7fff
                                        ; implicit-def: $vgpr5
; %bb.1609:                             ;   in Loop: Header=BB8_1586 Depth=4
	s_and_not1_saveexec_b32 s41, s41
; %bb.1610:                             ;   in Loop: Header=BB8_1586 Depth=4
	v_and_b32_e32 v14, 0xffff, v5
	v_or_b32_e32 v16, 0x10000, v5
	s_delay_alu instid0(VALU_DEP_2) | instskip(NEXT) | instid1(VALU_DEP_2)
	v_cmp_eq_u32_e32 vcc_lo, 0, v14
	v_cndmask_b32_e32 v16, v16, v5, vcc_lo
; %bb.1611:                             ;   in Loop: Header=BB8_1586 Depth=4
	s_or_b32 exec_lo, exec_lo, s41
	v_lshlrev_b32_e32 v5, 16, v49
	s_delay_alu instid0(VALU_DEP_1) | instskip(NEXT) | instid1(VALU_DEP_1)
	v_mul_f32_e32 v5, v15, v5
	v_and_b32_e32 v14, 0x7f800000, v5
	s_delay_alu instid0(VALU_DEP_1) | instskip(SKIP_1) | instid1(SALU_CYCLE_1)
	v_cmp_ne_u32_e32 vcc_lo, 0x7f800000, v14
                                        ; implicit-def: $vgpr14
	s_and_saveexec_b32 s41, vcc_lo
	s_xor_b32 s41, exec_lo, s41
; %bb.1612:                             ;   in Loop: Header=BB8_1586 Depth=4
	v_bfe_u32 v14, v5, 16, 1
	s_delay_alu instid0(VALU_DEP_1)
	v_add3_u32 v14, v5, v14, 0x7fff
                                        ; implicit-def: $vgpr5
; %bb.1613:                             ;   in Loop: Header=BB8_1586 Depth=4
	s_and_not1_saveexec_b32 s41, s41
; %bb.1614:                             ;   in Loop: Header=BB8_1586 Depth=4
	v_and_b32_e32 v14, 0xffff, v5
	v_or_b32_e32 v49, 0x10000, v5
	s_delay_alu instid0(VALU_DEP_2) | instskip(NEXT) | instid1(VALU_DEP_2)
	v_cmp_eq_u32_e32 vcc_lo, 0, v14
	v_cndmask_b32_e32 v14, v49, v5, vcc_lo
; %bb.1615:                             ;   in Loop: Header=BB8_1586 Depth=4
	s_or_b32 exec_lo, exec_lo, s41
	v_lshlrev_b32_e32 v5, 16, v48
	s_delay_alu instid0(VALU_DEP_1) | instskip(NEXT) | instid1(VALU_DEP_1)
	v_mul_f32_e32 v15, v15, v5
	v_and_b32_e32 v5, 0x7f800000, v15
	s_delay_alu instid0(VALU_DEP_1) | instskip(SKIP_1) | instid1(SALU_CYCLE_1)
	v_cmp_ne_u32_e32 vcc_lo, 0x7f800000, v5
                                        ; implicit-def: $vgpr5
	s_and_saveexec_b32 s41, vcc_lo
	s_xor_b32 s41, exec_lo, s41
; %bb.1616:                             ;   in Loop: Header=BB8_1586 Depth=4
	v_bfe_u32 v5, v15, 16, 1
	s_delay_alu instid0(VALU_DEP_1)
	v_add3_u32 v5, v15, v5, 0x7fff
                                        ; implicit-def: $vgpr15
; %bb.1617:                             ;   in Loop: Header=BB8_1586 Depth=4
	s_and_not1_saveexec_b32 s41, s41
; %bb.1618:                             ;   in Loop: Header=BB8_1586 Depth=4
	v_and_b32_e32 v5, 0xffff, v15
	v_or_b32_e32 v48, 0x10000, v15
	s_delay_alu instid0(VALU_DEP_2) | instskip(NEXT) | instid1(VALU_DEP_2)
	v_cmp_eq_u32_e32 vcc_lo, 0, v5
	v_cndmask_b32_e32 v5, v48, v15, vcc_lo
; %bb.1619:                             ;   in Loop: Header=BB8_1586 Depth=4
	s_or_b32 exec_lo, exec_lo, s41
	v_and_b32_e32 v4, 0xffff0000, v4
	v_lshlrev_b32_e32 v15, 16, v21
	s_delay_alu instid0(VALU_DEP_1) | instskip(NEXT) | instid1(VALU_DEP_1)
	v_add_f32_e32 v15, v15, v4
	v_and_b32_e32 v4, 0x7f800000, v15
	s_delay_alu instid0(VALU_DEP_1) | instskip(SKIP_1) | instid1(SALU_CYCLE_1)
	v_cmp_ne_u32_e32 vcc_lo, 0x7f800000, v4
                                        ; implicit-def: $vgpr4
	s_and_saveexec_b32 s41, vcc_lo
	s_xor_b32 s41, exec_lo, s41
; %bb.1620:                             ;   in Loop: Header=BB8_1586 Depth=4
	v_bfe_u32 v4, v15, 16, 1
	s_delay_alu instid0(VALU_DEP_1)
	v_add3_u32 v4, v15, v4, 0x7fff
                                        ; implicit-def: $vgpr15
; %bb.1621:                             ;   in Loop: Header=BB8_1586 Depth=4
	s_and_not1_saveexec_b32 s41, s41
; %bb.1622:                             ;   in Loop: Header=BB8_1586 Depth=4
	v_and_b32_e32 v4, 0xffff, v15
	v_or_b32_e32 v48, 0x10000, v15
	s_delay_alu instid0(VALU_DEP_2) | instskip(NEXT) | instid1(VALU_DEP_2)
	v_cmp_eq_u32_e32 vcc_lo, 0, v4
	v_cndmask_b32_e32 v4, v48, v15, vcc_lo
; %bb.1623:                             ;   in Loop: Header=BB8_1586 Depth=4
	s_or_b32 exec_lo, exec_lo, s41
	v_and_b32_e32 v15, 0xffff0000, v52
	v_lshlrev_b32_e32 v48, 16, v22
	s_delay_alu instid0(VALU_DEP_1) | instskip(NEXT) | instid1(VALU_DEP_1)
	v_add_f32_e32 v48, v48, v15
	v_and_b32_e32 v15, 0x7f800000, v48
	s_delay_alu instid0(VALU_DEP_1) | instskip(SKIP_1) | instid1(SALU_CYCLE_1)
	v_cmp_ne_u32_e32 vcc_lo, 0x7f800000, v15
                                        ; implicit-def: $vgpr15
	s_and_saveexec_b32 s41, vcc_lo
	s_xor_b32 s41, exec_lo, s41
; %bb.1624:                             ;   in Loop: Header=BB8_1586 Depth=4
	v_bfe_u32 v15, v48, 16, 1
	s_delay_alu instid0(VALU_DEP_1)
	v_add3_u32 v15, v48, v15, 0x7fff
                                        ; implicit-def: $vgpr48
; %bb.1625:                             ;   in Loop: Header=BB8_1586 Depth=4
	s_and_not1_saveexec_b32 s41, s41
; %bb.1626:                             ;   in Loop: Header=BB8_1586 Depth=4
	v_and_b32_e32 v15, 0xffff, v48
	v_or_b32_e32 v49, 0x10000, v48
	s_delay_alu instid0(VALU_DEP_2) | instskip(NEXT) | instid1(VALU_DEP_2)
	v_cmp_eq_u32_e32 vcc_lo, 0, v15
	v_cndmask_b32_e32 v15, v49, v48, vcc_lo
; %bb.1627:                             ;   in Loop: Header=BB8_1586 Depth=4
	s_or_b32 exec_lo, exec_lo, s41
	v_and_b32_e32 v29, 0xffff0000, v29
	v_lshlrev_b32_e32 v48, 16, v23
	s_delay_alu instid0(VALU_DEP_1) | instskip(NEXT) | instid1(VALU_DEP_1)
	v_add_f32_e32 v48, v48, v29
	v_and_b32_e32 v29, 0x7f800000, v48
	s_delay_alu instid0(VALU_DEP_1) | instskip(SKIP_1) | instid1(SALU_CYCLE_1)
	v_cmp_ne_u32_e32 vcc_lo, 0x7f800000, v29
                                        ; implicit-def: $vgpr29
	s_and_saveexec_b32 s41, vcc_lo
	s_xor_b32 s41, exec_lo, s41
; %bb.1628:                             ;   in Loop: Header=BB8_1586 Depth=4
	v_bfe_u32 v29, v48, 16, 1
	s_delay_alu instid0(VALU_DEP_1)
	v_add3_u32 v29, v48, v29, 0x7fff
                                        ; implicit-def: $vgpr48
; %bb.1629:                             ;   in Loop: Header=BB8_1586 Depth=4
	s_and_not1_saveexec_b32 s41, s41
; %bb.1630:                             ;   in Loop: Header=BB8_1586 Depth=4
	v_and_b32_e32 v29, 0xffff, v48
	v_or_b32_e32 v49, 0x10000, v48
	s_delay_alu instid0(VALU_DEP_2) | instskip(NEXT) | instid1(VALU_DEP_2)
	v_cmp_eq_u32_e32 vcc_lo, 0, v29
	v_cndmask_b32_e32 v29, v49, v48, vcc_lo
; %bb.1631:                             ;   in Loop: Header=BB8_1586 Depth=4
	s_or_b32 exec_lo, exec_lo, s41
	v_and_b32_e32 v28, 0xffff0000, v28
	v_lshlrev_b32_e32 v48, 16, v24
	s_delay_alu instid0(VALU_DEP_1) | instskip(NEXT) | instid1(VALU_DEP_1)
	v_add_f32_e32 v48, v48, v28
	v_and_b32_e32 v28, 0x7f800000, v48
	s_delay_alu instid0(VALU_DEP_1) | instskip(SKIP_1) | instid1(SALU_CYCLE_1)
	v_cmp_ne_u32_e32 vcc_lo, 0x7f800000, v28
                                        ; implicit-def: $vgpr28
	s_and_saveexec_b32 s41, vcc_lo
	s_xor_b32 s41, exec_lo, s41
; %bb.1632:                             ;   in Loop: Header=BB8_1586 Depth=4
	v_bfe_u32 v28, v48, 16, 1
	s_delay_alu instid0(VALU_DEP_1)
	v_add3_u32 v28, v48, v28, 0x7fff
                                        ; implicit-def: $vgpr48
; %bb.1633:                             ;   in Loop: Header=BB8_1586 Depth=4
	s_and_not1_saveexec_b32 s41, s41
; %bb.1634:                             ;   in Loop: Header=BB8_1586 Depth=4
	v_and_b32_e32 v28, 0xffff, v48
	v_or_b32_e32 v49, 0x10000, v48
	s_delay_alu instid0(VALU_DEP_2) | instskip(NEXT) | instid1(VALU_DEP_2)
	v_cmp_eq_u32_e32 vcc_lo, 0, v28
	v_cndmask_b32_e32 v28, v49, v48, vcc_lo
; %bb.1635:                             ;   in Loop: Header=BB8_1586 Depth=4
	s_or_b32 exec_lo, exec_lo, s41
	v_and_b32_e32 v17, 0xffff0000, v17
	v_lshlrev_b32_e32 v48, 16, v25
	s_delay_alu instid0(VALU_DEP_1) | instskip(NEXT) | instid1(VALU_DEP_1)
	v_add_f32_e32 v48, v48, v17
	v_and_b32_e32 v17, 0x7f800000, v48
	s_delay_alu instid0(VALU_DEP_1) | instskip(SKIP_1) | instid1(SALU_CYCLE_1)
	v_cmp_ne_u32_e32 vcc_lo, 0x7f800000, v17
                                        ; implicit-def: $vgpr17
	s_and_saveexec_b32 s41, vcc_lo
	s_xor_b32 s41, exec_lo, s41
; %bb.1636:                             ;   in Loop: Header=BB8_1586 Depth=4
	v_bfe_u32 v17, v48, 16, 1
	s_delay_alu instid0(VALU_DEP_1)
	v_add3_u32 v17, v48, v17, 0x7fff
                                        ; implicit-def: $vgpr48
; %bb.1637:                             ;   in Loop: Header=BB8_1586 Depth=4
	s_and_not1_saveexec_b32 s41, s41
; %bb.1638:                             ;   in Loop: Header=BB8_1586 Depth=4
	v_and_b32_e32 v17, 0xffff, v48
	v_or_b32_e32 v49, 0x10000, v48
	s_delay_alu instid0(VALU_DEP_2) | instskip(NEXT) | instid1(VALU_DEP_2)
	v_cmp_eq_u32_e32 vcc_lo, 0, v17
	v_cndmask_b32_e32 v17, v49, v48, vcc_lo
; %bb.1639:                             ;   in Loop: Header=BB8_1586 Depth=4
	s_or_b32 exec_lo, exec_lo, s41
	v_and_b32_e32 v16, 0xffff0000, v16
	v_lshlrev_b32_e32 v48, 16, v26
	s_delay_alu instid0(VALU_DEP_1) | instskip(NEXT) | instid1(VALU_DEP_1)
	v_add_f32_e32 v48, v48, v16
	v_and_b32_e32 v16, 0x7f800000, v48
	s_delay_alu instid0(VALU_DEP_1) | instskip(SKIP_1) | instid1(SALU_CYCLE_1)
	v_cmp_ne_u32_e32 vcc_lo, 0x7f800000, v16
                                        ; implicit-def: $vgpr16
	s_and_saveexec_b32 s41, vcc_lo
	s_xor_b32 s41, exec_lo, s41
; %bb.1640:                             ;   in Loop: Header=BB8_1586 Depth=4
	v_bfe_u32 v16, v48, 16, 1
	s_delay_alu instid0(VALU_DEP_1)
	v_add3_u32 v16, v48, v16, 0x7fff
                                        ; implicit-def: $vgpr48
; %bb.1641:                             ;   in Loop: Header=BB8_1586 Depth=4
	s_and_not1_saveexec_b32 s41, s41
; %bb.1642:                             ;   in Loop: Header=BB8_1586 Depth=4
	v_and_b32_e32 v16, 0xffff, v48
	v_or_b32_e32 v49, 0x10000, v48
	s_delay_alu instid0(VALU_DEP_2) | instskip(NEXT) | instid1(VALU_DEP_2)
	v_cmp_eq_u32_e32 vcc_lo, 0, v16
	v_cndmask_b32_e32 v16, v49, v48, vcc_lo
; %bb.1643:                             ;   in Loop: Header=BB8_1586 Depth=4
	s_or_b32 exec_lo, exec_lo, s41
	v_and_b32_e32 v14, 0xffff0000, v14
	v_lshlrev_b32_e32 v48, 16, v27
	s_delay_alu instid0(VALU_DEP_1) | instskip(NEXT) | instid1(VALU_DEP_1)
	v_add_f32_e32 v48, v48, v14
	v_and_b32_e32 v14, 0x7f800000, v48
	s_delay_alu instid0(VALU_DEP_1) | instskip(SKIP_1) | instid1(SALU_CYCLE_1)
	v_cmp_ne_u32_e32 vcc_lo, 0x7f800000, v14
                                        ; implicit-def: $vgpr14
	s_and_saveexec_b32 s41, vcc_lo
	s_xor_b32 s41, exec_lo, s41
; %bb.1644:                             ;   in Loop: Header=BB8_1586 Depth=4
	v_bfe_u32 v14, v48, 16, 1
	s_delay_alu instid0(VALU_DEP_1)
	v_add3_u32 v14, v48, v14, 0x7fff
                                        ; implicit-def: $vgpr48
; %bb.1645:                             ;   in Loop: Header=BB8_1586 Depth=4
	s_and_not1_saveexec_b32 s41, s41
; %bb.1646:                             ;   in Loop: Header=BB8_1586 Depth=4
	v_and_b32_e32 v14, 0xffff, v48
	v_or_b32_e32 v49, 0x10000, v48
	s_delay_alu instid0(VALU_DEP_2) | instskip(NEXT) | instid1(VALU_DEP_2)
	v_cmp_eq_u32_e32 vcc_lo, 0, v14
	v_cndmask_b32_e32 v14, v49, v48, vcc_lo
; %bb.1647:                             ;   in Loop: Header=BB8_1586 Depth=4
	s_or_b32 exec_lo, exec_lo, s41
	v_and_b32_e32 v5, 0xffff0000, v5
	v_lshlrev_b32_e32 v48, 16, v32
	s_delay_alu instid0(VALU_DEP_1) | instskip(NEXT) | instid1(VALU_DEP_1)
	v_add_f32_e32 v48, v48, v5
	v_and_b32_e32 v5, 0x7f800000, v48
	s_delay_alu instid0(VALU_DEP_1) | instskip(SKIP_1) | instid1(SALU_CYCLE_1)
	v_cmp_ne_u32_e32 vcc_lo, 0x7f800000, v5
                                        ; implicit-def: $vgpr5
	s_and_saveexec_b32 s41, vcc_lo
	s_xor_b32 s41, exec_lo, s41
; %bb.1648:                             ;   in Loop: Header=BB8_1586 Depth=4
	v_bfe_u32 v5, v48, 16, 1
	s_delay_alu instid0(VALU_DEP_1)
	v_add3_u32 v5, v48, v5, 0x7fff
                                        ; implicit-def: $vgpr48
; %bb.1649:                             ;   in Loop: Header=BB8_1586 Depth=4
	s_and_not1_saveexec_b32 s41, s41
; %bb.1650:                             ;   in Loop: Header=BB8_1586 Depth=4
	v_and_b32_e32 v5, 0xffff, v48
	v_or_b32_e32 v49, 0x10000, v48
	s_delay_alu instid0(VALU_DEP_2) | instskip(NEXT) | instid1(VALU_DEP_2)
	v_cmp_eq_u32_e32 vcc_lo, 0, v5
	v_cndmask_b32_e32 v5, v49, v48, vcc_lo
; %bb.1651:                             ;   in Loop: Header=BB8_1586 Depth=4
	s_or_b32 exec_lo, exec_lo, s41
	v_dual_lshrrev_b32 v90, 16, v17 :: v_dual_lshrrev_b32 v106, 16, v4
	v_dual_lshrrev_b32 v52, 16, v15 :: v_dual_lshrrev_b32 v95, 16, v29
	s_delay_alu instid0(VALU_DEP_3)
	v_dual_lshrrev_b32 v93, 16, v28 :: v_dual_lshrrev_b32 v48, 16, v5
	v_dual_lshrrev_b32 v49, 16, v14 :: v_dual_lshrrev_b32 v51, 16, v16
	s_clause 0x7
	flat_store_b16 v[8:9], v106 th:TH_STORE_NT
	flat_store_b16 v[8:9], v52 offset:64 th:TH_STORE_NT
	flat_store_b16 v[8:9], v95 offset:128 th:TH_STORE_NT
	;; [unrolled: 1-line block ×7, first 2 shown]
	s_wait_xcnt 0x0
	v_add_nc_u64_e32 v[8:9], v[8:9], v[44:45]
.LBB8_1652:                             ;   in Loop: Header=BB8_1586 Depth=4
	s_or_b32 exec_lo, exec_lo, s77
	v_sub_nc_u32_e32 v28, v33, v84
	v_add_nc_u64_e32 v[10:11], v[10:11], v[44:45]
	v_add_nc_u64_e32 v[12:13], v[12:13], v[44:45]
	s_delay_alu instid0(VALU_DEP_3)
	v_cmp_lt_i32_e64 s41, 0, v28
	s_and_saveexec_b32 s77, s41
	s_cbranch_execz .LBB8_1654
; %bb.1653:                             ;   in Loop: Header=BB8_1586 Depth=4
	s_clause 0x7
	flat_load_u16 v106, v[10:11] th:TH_LOAD_NT
	flat_load_u16 v52, v[10:11] offset:64 th:TH_LOAD_NT
	flat_load_u16 v95, v[10:11] offset:128 th:TH_LOAD_NT
	flat_load_u16 v93, v[10:11] offset:192 th:TH_LOAD_NT
	flat_load_u16 v90, v[10:11] offset:256 th:TH_LOAD_NT
	flat_load_u16 v51, v[10:11] offset:320 th:TH_LOAD_NT
	flat_load_u16 v49, v[10:11] offset:384 th:TH_LOAD_NT
	flat_load_u16 v48, v[10:11] offset:448 th:TH_LOAD_NT
	s_clause 0x7
	flat_load_u16 v21, v[12:13] th:TH_LOAD_NT
	flat_load_u16 v22, v[12:13] offset:64 th:TH_LOAD_NT
	flat_load_u16 v23, v[12:13] offset:128 th:TH_LOAD_NT
	;; [unrolled: 1-line block ×7, first 2 shown]
	s_wait_xcnt 0x8
	v_add_nc_u64_e32 v[10:11], 0x200, v[10:11]
	s_wait_xcnt 0x0
	v_add_nc_u64_e32 v[12:13], 0x200, v[12:13]
.LBB8_1654:                             ;   in Loop: Header=BB8_1586 Depth=4
	s_or_b32 exec_lo, exec_lo, s77
	s_trap 2
	ds_load_b32 v4, v0
	s_wait_loadcnt_dscnt 0xf00
	v_dual_lshlrev_b32 v14, 16, v55 :: v_dual_lshlrev_b32 v15, 16, v4
	s_delay_alu instid0(VALU_DEP_1) | instskip(NEXT) | instid1(VALU_DEP_1)
	v_mov_b32_e32 v4, v15
	v_pk_mul_f32 v[16:17], v[4:5], v[14:15]
	s_delay_alu instid0(VALU_DEP_1) | instskip(NEXT) | instid1(VALU_DEP_1)
	v_and_b32_e32 v4, 0x7f800000, v16
	v_cmp_ne_u32_e32 vcc_lo, 0x7f800000, v4
                                        ; implicit-def: $vgpr4
	s_and_saveexec_b32 s77, vcc_lo
	s_delay_alu instid0(SALU_CYCLE_1)
	s_xor_b32 s77, exec_lo, s77
; %bb.1655:                             ;   in Loop: Header=BB8_1586 Depth=4
	v_bfe_u32 v4, v16, 16, 1
	s_delay_alu instid0(VALU_DEP_1)
	v_add3_u32 v4, v16, v4, 0x7fff
                                        ; implicit-def: $vgpr16_vgpr17
; %bb.1656:                             ;   in Loop: Header=BB8_1586 Depth=4
	s_and_not1_saveexec_b32 s77, s77
; %bb.1657:                             ;   in Loop: Header=BB8_1586 Depth=4
	v_and_b32_e32 v4, 0xffff, v16
	v_or_b32_e32 v5, 0x10000, v16
	s_delay_alu instid0(VALU_DEP_2) | instskip(NEXT) | instid1(VALU_DEP_2)
	v_cmp_eq_u32_e32 vcc_lo, 0, v4
	v_cndmask_b32_e32 v4, v5, v16, vcc_lo
; %bb.1658:                             ;   in Loop: Header=BB8_1586 Depth=4
	s_or_b32 exec_lo, exec_lo, s77
	s_wait_loadcnt 0xe
	v_lshlrev_b32_e32 v5, 16, v54
	s_mov_b32 s77, exec_lo
                                        ; implicit-def: $vgpr54
	s_delay_alu instid0(VALU_DEP_1) | instskip(NEXT) | instid1(VALU_DEP_1)
	v_mul_f32_e32 v5, v15, v5
	v_and_b32_e32 v14, 0x7f800000, v5
	s_delay_alu instid0(VALU_DEP_1)
	v_cmpx_ne_u32_e32 0x7f800000, v14
	s_xor_b32 s77, exec_lo, s77
; %bb.1659:                             ;   in Loop: Header=BB8_1586 Depth=4
	v_bfe_u32 v14, v5, 16, 1
	s_delay_alu instid0(VALU_DEP_1)
	v_add3_u32 v54, v5, v14, 0x7fff
                                        ; implicit-def: $vgpr5
; %bb.1660:                             ;   in Loop: Header=BB8_1586 Depth=4
	s_and_not1_saveexec_b32 s77, s77
; %bb.1661:                             ;   in Loop: Header=BB8_1586 Depth=4
	v_and_b32_e32 v14, 0xffff, v5
	v_or_b32_e32 v16, 0x10000, v5
	s_delay_alu instid0(VALU_DEP_2) | instskip(NEXT) | instid1(VALU_DEP_2)
	v_cmp_eq_u32_e32 vcc_lo, 0, v14
	v_cndmask_b32_e32 v54, v16, v5, vcc_lo
; %bb.1662:                             ;   in Loop: Header=BB8_1586 Depth=4
	s_or_b32 exec_lo, exec_lo, s77
	s_wait_loadcnt 0xd
	v_lshlrev_b32_e32 v5, 16, v107
	s_mov_b32 s77, exec_lo
                                        ; implicit-def: $vgpr33
	s_delay_alu instid0(VALU_DEP_1) | instskip(NEXT) | instid1(VALU_DEP_1)
	v_mul_f32_e32 v5, v15, v5
	v_and_b32_e32 v14, 0x7f800000, v5
	s_delay_alu instid0(VALU_DEP_1)
	v_cmpx_ne_u32_e32 0x7f800000, v14
	s_xor_b32 s77, exec_lo, s77
; %bb.1663:                             ;   in Loop: Header=BB8_1586 Depth=4
	v_bfe_u32 v14, v5, 16, 1
	s_delay_alu instid0(VALU_DEP_1)
	v_add3_u32 v33, v5, v14, 0x7fff
                                        ; implicit-def: $vgpr5
; %bb.1664:                             ;   in Loop: Header=BB8_1586 Depth=4
	s_and_not1_saveexec_b32 s77, s77
; %bb.1665:                             ;   in Loop: Header=BB8_1586 Depth=4
	v_and_b32_e32 v14, 0xffff, v5
	v_or_b32_e32 v16, 0x10000, v5
	s_delay_alu instid0(VALU_DEP_2) | instskip(NEXT) | instid1(VALU_DEP_2)
	v_cmp_eq_u32_e32 vcc_lo, 0, v14
	v_cndmask_b32_e32 v33, v16, v5, vcc_lo
; %bb.1666:                             ;   in Loop: Header=BB8_1586 Depth=4
	s_or_b32 exec_lo, exec_lo, s77
	s_wait_loadcnt 0xc
	v_lshlrev_b32_e32 v5, 16, v53
	s_mov_b32 s77, exec_lo
                                        ; implicit-def: $vgpr29
	s_delay_alu instid0(VALU_DEP_1) | instskip(NEXT) | instid1(VALU_DEP_1)
	v_mul_f32_e32 v5, v15, v5
	v_and_b32_e32 v14, 0x7f800000, v5
	s_delay_alu instid0(VALU_DEP_1)
	v_cmpx_ne_u32_e32 0x7f800000, v14
	s_xor_b32 s77, exec_lo, s77
; %bb.1667:                             ;   in Loop: Header=BB8_1586 Depth=4
	v_bfe_u32 v14, v5, 16, 1
	s_delay_alu instid0(VALU_DEP_1)
	v_add3_u32 v29, v5, v14, 0x7fff
                                        ; implicit-def: $vgpr5
; %bb.1668:                             ;   in Loop: Header=BB8_1586 Depth=4
	s_and_not1_saveexec_b32 s77, s77
; %bb.1669:                             ;   in Loop: Header=BB8_1586 Depth=4
	v_and_b32_e32 v14, 0xffff, v5
	v_or_b32_e32 v16, 0x10000, v5
	s_delay_alu instid0(VALU_DEP_2) | instskip(NEXT) | instid1(VALU_DEP_2)
	v_cmp_eq_u32_e32 vcc_lo, 0, v14
	v_cndmask_b32_e32 v29, v16, v5, vcc_lo
; %bb.1670:                             ;   in Loop: Header=BB8_1586 Depth=4
	s_or_b32 exec_lo, exec_lo, s77
	s_wait_loadcnt 0xb
	v_lshlrev_b32_e32 v5, 16, v105
	s_mov_b32 s77, exec_lo
                                        ; implicit-def: $vgpr17
	s_delay_alu instid0(VALU_DEP_1) | instskip(NEXT) | instid1(VALU_DEP_1)
	v_mul_f32_e32 v5, v15, v5
	v_and_b32_e32 v14, 0x7f800000, v5
	s_delay_alu instid0(VALU_DEP_1)
	v_cmpx_ne_u32_e32 0x7f800000, v14
	s_xor_b32 s77, exec_lo, s77
; %bb.1671:                             ;   in Loop: Header=BB8_1586 Depth=4
	v_bfe_u32 v14, v5, 16, 1
	s_delay_alu instid0(VALU_DEP_1)
	v_add3_u32 v17, v5, v14, 0x7fff
                                        ; implicit-def: $vgpr5
; %bb.1672:                             ;   in Loop: Header=BB8_1586 Depth=4
	s_and_not1_saveexec_b32 s77, s77
; %bb.1673:                             ;   in Loop: Header=BB8_1586 Depth=4
	v_and_b32_e32 v14, 0xffff, v5
	v_or_b32_e32 v16, 0x10000, v5
	s_delay_alu instid0(VALU_DEP_2) | instskip(NEXT) | instid1(VALU_DEP_2)
	v_cmp_eq_u32_e32 vcc_lo, 0, v14
	v_cndmask_b32_e32 v17, v16, v5, vcc_lo
; %bb.1674:                             ;   in Loop: Header=BB8_1586 Depth=4
	s_or_b32 exec_lo, exec_lo, s77
	s_wait_loadcnt 0xa
	v_lshlrev_b32_e32 v5, 16, v94
	s_mov_b32 s77, exec_lo
                                        ; implicit-def: $vgpr16
	s_delay_alu instid0(VALU_DEP_1) | instskip(NEXT) | instid1(VALU_DEP_1)
	v_mul_f32_e32 v5, v15, v5
	v_and_b32_e32 v14, 0x7f800000, v5
	s_delay_alu instid0(VALU_DEP_1)
	v_cmpx_ne_u32_e32 0x7f800000, v14
	s_xor_b32 s77, exec_lo, s77
; %bb.1675:                             ;   in Loop: Header=BB8_1586 Depth=4
	v_bfe_u32 v14, v5, 16, 1
	s_delay_alu instid0(VALU_DEP_1)
	v_add3_u32 v16, v5, v14, 0x7fff
                                        ; implicit-def: $vgpr5
; %bb.1676:                             ;   in Loop: Header=BB8_1586 Depth=4
	s_and_not1_saveexec_b32 s77, s77
; %bb.1677:                             ;   in Loop: Header=BB8_1586 Depth=4
	v_and_b32_e32 v14, 0xffff, v5
	v_or_b32_e32 v16, 0x10000, v5
	s_delay_alu instid0(VALU_DEP_2) | instskip(NEXT) | instid1(VALU_DEP_2)
	v_cmp_eq_u32_e32 vcc_lo, 0, v14
	v_cndmask_b32_e32 v16, v16, v5, vcc_lo
; %bb.1678:                             ;   in Loop: Header=BB8_1586 Depth=4
	s_or_b32 exec_lo, exec_lo, s77
	s_wait_loadcnt 0x9
	v_lshlrev_b32_e32 v5, 16, v92
	s_delay_alu instid0(VALU_DEP_1) | instskip(NEXT) | instid1(VALU_DEP_1)
	v_mul_f32_e32 v5, v15, v5
	v_and_b32_e32 v14, 0x7f800000, v5
	s_delay_alu instid0(VALU_DEP_1) | instskip(SKIP_1) | instid1(SALU_CYCLE_1)
	v_cmp_ne_u32_e32 vcc_lo, 0x7f800000, v14
                                        ; implicit-def: $vgpr14
	s_and_saveexec_b32 s77, vcc_lo
	s_xor_b32 s77, exec_lo, s77
; %bb.1679:                             ;   in Loop: Header=BB8_1586 Depth=4
	v_bfe_u32 v14, v5, 16, 1
	s_delay_alu instid0(VALU_DEP_1)
	v_add3_u32 v14, v5, v14, 0x7fff
                                        ; implicit-def: $vgpr5
; %bb.1680:                             ;   in Loop: Header=BB8_1586 Depth=4
	s_and_not1_saveexec_b32 s77, s77
; %bb.1681:                             ;   in Loop: Header=BB8_1586 Depth=4
	v_and_b32_e32 v14, 0xffff, v5
	v_or_b32_e32 v53, 0x10000, v5
	s_delay_alu instid0(VALU_DEP_2) | instskip(NEXT) | instid1(VALU_DEP_2)
	v_cmp_eq_u32_e32 vcc_lo, 0, v14
	v_cndmask_b32_e32 v14, v53, v5, vcc_lo
; %bb.1682:                             ;   in Loop: Header=BB8_1586 Depth=4
	s_or_b32 exec_lo, exec_lo, s77
	s_wait_loadcnt 0x8
	v_lshlrev_b32_e32 v5, 16, v91
	s_delay_alu instid0(VALU_DEP_1) | instskip(NEXT) | instid1(VALU_DEP_1)
	v_mul_f32_e32 v15, v15, v5
	v_and_b32_e32 v5, 0x7f800000, v15
	s_delay_alu instid0(VALU_DEP_1) | instskip(SKIP_1) | instid1(SALU_CYCLE_1)
	v_cmp_ne_u32_e32 vcc_lo, 0x7f800000, v5
                                        ; implicit-def: $vgpr5
	s_and_saveexec_b32 s77, vcc_lo
	s_xor_b32 s77, exec_lo, s77
; %bb.1683:                             ;   in Loop: Header=BB8_1586 Depth=4
	v_bfe_u32 v5, v15, 16, 1
	s_delay_alu instid0(VALU_DEP_1)
	v_add3_u32 v5, v15, v5, 0x7fff
                                        ; implicit-def: $vgpr15
; %bb.1684:                             ;   in Loop: Header=BB8_1586 Depth=4
	s_and_not1_saveexec_b32 s77, s77
; %bb.1685:                             ;   in Loop: Header=BB8_1586 Depth=4
	v_and_b32_e32 v5, 0xffff, v15
	v_or_b32_e32 v53, 0x10000, v15
	s_delay_alu instid0(VALU_DEP_2) | instskip(NEXT) | instid1(VALU_DEP_2)
	v_cmp_eq_u32_e32 vcc_lo, 0, v5
	v_cndmask_b32_e32 v5, v53, v15, vcc_lo
; %bb.1686:                             ;   in Loop: Header=BB8_1586 Depth=4
	s_or_b32 exec_lo, exec_lo, s77
	v_and_b32_e32 v4, 0xffff0000, v4
	s_wait_loadcnt 0x7
	v_lshlrev_b32_e32 v15, 16, v75
	s_delay_alu instid0(VALU_DEP_1) | instskip(NEXT) | instid1(VALU_DEP_1)
	v_add_f32_e32 v15, v15, v4
	v_and_b32_e32 v4, 0x7f800000, v15
	s_delay_alu instid0(VALU_DEP_1) | instskip(SKIP_1) | instid1(SALU_CYCLE_1)
	v_cmp_ne_u32_e32 vcc_lo, 0x7f800000, v4
                                        ; implicit-def: $vgpr4
	s_and_saveexec_b32 s77, vcc_lo
	s_xor_b32 s77, exec_lo, s77
; %bb.1687:                             ;   in Loop: Header=BB8_1586 Depth=4
	v_bfe_u32 v4, v15, 16, 1
	s_delay_alu instid0(VALU_DEP_1)
	v_add3_u32 v4, v15, v4, 0x7fff
                                        ; implicit-def: $vgpr15
; %bb.1688:                             ;   in Loop: Header=BB8_1586 Depth=4
	s_and_not1_saveexec_b32 s77, s77
; %bb.1689:                             ;   in Loop: Header=BB8_1586 Depth=4
	v_and_b32_e32 v4, 0xffff, v15
	v_or_b32_e32 v53, 0x10000, v15
	s_delay_alu instid0(VALU_DEP_2) | instskip(NEXT) | instid1(VALU_DEP_2)
	v_cmp_eq_u32_e32 vcc_lo, 0, v4
	v_cndmask_b32_e32 v4, v53, v15, vcc_lo
; %bb.1690:                             ;   in Loop: Header=BB8_1586 Depth=4
	s_or_b32 exec_lo, exec_lo, s77
	v_and_b32_e32 v15, 0xffff0000, v54
	s_wait_loadcnt 0x6
	v_lshlrev_b32_e32 v50, 16, v50
	s_delay_alu instid0(VALU_DEP_1) | instskip(NEXT) | instid1(VALU_DEP_1)
	v_add_f32_e32 v50, v50, v15
	v_and_b32_e32 v15, 0x7f800000, v50
	s_delay_alu instid0(VALU_DEP_1) | instskip(SKIP_1) | instid1(SALU_CYCLE_1)
	v_cmp_ne_u32_e32 vcc_lo, 0x7f800000, v15
                                        ; implicit-def: $vgpr15
	s_and_saveexec_b32 s77, vcc_lo
	s_xor_b32 s77, exec_lo, s77
; %bb.1691:                             ;   in Loop: Header=BB8_1586 Depth=4
	v_bfe_u32 v15, v50, 16, 1
	s_delay_alu instid0(VALU_DEP_1)
	v_add3_u32 v15, v50, v15, 0x7fff
                                        ; implicit-def: $vgpr50
; %bb.1692:                             ;   in Loop: Header=BB8_1586 Depth=4
	s_and_not1_saveexec_b32 s77, s77
; %bb.1693:                             ;   in Loop: Header=BB8_1586 Depth=4
	v_and_b32_e32 v15, 0xffff, v50
	v_or_b32_e32 v53, 0x10000, v50
	s_delay_alu instid0(VALU_DEP_2) | instskip(NEXT) | instid1(VALU_DEP_2)
	v_cmp_eq_u32_e32 vcc_lo, 0, v15
	v_cndmask_b32_e32 v15, v53, v50, vcc_lo
; %bb.1694:                             ;   in Loop: Header=BB8_1586 Depth=4
	s_or_b32 exec_lo, exec_lo, s77
	v_and_b32_e32 v33, 0xffff0000, v33
	s_wait_loadcnt 0x5
	v_lshlrev_b32_e32 v39, 16, v39
	s_delay_alu instid0(VALU_DEP_1) | instskip(NEXT) | instid1(VALU_DEP_1)
	v_add_f32_e32 v33, v39, v33
	v_and_b32_e32 v39, 0x7f800000, v33
	s_delay_alu instid0(VALU_DEP_1) | instskip(SKIP_1) | instid1(SALU_CYCLE_1)
	v_cmp_ne_u32_e32 vcc_lo, 0x7f800000, v39
                                        ; implicit-def: $vgpr39
	s_and_saveexec_b32 s77, vcc_lo
	s_xor_b32 s77, exec_lo, s77
; %bb.1695:                             ;   in Loop: Header=BB8_1586 Depth=4
	v_bfe_u32 v39, v33, 16, 1
	s_delay_alu instid0(VALU_DEP_1)
	v_add3_u32 v39, v33, v39, 0x7fff
                                        ; implicit-def: $vgpr33
; %bb.1696:                             ;   in Loop: Header=BB8_1586 Depth=4
	s_and_not1_saveexec_b32 s77, s77
; %bb.1697:                             ;   in Loop: Header=BB8_1586 Depth=4
	v_and_b32_e32 v39, 0xffff, v33
	v_or_b32_e32 v50, 0x10000, v33
	s_delay_alu instid0(VALU_DEP_2) | instskip(NEXT) | instid1(VALU_DEP_2)
	v_cmp_eq_u32_e32 vcc_lo, 0, v39
	v_cndmask_b32_e32 v39, v50, v33, vcc_lo
; %bb.1698:                             ;   in Loop: Header=BB8_1586 Depth=4
	s_or_b32 exec_lo, exec_lo, s77
	v_and_b32_e32 v29, 0xffff0000, v29
	s_wait_loadcnt 0x4
	v_lshlrev_b32_e32 v33, 16, v38
	s_delay_alu instid0(VALU_DEP_1) | instskip(NEXT) | instid1(VALU_DEP_1)
	v_add_f32_e32 v33, v33, v29
	v_and_b32_e32 v29, 0x7f800000, v33
	s_delay_alu instid0(VALU_DEP_1) | instskip(SKIP_1) | instid1(SALU_CYCLE_1)
	v_cmp_ne_u32_e32 vcc_lo, 0x7f800000, v29
                                        ; implicit-def: $vgpr29
	s_and_saveexec_b32 s77, vcc_lo
	s_xor_b32 s77, exec_lo, s77
; %bb.1699:                             ;   in Loop: Header=BB8_1586 Depth=4
	v_bfe_u32 v29, v33, 16, 1
	s_delay_alu instid0(VALU_DEP_1)
	v_add3_u32 v29, v33, v29, 0x7fff
                                        ; implicit-def: $vgpr33
; %bb.1700:                             ;   in Loop: Header=BB8_1586 Depth=4
	s_and_not1_saveexec_b32 s77, s77
; %bb.1701:                             ;   in Loop: Header=BB8_1586 Depth=4
	v_and_b32_e32 v29, 0xffff, v33
	v_or_b32_e32 v38, 0x10000, v33
	s_delay_alu instid0(VALU_DEP_2) | instskip(NEXT) | instid1(VALU_DEP_2)
	v_cmp_eq_u32_e32 vcc_lo, 0, v29
	v_cndmask_b32_e32 v29, v38, v33, vcc_lo
; %bb.1702:                             ;   in Loop: Header=BB8_1586 Depth=4
	s_or_b32 exec_lo, exec_lo, s77
	v_and_b32_e32 v17, 0xffff0000, v17
	s_wait_loadcnt 0x3
	v_lshlrev_b32_e32 v33, 16, v37
	s_delay_alu instid0(VALU_DEP_1) | instskip(NEXT) | instid1(VALU_DEP_1)
	v_add_f32_e32 v33, v33, v17
	v_and_b32_e32 v17, 0x7f800000, v33
	s_delay_alu instid0(VALU_DEP_1) | instskip(SKIP_1) | instid1(SALU_CYCLE_1)
	v_cmp_ne_u32_e32 vcc_lo, 0x7f800000, v17
                                        ; implicit-def: $vgpr17
	s_and_saveexec_b32 s77, vcc_lo
	s_xor_b32 s77, exec_lo, s77
; %bb.1703:                             ;   in Loop: Header=BB8_1586 Depth=4
	v_bfe_u32 v17, v33, 16, 1
	s_delay_alu instid0(VALU_DEP_1)
	v_add3_u32 v17, v33, v17, 0x7fff
                                        ; implicit-def: $vgpr33
; %bb.1704:                             ;   in Loop: Header=BB8_1586 Depth=4
	s_and_not1_saveexec_b32 s77, s77
; %bb.1705:                             ;   in Loop: Header=BB8_1586 Depth=4
	v_and_b32_e32 v17, 0xffff, v33
	v_or_b32_e32 v37, 0x10000, v33
	s_delay_alu instid0(VALU_DEP_2) | instskip(NEXT) | instid1(VALU_DEP_2)
	v_cmp_eq_u32_e32 vcc_lo, 0, v17
	v_cndmask_b32_e32 v17, v37, v33, vcc_lo
; %bb.1706:                             ;   in Loop: Header=BB8_1586 Depth=4
	s_or_b32 exec_lo, exec_lo, s77
	v_and_b32_e32 v16, 0xffff0000, v16
	s_wait_loadcnt 0x2
	v_lshlrev_b32_e32 v33, 16, v36
	s_delay_alu instid0(VALU_DEP_1) | instskip(NEXT) | instid1(VALU_DEP_1)
	v_add_f32_e32 v33, v33, v16
	v_and_b32_e32 v16, 0x7f800000, v33
	s_delay_alu instid0(VALU_DEP_1) | instskip(SKIP_1) | instid1(SALU_CYCLE_1)
	v_cmp_ne_u32_e32 vcc_lo, 0x7f800000, v16
                                        ; implicit-def: $vgpr16
	s_and_saveexec_b32 s77, vcc_lo
	s_xor_b32 s77, exec_lo, s77
; %bb.1707:                             ;   in Loop: Header=BB8_1586 Depth=4
	v_bfe_u32 v16, v33, 16, 1
	s_delay_alu instid0(VALU_DEP_1)
	v_add3_u32 v16, v33, v16, 0x7fff
                                        ; implicit-def: $vgpr33
; %bb.1708:                             ;   in Loop: Header=BB8_1586 Depth=4
	s_and_not1_saveexec_b32 s77, s77
; %bb.1709:                             ;   in Loop: Header=BB8_1586 Depth=4
	v_and_b32_e32 v16, 0xffff, v33
	v_or_b32_e32 v36, 0x10000, v33
	s_delay_alu instid0(VALU_DEP_2) | instskip(NEXT) | instid1(VALU_DEP_2)
	v_cmp_eq_u32_e32 vcc_lo, 0, v16
	v_cndmask_b32_e32 v16, v36, v33, vcc_lo
; %bb.1710:                             ;   in Loop: Header=BB8_1586 Depth=4
	s_or_b32 exec_lo, exec_lo, s77
	v_and_b32_e32 v14, 0xffff0000, v14
	s_wait_loadcnt 0x1
	v_lshlrev_b32_e32 v33, 16, v35
	s_delay_alu instid0(VALU_DEP_1) | instskip(NEXT) | instid1(VALU_DEP_1)
	v_add_f32_e32 v33, v33, v14
	v_and_b32_e32 v14, 0x7f800000, v33
	s_delay_alu instid0(VALU_DEP_1) | instskip(SKIP_1) | instid1(SALU_CYCLE_1)
	v_cmp_ne_u32_e32 vcc_lo, 0x7f800000, v14
                                        ; implicit-def: $vgpr14
	s_and_saveexec_b32 s77, vcc_lo
	s_xor_b32 s77, exec_lo, s77
; %bb.1711:                             ;   in Loop: Header=BB8_1586 Depth=4
	v_bfe_u32 v14, v33, 16, 1
	s_delay_alu instid0(VALU_DEP_1)
	v_add3_u32 v14, v33, v14, 0x7fff
                                        ; implicit-def: $vgpr33
; %bb.1712:                             ;   in Loop: Header=BB8_1586 Depth=4
	s_and_not1_saveexec_b32 s77, s77
; %bb.1713:                             ;   in Loop: Header=BB8_1586 Depth=4
	v_and_b32_e32 v14, 0xffff, v33
	v_or_b32_e32 v35, 0x10000, v33
	s_delay_alu instid0(VALU_DEP_2) | instskip(NEXT) | instid1(VALU_DEP_2)
	v_cmp_eq_u32_e32 vcc_lo, 0, v14
	v_cndmask_b32_e32 v14, v35, v33, vcc_lo
; %bb.1714:                             ;   in Loop: Header=BB8_1586 Depth=4
	s_or_b32 exec_lo, exec_lo, s77
	v_and_b32_e32 v5, 0xffff0000, v5
	s_wait_loadcnt 0x0
	v_lshlrev_b32_e32 v33, 16, v34
	s_delay_alu instid0(VALU_DEP_1) | instskip(NEXT) | instid1(VALU_DEP_1)
	v_add_f32_e32 v33, v33, v5
	v_and_b32_e32 v5, 0x7f800000, v33
	s_delay_alu instid0(VALU_DEP_1) | instskip(SKIP_1) | instid1(SALU_CYCLE_1)
	v_cmp_ne_u32_e32 vcc_lo, 0x7f800000, v5
                                        ; implicit-def: $vgpr5
	s_and_saveexec_b32 s77, vcc_lo
	s_xor_b32 s77, exec_lo, s77
; %bb.1715:                             ;   in Loop: Header=BB8_1586 Depth=4
	v_bfe_u32 v5, v33, 16, 1
	s_delay_alu instid0(VALU_DEP_1)
	v_add3_u32 v5, v33, v5, 0x7fff
                                        ; implicit-def: $vgpr33
; %bb.1716:                             ;   in Loop: Header=BB8_1586 Depth=4
	s_and_not1_saveexec_b32 s77, s77
	s_cbranch_execz .LBB8_1585
; %bb.1717:                             ;   in Loop: Header=BB8_1586 Depth=4
	v_and_b32_e32 v5, 0xffff, v33
	v_or_b32_e32 v34, 0x10000, v33
	s_delay_alu instid0(VALU_DEP_2) | instskip(NEXT) | instid1(VALU_DEP_2)
	v_cmp_eq_u32_e32 vcc_lo, 0, v5
	v_cndmask_b32_e32 v5, v34, v33, vcc_lo
	s_branch .LBB8_1585
.LBB8_1718:                             ;   in Loop: Header=BB8_895 Depth=3
	s_or_b32 exec_lo, exec_lo, s40
	v_dual_lshlrev_b32 v39, 16, v106 :: v_dual_lshlrev_b32 v38, 16, v52
	v_dual_lshlrev_b32 v37, 16, v95 :: v_dual_lshlrev_b32 v36, 16, v93
	;; [unrolled: 1-line block ×8, first 2 shown]
	s_and_b32 s14, s14, exec_lo
.LBB8_1719:                             ;   in Loop: Header=BB8_895 Depth=3
	s_or_b32 exec_lo, exec_lo, s13
	s_and_saveexec_b32 s13, s14
	s_cbranch_execz .LBB8_1785
; %bb.1720:                             ;   in Loop: Header=BB8_895 Depth=3
	s_trap 2
	ds_load_b32 v12, v0
	s_wait_dscnt 0x0
	v_lshlrev_b32_e32 v12, 16, v12
	s_delay_alu instid0(VALU_DEP_1) | instskip(NEXT) | instid1(VALU_DEP_1)
	v_mul_f32_e32 v21, v39, v12
	v_and_b32_e32 v13, 0x7f800000, v21
	s_delay_alu instid0(VALU_DEP_1) | instskip(SKIP_1) | instid1(SALU_CYCLE_1)
	v_cmp_ne_u32_e32 vcc_lo, 0x7f800000, v13
                                        ; implicit-def: $vgpr13
	s_and_saveexec_b32 s14, vcc_lo
	s_xor_b32 s14, exec_lo, s14
; %bb.1721:                             ;   in Loop: Header=BB8_895 Depth=3
	v_bfe_u32 v13, v21, 16, 1
	s_delay_alu instid0(VALU_DEP_1)
	v_add3_u32 v13, v21, v13, 0x7fff
                                        ; implicit-def: $vgpr21
; %bb.1722:                             ;   in Loop: Header=BB8_895 Depth=3
	s_and_not1_saveexec_b32 s14, s14
; %bb.1723:                             ;   in Loop: Header=BB8_895 Depth=3
	v_and_b32_e32 v13, 0xffff, v21
	v_or_b32_e32 v22, 0x10000, v21
	s_delay_alu instid0(VALU_DEP_2) | instskip(NEXT) | instid1(VALU_DEP_2)
	v_cmp_eq_u32_e32 vcc_lo, 0, v13
	v_cndmask_b32_e32 v13, v22, v21, vcc_lo
; %bb.1724:                             ;   in Loop: Header=BB8_895 Depth=3
	s_or_b32 exec_lo, exec_lo, s14
	v_mul_f32_e32 v21, v38, v12
	s_mov_b32 s14, exec_lo
                                        ; implicit-def: $vgpr26
	s_delay_alu instid0(VALU_DEP_1) | instskip(NEXT) | instid1(VALU_DEP_1)
	v_and_b32_e32 v22, 0x7f800000, v21
	v_cmpx_ne_u32_e32 0x7f800000, v22
	s_xor_b32 s14, exec_lo, s14
; %bb.1725:                             ;   in Loop: Header=BB8_895 Depth=3
	v_bfe_u32 v22, v21, 16, 1
	s_delay_alu instid0(VALU_DEP_1)
	v_add3_u32 v26, v21, v22, 0x7fff
                                        ; implicit-def: $vgpr21
; %bb.1726:                             ;   in Loop: Header=BB8_895 Depth=3
	s_and_not1_saveexec_b32 s14, s14
; %bb.1727:                             ;   in Loop: Header=BB8_895 Depth=3
	v_and_b32_e32 v22, 0xffff, v21
	v_or_b32_e32 v23, 0x10000, v21
	s_delay_alu instid0(VALU_DEP_2) | instskip(NEXT) | instid1(VALU_DEP_2)
	v_cmp_eq_u32_e32 vcc_lo, 0, v22
	v_cndmask_b32_e32 v26, v23, v21, vcc_lo
; %bb.1728:                             ;   in Loop: Header=BB8_895 Depth=3
	s_or_b32 exec_lo, exec_lo, s14
	v_mul_f32_e32 v21, v37, v12
	s_mov_b32 s14, exec_lo
                                        ; implicit-def: $vgpr25
	s_delay_alu instid0(VALU_DEP_1) | instskip(NEXT) | instid1(VALU_DEP_1)
	v_and_b32_e32 v22, 0x7f800000, v21
	v_cmpx_ne_u32_e32 0x7f800000, v22
	s_xor_b32 s14, exec_lo, s14
; %bb.1729:                             ;   in Loop: Header=BB8_895 Depth=3
	v_bfe_u32 v22, v21, 16, 1
	s_delay_alu instid0(VALU_DEP_1)
	v_add3_u32 v25, v21, v22, 0x7fff
                                        ; implicit-def: $vgpr21
; %bb.1730:                             ;   in Loop: Header=BB8_895 Depth=3
	s_and_not1_saveexec_b32 s14, s14
; %bb.1731:                             ;   in Loop: Header=BB8_895 Depth=3
	v_and_b32_e32 v22, 0xffff, v21
	v_or_b32_e32 v23, 0x10000, v21
	s_delay_alu instid0(VALU_DEP_2) | instskip(NEXT) | instid1(VALU_DEP_2)
	v_cmp_eq_u32_e32 vcc_lo, 0, v22
	v_cndmask_b32_e32 v25, v23, v21, vcc_lo
; %bb.1732:                             ;   in Loop: Header=BB8_895 Depth=3
	s_or_b32 exec_lo, exec_lo, s14
	v_mul_f32_e32 v21, v36, v12
	s_mov_b32 s14, exec_lo
                                        ; implicit-def: $vgpr24
	s_delay_alu instid0(VALU_DEP_1) | instskip(NEXT) | instid1(VALU_DEP_1)
	v_and_b32_e32 v22, 0x7f800000, v21
	v_cmpx_ne_u32_e32 0x7f800000, v22
	s_xor_b32 s14, exec_lo, s14
; %bb.1733:                             ;   in Loop: Header=BB8_895 Depth=3
	v_bfe_u32 v22, v21, 16, 1
	s_delay_alu instid0(VALU_DEP_1)
	v_add3_u32 v24, v21, v22, 0x7fff
                                        ; implicit-def: $vgpr21
; %bb.1734:                             ;   in Loop: Header=BB8_895 Depth=3
	s_and_not1_saveexec_b32 s14, s14
; %bb.1735:                             ;   in Loop: Header=BB8_895 Depth=3
	v_and_b32_e32 v22, 0xffff, v21
	v_or_b32_e32 v23, 0x10000, v21
	s_delay_alu instid0(VALU_DEP_2) | instskip(NEXT) | instid1(VALU_DEP_2)
	v_cmp_eq_u32_e32 vcc_lo, 0, v22
	v_cndmask_b32_e32 v24, v23, v21, vcc_lo
; %bb.1736:                             ;   in Loop: Header=BB8_895 Depth=3
	s_or_b32 exec_lo, exec_lo, s14
	v_mul_f32_e32 v21, v35, v12
	s_mov_b32 s14, exec_lo
                                        ; implicit-def: $vgpr23
	s_delay_alu instid0(VALU_DEP_1) | instskip(NEXT) | instid1(VALU_DEP_1)
	v_and_b32_e32 v22, 0x7f800000, v21
	v_cmpx_ne_u32_e32 0x7f800000, v22
	s_xor_b32 s14, exec_lo, s14
; %bb.1737:                             ;   in Loop: Header=BB8_895 Depth=3
	v_bfe_u32 v22, v21, 16, 1
	s_delay_alu instid0(VALU_DEP_1)
	v_add3_u32 v23, v21, v22, 0x7fff
                                        ; implicit-def: $vgpr21
; %bb.1738:                             ;   in Loop: Header=BB8_895 Depth=3
	s_and_not1_saveexec_b32 s14, s14
; %bb.1739:                             ;   in Loop: Header=BB8_895 Depth=3
	v_and_b32_e32 v22, 0xffff, v21
	v_or_b32_e32 v23, 0x10000, v21
	s_delay_alu instid0(VALU_DEP_2) | instskip(NEXT) | instid1(VALU_DEP_2)
	v_cmp_eq_u32_e32 vcc_lo, 0, v22
	v_cndmask_b32_e32 v23, v23, v21, vcc_lo
; %bb.1740:                             ;   in Loop: Header=BB8_895 Depth=3
	s_or_b32 exec_lo, exec_lo, s14
	v_mul_f32_e32 v21, v34, v12
	s_delay_alu instid0(VALU_DEP_1) | instskip(NEXT) | instid1(VALU_DEP_1)
	v_and_b32_e32 v22, 0x7f800000, v21
	v_cmp_ne_u32_e32 vcc_lo, 0x7f800000, v22
                                        ; implicit-def: $vgpr22
	s_and_saveexec_b32 s14, vcc_lo
	s_delay_alu instid0(SALU_CYCLE_1)
	s_xor_b32 s14, exec_lo, s14
; %bb.1741:                             ;   in Loop: Header=BB8_895 Depth=3
	v_bfe_u32 v22, v21, 16, 1
	s_delay_alu instid0(VALU_DEP_1)
	v_add3_u32 v22, v21, v22, 0x7fff
                                        ; implicit-def: $vgpr21
; %bb.1742:                             ;   in Loop: Header=BB8_895 Depth=3
	s_and_not1_saveexec_b32 s14, s14
; %bb.1743:                             ;   in Loop: Header=BB8_895 Depth=3
	v_and_b32_e32 v22, 0xffff, v21
	v_or_b32_e32 v27, 0x10000, v21
	s_delay_alu instid0(VALU_DEP_2) | instskip(NEXT) | instid1(VALU_DEP_2)
	v_cmp_eq_u32_e32 vcc_lo, 0, v22
	v_cndmask_b32_e32 v22, v27, v21, vcc_lo
; %bb.1744:                             ;   in Loop: Header=BB8_895 Depth=3
	s_or_b32 exec_lo, exec_lo, s14
	v_mul_f32_e32 v27, v29, v12
	s_delay_alu instid0(VALU_DEP_1) | instskip(NEXT) | instid1(VALU_DEP_1)
	v_and_b32_e32 v21, 0x7f800000, v27
	v_cmp_ne_u32_e32 vcc_lo, 0x7f800000, v21
                                        ; implicit-def: $vgpr21
	s_and_saveexec_b32 s14, vcc_lo
	s_delay_alu instid0(SALU_CYCLE_1)
	s_xor_b32 s14, exec_lo, s14
; %bb.1745:                             ;   in Loop: Header=BB8_895 Depth=3
	v_bfe_u32 v21, v27, 16, 1
	s_delay_alu instid0(VALU_DEP_1)
	v_add3_u32 v21, v27, v21, 0x7fff
                                        ; implicit-def: $vgpr27
; %bb.1746:                             ;   in Loop: Header=BB8_895 Depth=3
	s_and_not1_saveexec_b32 s14, s14
; %bb.1747:                             ;   in Loop: Header=BB8_895 Depth=3
	v_and_b32_e32 v21, 0xffff, v27
	v_or_b32_e32 v29, 0x10000, v27
	s_delay_alu instid0(VALU_DEP_2) | instskip(NEXT) | instid1(VALU_DEP_2)
	v_cmp_eq_u32_e32 vcc_lo, 0, v21
	v_cndmask_b32_e32 v21, v29, v27, vcc_lo
; %bb.1748:                             ;   in Loop: Header=BB8_895 Depth=3
	s_or_b32 exec_lo, exec_lo, s14
	v_mul_f32_e32 v27, v28, v12
	s_delay_alu instid0(VALU_DEP_1) | instskip(NEXT) | instid1(VALU_DEP_1)
	v_and_b32_e32 v12, 0x7f800000, v27
	v_cmp_ne_u32_e32 vcc_lo, 0x7f800000, v12
                                        ; implicit-def: $vgpr12
	s_and_saveexec_b32 s14, vcc_lo
	s_delay_alu instid0(SALU_CYCLE_1)
	s_xor_b32 s14, exec_lo, s14
; %bb.1749:                             ;   in Loop: Header=BB8_895 Depth=3
	v_bfe_u32 v12, v27, 16, 1
	s_delay_alu instid0(VALU_DEP_1)
	v_add3_u32 v12, v27, v12, 0x7fff
                                        ; implicit-def: $vgpr27
; %bb.1750:                             ;   in Loop: Header=BB8_895 Depth=3
	s_and_not1_saveexec_b32 s14, s14
; %bb.1751:                             ;   in Loop: Header=BB8_895 Depth=3
	v_and_b32_e32 v12, 0xffff, v27
	v_or_b32_e32 v28, 0x10000, v27
	s_delay_alu instid0(VALU_DEP_2) | instskip(NEXT) | instid1(VALU_DEP_2)
	v_cmp_eq_u32_e32 vcc_lo, 0, v12
	v_cndmask_b32_e32 v12, v28, v27, vcc_lo
; %bb.1752:                             ;   in Loop: Header=BB8_895 Depth=3
	s_or_b32 exec_lo, exec_lo, s14
	v_and_b32_e32 v13, 0xffff0000, v13
	s_delay_alu instid0(VALU_DEP_1) | instskip(NEXT) | instid1(VALU_DEP_1)
	v_add_f32_e32 v17, v17, v13
	v_and_b32_e32 v13, 0x7f800000, v17
	s_delay_alu instid0(VALU_DEP_1) | instskip(SKIP_1) | instid1(SALU_CYCLE_1)
	v_cmp_ne_u32_e32 vcc_lo, 0x7f800000, v13
                                        ; implicit-def: $vgpr13
	s_and_saveexec_b32 s14, vcc_lo
	s_xor_b32 s14, exec_lo, s14
; %bb.1753:                             ;   in Loop: Header=BB8_895 Depth=3
	v_bfe_u32 v13, v17, 16, 1
	s_delay_alu instid0(VALU_DEP_1)
	v_add3_u32 v13, v17, v13, 0x7fff
                                        ; implicit-def: $vgpr17
; %bb.1754:                             ;   in Loop: Header=BB8_895 Depth=3
	s_and_not1_saveexec_b32 s14, s14
; %bb.1755:                             ;   in Loop: Header=BB8_895 Depth=3
	v_and_b32_e32 v13, 0xffff, v17
	v_or_b32_e32 v27, 0x10000, v17
	s_delay_alu instid0(VALU_DEP_2) | instskip(NEXT) | instid1(VALU_DEP_2)
	v_cmp_eq_u32_e32 vcc_lo, 0, v13
	v_cndmask_b32_e32 v13, v27, v17, vcc_lo
; %bb.1756:                             ;   in Loop: Header=BB8_895 Depth=3
	s_or_b32 exec_lo, exec_lo, s14
	v_and_b32_e32 v17, 0xffff0000, v26
	s_delay_alu instid0(VALU_DEP_1) | instskip(NEXT) | instid1(VALU_DEP_1)
	v_add_f32_e32 v17, v16, v17
	v_and_b32_e32 v16, 0x7f800000, v17
	s_delay_alu instid0(VALU_DEP_1) | instskip(SKIP_1) | instid1(SALU_CYCLE_1)
	v_cmp_ne_u32_e32 vcc_lo, 0x7f800000, v16
                                        ; implicit-def: $vgpr16
	s_and_saveexec_b32 s14, vcc_lo
	s_xor_b32 s14, exec_lo, s14
; %bb.1757:                             ;   in Loop: Header=BB8_895 Depth=3
	v_bfe_u32 v16, v17, 16, 1
	s_delay_alu instid0(VALU_DEP_1)
	v_add3_u32 v16, v17, v16, 0x7fff
                                        ; implicit-def: $vgpr17
; %bb.1758:                             ;   in Loop: Header=BB8_895 Depth=3
	s_and_not1_saveexec_b32 s14, s14
; %bb.1759:                             ;   in Loop: Header=BB8_895 Depth=3
	v_and_b32_e32 v16, 0xffff, v17
	v_or_b32_e32 v26, 0x10000, v17
	s_delay_alu instid0(VALU_DEP_2) | instskip(NEXT) | instid1(VALU_DEP_2)
	v_cmp_eq_u32_e32 vcc_lo, 0, v16
	v_cndmask_b32_e32 v16, v26, v17, vcc_lo
; %bb.1760:                             ;   in Loop: Header=BB8_895 Depth=3
	s_or_b32 exec_lo, exec_lo, s14
	v_and_b32_e32 v17, 0xffff0000, v25
	s_delay_alu instid0(VALU_DEP_1) | instskip(NEXT) | instid1(VALU_DEP_1)
	v_add_f32_e32 v17, v15, v17
	v_and_b32_e32 v15, 0x7f800000, v17
	s_delay_alu instid0(VALU_DEP_1) | instskip(SKIP_1) | instid1(SALU_CYCLE_1)
	v_cmp_ne_u32_e32 vcc_lo, 0x7f800000, v15
                                        ; implicit-def: $vgpr15
	s_and_saveexec_b32 s14, vcc_lo
	s_xor_b32 s14, exec_lo, s14
; %bb.1761:                             ;   in Loop: Header=BB8_895 Depth=3
	v_bfe_u32 v15, v17, 16, 1
	s_delay_alu instid0(VALU_DEP_1)
	v_add3_u32 v15, v17, v15, 0x7fff
                                        ; implicit-def: $vgpr17
; %bb.1762:                             ;   in Loop: Header=BB8_895 Depth=3
	s_and_not1_saveexec_b32 s14, s14
; %bb.1763:                             ;   in Loop: Header=BB8_895 Depth=3
	v_and_b32_e32 v15, 0xffff, v17
	v_or_b32_e32 v25, 0x10000, v17
	s_delay_alu instid0(VALU_DEP_2) | instskip(NEXT) | instid1(VALU_DEP_2)
	v_cmp_eq_u32_e32 vcc_lo, 0, v15
	v_cndmask_b32_e32 v15, v25, v17, vcc_lo
; %bb.1764:                             ;   in Loop: Header=BB8_895 Depth=3
	s_or_b32 exec_lo, exec_lo, s14
	v_and_b32_e32 v17, 0xffff0000, v24
	s_delay_alu instid0(VALU_DEP_1) | instskip(NEXT) | instid1(VALU_DEP_1)
	v_add_f32_e32 v17, v14, v17
	v_and_b32_e32 v14, 0x7f800000, v17
	s_delay_alu instid0(VALU_DEP_1) | instskip(SKIP_1) | instid1(SALU_CYCLE_1)
	v_cmp_ne_u32_e32 vcc_lo, 0x7f800000, v14
                                        ; implicit-def: $vgpr14
	s_and_saveexec_b32 s14, vcc_lo
	s_xor_b32 s14, exec_lo, s14
; %bb.1765:                             ;   in Loop: Header=BB8_895 Depth=3
	v_bfe_u32 v14, v17, 16, 1
	s_delay_alu instid0(VALU_DEP_1)
	v_add3_u32 v14, v17, v14, 0x7fff
                                        ; implicit-def: $vgpr17
; %bb.1766:                             ;   in Loop: Header=BB8_895 Depth=3
	s_and_not1_saveexec_b32 s14, s14
; %bb.1767:                             ;   in Loop: Header=BB8_895 Depth=3
	v_and_b32_e32 v14, 0xffff, v17
	v_or_b32_e32 v24, 0x10000, v17
	s_delay_alu instid0(VALU_DEP_2) | instskip(NEXT) | instid1(VALU_DEP_2)
	v_cmp_eq_u32_e32 vcc_lo, 0, v14
	v_cndmask_b32_e32 v14, v24, v17, vcc_lo
; %bb.1768:                             ;   in Loop: Header=BB8_895 Depth=3
	s_or_b32 exec_lo, exec_lo, s14
	v_and_b32_e32 v17, 0xffff0000, v23
	s_delay_alu instid0(VALU_DEP_1) | instskip(NEXT) | instid1(VALU_DEP_1)
	v_add_f32_e32 v17, v11, v17
	v_and_b32_e32 v11, 0x7f800000, v17
	s_delay_alu instid0(VALU_DEP_1) | instskip(SKIP_1) | instid1(SALU_CYCLE_1)
	v_cmp_ne_u32_e32 vcc_lo, 0x7f800000, v11
                                        ; implicit-def: $vgpr11
	s_and_saveexec_b32 s14, vcc_lo
	s_xor_b32 s14, exec_lo, s14
; %bb.1769:                             ;   in Loop: Header=BB8_895 Depth=3
	v_bfe_u32 v11, v17, 16, 1
	s_delay_alu instid0(VALU_DEP_1)
	v_add3_u32 v11, v17, v11, 0x7fff
                                        ; implicit-def: $vgpr17
; %bb.1770:                             ;   in Loop: Header=BB8_895 Depth=3
	s_and_not1_saveexec_b32 s14, s14
; %bb.1771:                             ;   in Loop: Header=BB8_895 Depth=3
	v_and_b32_e32 v11, 0xffff, v17
	v_or_b32_e32 v23, 0x10000, v17
	s_delay_alu instid0(VALU_DEP_2) | instskip(NEXT) | instid1(VALU_DEP_2)
	v_cmp_eq_u32_e32 vcc_lo, 0, v11
	v_cndmask_b32_e32 v11, v23, v17, vcc_lo
; %bb.1772:                             ;   in Loop: Header=BB8_895 Depth=3
	s_or_b32 exec_lo, exec_lo, s14
	v_and_b32_e32 v17, 0xffff0000, v22
	s_delay_alu instid0(VALU_DEP_1) | instskip(NEXT) | instid1(VALU_DEP_1)
	v_add_f32_e32 v17, v5, v17
	v_and_b32_e32 v5, 0x7f800000, v17
	s_delay_alu instid0(VALU_DEP_1) | instskip(SKIP_1) | instid1(SALU_CYCLE_1)
	v_cmp_ne_u32_e32 vcc_lo, 0x7f800000, v5
                                        ; implicit-def: $vgpr5
	s_and_saveexec_b32 s14, vcc_lo
	s_xor_b32 s14, exec_lo, s14
; %bb.1773:                             ;   in Loop: Header=BB8_895 Depth=3
	v_bfe_u32 v5, v17, 16, 1
	s_delay_alu instid0(VALU_DEP_1)
	v_add3_u32 v5, v17, v5, 0x7fff
                                        ; implicit-def: $vgpr17
; %bb.1774:                             ;   in Loop: Header=BB8_895 Depth=3
	s_and_not1_saveexec_b32 s14, s14
; %bb.1775:                             ;   in Loop: Header=BB8_895 Depth=3
	v_and_b32_e32 v5, 0xffff, v17
	v_or_b32_e32 v22, 0x10000, v17
	s_delay_alu instid0(VALU_DEP_2) | instskip(NEXT) | instid1(VALU_DEP_2)
	v_cmp_eq_u32_e32 vcc_lo, 0, v5
	v_cndmask_b32_e32 v5, v22, v17, vcc_lo
; %bb.1776:                             ;   in Loop: Header=BB8_895 Depth=3
	s_or_b32 exec_lo, exec_lo, s14
	v_and_b32_e32 v17, 0xffff0000, v21
	s_delay_alu instid0(VALU_DEP_1) | instskip(NEXT) | instid1(VALU_DEP_1)
	v_add_f32_e32 v17, v4, v17
	v_and_b32_e32 v4, 0x7f800000, v17
	s_delay_alu instid0(VALU_DEP_1) | instskip(SKIP_1) | instid1(SALU_CYCLE_1)
	v_cmp_ne_u32_e32 vcc_lo, 0x7f800000, v4
                                        ; implicit-def: $vgpr4
	s_and_saveexec_b32 s14, vcc_lo
	s_xor_b32 s14, exec_lo, s14
; %bb.1777:                             ;   in Loop: Header=BB8_895 Depth=3
	v_bfe_u32 v4, v17, 16, 1
	s_delay_alu instid0(VALU_DEP_1)
	v_add3_u32 v4, v17, v4, 0x7fff
                                        ; implicit-def: $vgpr17
; %bb.1778:                             ;   in Loop: Header=BB8_895 Depth=3
	s_and_not1_saveexec_b32 s14, s14
; %bb.1779:                             ;   in Loop: Header=BB8_895 Depth=3
	v_and_b32_e32 v4, 0xffff, v17
	v_or_b32_e32 v21, 0x10000, v17
	s_delay_alu instid0(VALU_DEP_2) | instskip(NEXT) | instid1(VALU_DEP_2)
	v_cmp_eq_u32_e32 vcc_lo, 0, v4
	v_cndmask_b32_e32 v4, v21, v17, vcc_lo
; %bb.1780:                             ;   in Loop: Header=BB8_895 Depth=3
	s_or_b32 exec_lo, exec_lo, s14
	v_and_b32_e32 v12, 0xffff0000, v12
	s_delay_alu instid0(VALU_DEP_1) | instskip(NEXT) | instid1(VALU_DEP_1)
	v_add_f32_e32 v12, v10, v12
	v_and_b32_e32 v10, 0x7f800000, v12
	s_delay_alu instid0(VALU_DEP_1) | instskip(SKIP_1) | instid1(SALU_CYCLE_1)
	v_cmp_ne_u32_e32 vcc_lo, 0x7f800000, v10
                                        ; implicit-def: $vgpr10
	s_and_saveexec_b32 s14, vcc_lo
	s_xor_b32 s14, exec_lo, s14
; %bb.1781:                             ;   in Loop: Header=BB8_895 Depth=3
	v_bfe_u32 v10, v12, 16, 1
	s_delay_alu instid0(VALU_DEP_1)
	v_add3_u32 v10, v12, v10, 0x7fff
                                        ; implicit-def: $vgpr12
; %bb.1782:                             ;   in Loop: Header=BB8_895 Depth=3
	s_and_not1_saveexec_b32 s14, s14
; %bb.1783:                             ;   in Loop: Header=BB8_895 Depth=3
	v_and_b32_e32 v10, 0xffff, v12
	v_or_b32_e32 v17, 0x10000, v12
	s_delay_alu instid0(VALU_DEP_2) | instskip(NEXT) | instid1(VALU_DEP_2)
	v_cmp_eq_u32_e32 vcc_lo, 0, v10
	v_cndmask_b32_e32 v10, v17, v12, vcc_lo
; %bb.1784:                             ;   in Loop: Header=BB8_895 Depth=3
	s_or_b32 exec_lo, exec_lo, s14
	s_clause 0x7
	flat_store_d16_hi_b16 v[8:9], v13 th:TH_STORE_NT
	flat_store_d16_hi_b16 v[8:9], v16 offset:64 th:TH_STORE_NT
	flat_store_d16_hi_b16 v[8:9], v15 offset:128 th:TH_STORE_NT
	flat_store_d16_hi_b16 v[8:9], v14 offset:192 th:TH_STORE_NT
	flat_store_d16_hi_b16 v[8:9], v11 offset:256 th:TH_STORE_NT
	flat_store_d16_hi_b16 v[8:9], v5 offset:320 th:TH_STORE_NT
	flat_store_d16_hi_b16 v[8:9], v4 offset:384 th:TH_STORE_NT
	flat_store_d16_hi_b16 v[8:9], v10 offset:448 th:TH_STORE_NT
.LBB8_1785:                             ;   in Loop: Header=BB8_895 Depth=3
	s_wait_xcnt 0x0
	s_or_b32 exec_lo, exec_lo, s13
	v_lshlrev_b32_e32 v4, 9, v20
	s_delay_alu instid0(VALU_DEP_1)
	v_cmp_ne_u32_e32 vcc_lo, v73, v4
	s_and_b32 exec_lo, exec_lo, vcc_lo
	s_cbranch_execz .LBB8_1822
; %bb.1786:                             ;   in Loop: Header=BB8_895 Depth=3
	v_lshlrev_b32_e32 v5, 5, v33
	s_delay_alu instid0(VALU_DEP_1) | instskip(NEXT) | instid1(VALU_DEP_1)
	v_sub_nc_u32_e32 v5, v19, v5
	v_ashrrev_i32_e32 v8, 31, v5
	s_delay_alu instid0(VALU_DEP_1) | instskip(NEXT) | instid1(VALU_DEP_1)
	v_lshrrev_b32_e32 v8, 27, v8
	v_add_nc_u32_e32 v8, v5, v8
	s_delay_alu instid0(VALU_DEP_1) | instskip(NEXT) | instid1(VALU_DEP_1)
	v_and_b32_e32 v9, 0x7fffffe0, v8
	v_dual_lshlrev_b32 v8, 1, v8 :: v_dual_sub_nc_u32 v5, v5, v9
	s_delay_alu instid0(VALU_DEP_1) | instskip(NEXT) | instid1(VALU_DEP_2)
	v_and_b32_e32 v8, 0xffffffc0, v8
	v_lshlrev_b32_e32 v5, 1, v5
	s_delay_alu instid0(VALU_DEP_1) | instskip(NEXT) | instid1(VALU_DEP_1)
	v_add3_u32 v5, v8, v5, v4
	v_sub_nc_u32_e32 v4, v73, v5
	s_delay_alu instid0(VALU_DEP_1)
	v_cmp_lt_i32_e32 vcc_lo, 1, v4
	s_and_b32 exec_lo, exec_lo, vcc_lo
	s_cbranch_execz .LBB8_1822
; %bb.1787:                             ;   in Loop: Header=BB8_895 Depth=3
	s_trap 2
	ds_load_b64 v[10:11], v0
	v_add_nc_u32_e32 v14, v5, v18
	s_mov_b32 s79, 0
	s_mov_b32 s77, 0
                                        ; implicit-def: $sgpr78
	s_delay_alu instid0(VALU_DEP_1) | instskip(NEXT) | instid1(VALU_DEP_1)
	v_ashrrev_i32_e32 v15, 31, v14
	v_add_nc_u64_e32 v[8:9], v[88:89], v[14:15]
	v_add_nc_u64_e32 v[12:13], v[14:15], v[78:79]
	s_wait_dscnt 0x0
	v_add_nc_u64_e32 v[10:11], v[10:11], v[14:15]
	s_branch .LBB8_1789
.LBB8_1788:                             ;   in Loop: Header=BB8_1789 Depth=4
	s_or_b32 exec_lo, exec_lo, s13
	s_delay_alu instid0(VALU_DEP_1) | instskip(SKIP_2) | instid1(VALU_DEP_3)
	v_dual_cndmask_b32 v18, 0, v123, s79 :: v_dual_lshrrev_b32 v5, 16, v5
	v_add_nc_u64_e32 v[14:15], v[10:11], v[118:119]
	v_dual_cndmask_b32 v17, 0, v47, s79 :: v_dual_cndmask_b32 v16, 64, v46, s79
	v_sub_nc_u32_e32 v4, v4, v18
	v_add_nc_u64_e32 v[18:19], v[12:13], v[118:119]
	flat_store_b16 v[8:9], v5 th:TH_STORE_NT
	scratch_store_b16 off, v5, s33 offset:192
	v_cndmask_b32_e64 v11, v11, v15, s79
	v_cmp_gt_i32_e32 vcc_lo, 2, v4
	s_wait_xcnt 0x1
	v_add_nc_u64_e32 v[8:9], v[8:9], v[16:17]
	v_dual_cndmask_b32 v10, v10, v14, s79 :: v_dual_cndmask_b32 v13, v13, v19, s79
	v_cndmask_b32_e64 v12, v12, v18, s79
	s_or_b32 s77, vcc_lo, s77
	s_and_not1_b32 s13, s78, exec_lo
	s_and_b32 s14, s79, exec_lo
	s_delay_alu instid0(SALU_CYCLE_1)
	s_or_b32 s78, s13, s14
	s_wait_xcnt 0x0
	s_and_not1_b32 exec_lo, exec_lo, s77
	s_cbranch_execz .LBB8_1812
.LBB8_1789:                             ;   Parent Loop BB8_47 Depth=1
                                        ;     Parent Loop BB8_892 Depth=2
                                        ;       Parent Loop BB8_895 Depth=3
                                        ; =>      This Loop Header: Depth=4
                                        ;           Child Loop BB8_1790 Depth 5
                                        ;           Child Loop BB8_1803 Depth 5
	s_add_co_i32 s13, s33, 0xc0
	s_mov_b64 s[40:41], 0
	s_mov_b32 s88, s13
	s_mov_b32 s89, -1
.LBB8_1790:                             ;   Parent Loop BB8_47 Depth=1
                                        ;     Parent Loop BB8_892 Depth=2
                                        ;       Parent Loop BB8_895 Depth=3
                                        ;         Parent Loop BB8_1789 Depth=4
                                        ; =>        This Inner Loop Header: Depth=5
	s_cmp_eq_u32 s40, 1
	s_cselect_b32 vcc_lo, -1, 0
	s_cmp_eq_u32 s40, 0
	v_dual_cndmask_b32 v15, v13, v11 :: v_dual_cndmask_b32 v14, v12, v10
	s_cselect_b32 s13, -1, 0
	s_and_b32 s14, exec_lo, s89
	s_mov_b64 s[40:41], 1
	s_mov_b32 s89, 0
	flat_load_u16 v5, v[14:15] th:TH_LOAD_NT
	s_wait_xcnt 0x0
	v_add_nc_u64_e32 v[14:15], 64, v[14:15]
	s_delay_alu instid0(VALU_DEP_1)
	v_dual_cndmask_b32 v11, v11, v15 :: v_dual_cndmask_b32 v10, v10, v14
	v_dual_cndmask_b32 v13, v13, v15, s13 :: v_dual_cndmask_b32 v12, v12, v14, s13
	s_add_co_i32 s13, s33, 0xe0
	s_mov_b32 vcc_lo, s14
	s_wait_loadcnt_dscnt 0x0
	scratch_store_b16 off, v5, s88
	s_wait_xcnt 0x0
	s_mov_b32 s88, s13
	s_cbranch_vccnz .LBB8_1790
; %bb.1791:                             ;   in Loop: Header=BB8_1789 Depth=4
	s_and_saveexec_b32 s13, s79
	s_cbranch_execz .LBB8_1801
; %bb.1792:                             ;   in Loop: Header=BB8_1789 Depth=4
	s_trap 2
	scratch_load_u16 v5, off, s33 offset:188
	ds_load_b32 v14, v0
	s_wait_loadcnt_dscnt 0x0
	v_dual_lshlrev_b32 v14, 16, v14 :: v_dual_lshlrev_b32 v5, 16, v5
	s_delay_alu instid0(VALU_DEP_1) | instskip(NEXT) | instid1(VALU_DEP_1)
	v_mul_f32_e32 v5, v14, v5
	v_and_b32_e32 v14, 0x7f800000, v5
	s_delay_alu instid0(VALU_DEP_1) | instskip(SKIP_2) | instid1(SALU_CYCLE_1)
	v_cmp_ne_u32_e32 vcc_lo, 0x7f800000, v14
                                        ; implicit-def: $vgpr14
	s_wait_xcnt 0x0
	s_and_saveexec_b32 s14, vcc_lo
	s_xor_b32 s14, exec_lo, s14
; %bb.1793:                             ;   in Loop: Header=BB8_1789 Depth=4
	v_bfe_u32 v14, v5, 16, 1
	s_delay_alu instid0(VALU_DEP_1)
	v_add3_u32 v14, v5, v14, 0x7fff
                                        ; implicit-def: $vgpr5
; %bb.1794:                             ;   in Loop: Header=BB8_1789 Depth=4
	s_and_not1_saveexec_b32 s14, s14
; %bb.1795:                             ;   in Loop: Header=BB8_1789 Depth=4
	v_and_b32_e32 v14, 0xffff, v5
	v_or_b32_e32 v15, 0x10000, v5
	s_delay_alu instid0(VALU_DEP_2) | instskip(NEXT) | instid1(VALU_DEP_2)
	v_cmp_eq_u32_e32 vcc_lo, 0, v14
	v_cndmask_b32_e32 v14, v15, v5, vcc_lo
; %bb.1796:                             ;   in Loop: Header=BB8_1789 Depth=4
	s_or_b32 exec_lo, exec_lo, s14
	scratch_load_u16 v5, off, s33 offset:190
	v_and_b32_e32 v14, 0xffff0000, v14
	s_wait_loadcnt 0x0
	v_lshlrev_b32_e32 v5, 16, v5
	s_delay_alu instid0(VALU_DEP_1) | instskip(NEXT) | instid1(VALU_DEP_1)
	v_add_f32_e32 v5, v14, v5
	v_and_b32_e32 v14, 0x7f800000, v5
	s_delay_alu instid0(VALU_DEP_1) | instskip(SKIP_2) | instid1(SALU_CYCLE_1)
	v_cmp_ne_u32_e32 vcc_lo, 0x7f800000, v14
                                        ; implicit-def: $vgpr14
	s_wait_xcnt 0x0
	s_and_saveexec_b32 s14, vcc_lo
	s_xor_b32 s14, exec_lo, s14
; %bb.1797:                             ;   in Loop: Header=BB8_1789 Depth=4
	v_bfe_u32 v14, v5, 16, 1
	s_delay_alu instid0(VALU_DEP_1)
	v_add3_u32 v14, v5, v14, 0x7fff
                                        ; implicit-def: $vgpr5
; %bb.1798:                             ;   in Loop: Header=BB8_1789 Depth=4
	s_and_not1_saveexec_b32 s14, s14
; %bb.1799:                             ;   in Loop: Header=BB8_1789 Depth=4
	v_and_b32_e32 v14, 0xffff, v5
	v_or_b32_e32 v15, 0x10000, v5
	s_delay_alu instid0(VALU_DEP_2) | instskip(NEXT) | instid1(VALU_DEP_2)
	v_cmp_eq_u32_e32 vcc_lo, 0, v14
	v_cndmask_b32_e32 v14, v15, v5, vcc_lo
; %bb.1800:                             ;   in Loop: Header=BB8_1789 Depth=4
	s_or_b32 exec_lo, exec_lo, s14
	s_delay_alu instid0(VALU_DEP_1)
	v_lshrrev_b32_e32 v5, 16, v14
	flat_store_b16 v[8:9], v5 th:TH_STORE_NT
	s_wait_xcnt 0x0
	v_add_nc_u64_e32 v[8:9], v[8:9], v[46:47]
	scratch_store_b16 off, v5, s33 offset:188
.LBB8_1801:                             ;   in Loop: Header=BB8_1789 Depth=4
	s_wait_xcnt 0x0
	s_or_b32 exec_lo, exec_lo, s13
	v_sub_nc_u32_e32 v4, v4, v123
	v_add_nc_u64_e32 v[12:13], v[12:13], v[118:119]
	v_add_nc_u64_e32 v[10:11], v[10:11], v[118:119]
	s_delay_alu instid0(VALU_DEP_3)
	v_cmp_lt_i32_e64 s79, 1, v4
	s_and_saveexec_b32 s88, s79
	s_cbranch_execz .LBB8_1804
; %bb.1802:                             ;   in Loop: Header=BB8_1789 Depth=4
	s_add_co_i32 s13, s33, 0xbc
	s_mov_b64 s[40:41], 0
	s_mov_b32 s89, s13
	s_mov_b32 s90, -1
.LBB8_1803:                             ;   Parent Loop BB8_47 Depth=1
                                        ;     Parent Loop BB8_892 Depth=2
                                        ;       Parent Loop BB8_895 Depth=3
                                        ;         Parent Loop BB8_1789 Depth=4
                                        ; =>        This Inner Loop Header: Depth=5
	s_cmp_eq_u32 s40, 1
	s_cselect_b32 vcc_lo, -1, 0
	s_cmp_eq_u32 s40, 0
	v_dual_cndmask_b32 v15, v13, v11 :: v_dual_cndmask_b32 v14, v12, v10
	s_cselect_b32 s13, -1, 0
	s_and_b32 s14, exec_lo, s90
	s_mov_b64 s[40:41], 1
	s_mov_b32 s90, 0
	flat_load_u16 v5, v[14:15] th:TH_LOAD_NT
	s_wait_xcnt 0x0
	v_add_nc_u64_e32 v[14:15], 64, v[14:15]
	s_delay_alu instid0(VALU_DEP_1)
	v_dual_cndmask_b32 v13, v13, v15, s13 :: v_dual_cndmask_b32 v12, v12, v14, s13
	v_dual_cndmask_b32 v11, v11, v15 :: v_dual_cndmask_b32 v10, v10, v14
	s_add_co_i32 s13, s33, 0xbe
	s_mov_b32 vcc_lo, s14
	s_wait_loadcnt_dscnt 0x0
	scratch_store_b16 off, v5, s89
	s_wait_xcnt 0x0
	s_mov_b32 s89, s13
	s_cbranch_vccnz .LBB8_1803
.LBB8_1804:                             ;   in Loop: Header=BB8_1789 Depth=4
	s_or_b32 exec_lo, exec_lo, s88
	s_trap 2
	scratch_load_u16 v5, off, s33 offset:192
	ds_load_b32 v14, v0
	s_wait_loadcnt_dscnt 0x0
	v_dual_lshlrev_b32 v14, 16, v14 :: v_dual_lshlrev_b32 v5, 16, v5
	s_delay_alu instid0(VALU_DEP_1) | instskip(NEXT) | instid1(VALU_DEP_1)
	v_mul_f32_e32 v5, v14, v5
	v_and_b32_e32 v14, 0x7f800000, v5
	s_delay_alu instid0(VALU_DEP_1) | instskip(SKIP_2) | instid1(SALU_CYCLE_1)
	v_cmp_ne_u32_e32 vcc_lo, 0x7f800000, v14
                                        ; implicit-def: $vgpr14
	s_wait_xcnt 0x0
	s_and_saveexec_b32 s13, vcc_lo
	s_xor_b32 s13, exec_lo, s13
; %bb.1805:                             ;   in Loop: Header=BB8_1789 Depth=4
	v_bfe_u32 v14, v5, 16, 1
	s_delay_alu instid0(VALU_DEP_1)
	v_add3_u32 v14, v5, v14, 0x7fff
                                        ; implicit-def: $vgpr5
; %bb.1806:                             ;   in Loop: Header=BB8_1789 Depth=4
	s_and_not1_saveexec_b32 s13, s13
; %bb.1807:                             ;   in Loop: Header=BB8_1789 Depth=4
	v_and_b32_e32 v14, 0xffff, v5
	v_or_b32_e32 v15, 0x10000, v5
	s_delay_alu instid0(VALU_DEP_2) | instskip(NEXT) | instid1(VALU_DEP_2)
	v_cmp_eq_u32_e32 vcc_lo, 0, v14
	v_cndmask_b32_e32 v14, v15, v5, vcc_lo
; %bb.1808:                             ;   in Loop: Header=BB8_1789 Depth=4
	s_or_b32 exec_lo, exec_lo, s13
	scratch_load_u16 v5, off, s33 offset:224
	v_and_b32_e32 v14, 0xffff0000, v14
	s_wait_loadcnt 0x0
	v_lshlrev_b32_e32 v5, 16, v5
	s_delay_alu instid0(VALU_DEP_1) | instskip(NEXT) | instid1(VALU_DEP_1)
	v_add_f32_e32 v14, v14, v5
	v_and_b32_e32 v5, 0x7f800000, v14
	s_delay_alu instid0(VALU_DEP_1) | instskip(SKIP_2) | instid1(SALU_CYCLE_1)
	v_cmp_ne_u32_e32 vcc_lo, 0x7f800000, v5
                                        ; implicit-def: $vgpr5
	s_wait_xcnt 0x0
	s_and_saveexec_b32 s13, vcc_lo
	s_xor_b32 s13, exec_lo, s13
; %bb.1809:                             ;   in Loop: Header=BB8_1789 Depth=4
	v_bfe_u32 v5, v14, 16, 1
	s_delay_alu instid0(VALU_DEP_1)
	v_add3_u32 v5, v14, v5, 0x7fff
                                        ; implicit-def: $vgpr14
; %bb.1810:                             ;   in Loop: Header=BB8_1789 Depth=4
	s_and_not1_saveexec_b32 s13, s13
	s_cbranch_execz .LBB8_1788
; %bb.1811:                             ;   in Loop: Header=BB8_1789 Depth=4
	v_and_b32_e32 v5, 0xffff, v14
	v_or_b32_e32 v15, 0x10000, v14
	s_delay_alu instid0(VALU_DEP_2) | instskip(NEXT) | instid1(VALU_DEP_2)
	v_cmp_eq_u32_e32 vcc_lo, 0, v5
	v_cndmask_b32_e32 v5, v15, v14, vcc_lo
	s_branch .LBB8_1788
.LBB8_1812:                             ;   in Loop: Header=BB8_895 Depth=3
	s_or_b32 exec_lo, exec_lo, s77
	s_delay_alu instid0(SALU_CYCLE_1)
	s_and_b32 exec_lo, exec_lo, s78
	s_cbranch_execz .LBB8_1822
; %bb.1813:                             ;   in Loop: Header=BB8_895 Depth=3
	s_trap 2
	scratch_load_u16 v4, off, s33 offset:188
	ds_load_b32 v5, v0
	s_wait_loadcnt_dscnt 0x0
	v_dual_lshlrev_b32 v5, 16, v5 :: v_dual_lshlrev_b32 v4, 16, v4
	s_delay_alu instid0(VALU_DEP_1) | instskip(NEXT) | instid1(VALU_DEP_1)
	v_mul_f32_e32 v4, v5, v4
	v_and_b32_e32 v5, 0x7f800000, v4
	s_delay_alu instid0(VALU_DEP_1) | instskip(SKIP_2) | instid1(SALU_CYCLE_1)
	v_cmp_ne_u32_e32 vcc_lo, 0x7f800000, v5
                                        ; implicit-def: $vgpr5
	s_wait_xcnt 0x0
	s_and_saveexec_b32 s13, vcc_lo
	s_xor_b32 s13, exec_lo, s13
; %bb.1814:                             ;   in Loop: Header=BB8_895 Depth=3
	v_bfe_u32 v5, v4, 16, 1
	s_delay_alu instid0(VALU_DEP_1)
	v_add3_u32 v5, v4, v5, 0x7fff
                                        ; implicit-def: $vgpr4
; %bb.1815:                             ;   in Loop: Header=BB8_895 Depth=3
	s_and_not1_saveexec_b32 s13, s13
; %bb.1816:                             ;   in Loop: Header=BB8_895 Depth=3
	v_and_b32_e32 v5, 0xffff, v4
	v_or_b32_e32 v10, 0x10000, v4
	s_delay_alu instid0(VALU_DEP_2) | instskip(NEXT) | instid1(VALU_DEP_2)
	v_cmp_eq_u32_e32 vcc_lo, 0, v5
	v_cndmask_b32_e32 v5, v10, v4, vcc_lo
; %bb.1817:                             ;   in Loop: Header=BB8_895 Depth=3
	s_or_b32 exec_lo, exec_lo, s13
	scratch_load_u16 v4, off, s33 offset:190
	v_and_b32_e32 v5, 0xffff0000, v5
	s_wait_loadcnt 0x0
	v_lshlrev_b32_e32 v4, 16, v4
	s_delay_alu instid0(VALU_DEP_1) | instskip(NEXT) | instid1(VALU_DEP_1)
	v_add_f32_e32 v4, v5, v4
	v_and_b32_e32 v5, 0x7f800000, v4
	s_delay_alu instid0(VALU_DEP_1) | instskip(SKIP_2) | instid1(SALU_CYCLE_1)
	v_cmp_ne_u32_e32 vcc_lo, 0x7f800000, v5
                                        ; implicit-def: $vgpr5
	s_wait_xcnt 0x0
	s_and_saveexec_b32 s13, vcc_lo
	s_xor_b32 s13, exec_lo, s13
; %bb.1818:                             ;   in Loop: Header=BB8_895 Depth=3
	v_bfe_u32 v5, v4, 16, 1
	s_delay_alu instid0(VALU_DEP_1)
	v_add3_u32 v5, v4, v5, 0x7fff
                                        ; implicit-def: $vgpr4
; %bb.1819:                             ;   in Loop: Header=BB8_895 Depth=3
	s_and_not1_saveexec_b32 s13, s13
; %bb.1820:                             ;   in Loop: Header=BB8_895 Depth=3
	v_and_b32_e32 v5, 0xffff, v4
	v_or_b32_e32 v10, 0x10000, v4
	s_delay_alu instid0(VALU_DEP_2) | instskip(NEXT) | instid1(VALU_DEP_2)
	v_cmp_eq_u32_e32 vcc_lo, 0, v5
	v_cndmask_b32_e32 v5, v10, v4, vcc_lo
; %bb.1821:                             ;   in Loop: Header=BB8_895 Depth=3
	s_or_b32 exec_lo, exec_lo, s13
	flat_store_d16_hi_b16 v[8:9], v5 th:TH_STORE_NT
.LBB8_1822:                             ;   in Loop: Header=BB8_895 Depth=3
	s_wait_xcnt 0x0
	s_or_b32 exec_lo, exec_lo, s15
	v_cmp_lt_i32_e64 s13, 0, v2
	s_and_saveexec_b32 s14, s2
	s_cbranch_execz .LBB8_970
.LBB8_1823:                             ;   in Loop: Header=BB8_895 Depth=3
	s_and_saveexec_b32 s15, s3
	s_delay_alu instid0(SALU_CYCLE_1)
	s_xor_b32 s15, exec_lo, s15
	s_cbranch_execz .LBB8_1838
; %bb.1824:                             ;   in Loop: Header=BB8_895 Depth=3
	s_and_saveexec_b32 s40, s6
	s_cbranch_execz .LBB8_1837
; %bb.1825:                             ;   in Loop: Header=BB8_895 Depth=3
	s_mov_b32 s77, exec_lo
	s_mov_b32 s41, exec_lo
	v_mbcnt_lo_u32_b32 v2, s77, 0
	global_wb scope:SCOPE_DEV
	s_wait_storecnt 0x0
	s_wait_loadcnt_dscnt 0x0
	global_inv scope:SCOPE_DEV
	v_cmpx_eq_u32_e32 0, v2
	s_cbranch_execz .LBB8_1827
; %bb.1826:                             ;   in Loop: Header=BB8_895 Depth=3
	s_bcnt1_i32_b32 s77, s77
	s_delay_alu instid0(SALU_CYCLE_1)
	v_mov_b32_e32 v2, s77
	s_wait_loadcnt 0x0
	ds_add_u64 v0, v[2:3]
	s_trap 2
.LBB8_1827:                             ;   in Loop: Header=BB8_895 Depth=3
	s_or_b32 exec_lo, exec_lo, s41
	s_trap 2
	ds_load_b64 v[4:5], v0
	s_wait_dscnt 0x0
	v_add_nc_u64_e32 v[80:81], v[80:81], v[84:85]
	s_mov_b32 s41, exec_lo
	s_delay_alu instid0(VALU_DEP_1)
	v_cmpx_lt_u64_e64 v[4:5], v[80:81]
	s_cbranch_execz .LBB8_1836
; %bb.1828:                             ;   in Loop: Header=BB8_895 Depth=3
	s_mov_b32 s77, 0
	s_mov_b32 s88, 0
                                        ; implicit-def: $sgpr78
                                        ; implicit-def: $sgpr79
	s_branch .LBB8_1830
.LBB8_1829:                             ;   in Loop: Header=BB8_1830 Depth=4
	s_or_b32 exec_lo, exec_lo, s90
	s_delay_alu instid0(SALU_CYCLE_1) | instskip(NEXT) | instid1(SALU_CYCLE_1)
	s_and_b32 s89, exec_lo, s91
	s_or_b32 s77, s89, s77
	s_and_not1_b32 s78, s78, exec_lo
	s_and_b32 s89, s79, exec_lo
	s_delay_alu instid0(SALU_CYCLE_1)
	s_or_b32 s78, s78, s89
	s_and_not1_b32 exec_lo, exec_lo, s77
	s_cbranch_execz .LBB8_1834
.LBB8_1830:                             ;   Parent Loop BB8_47 Depth=1
                                        ;     Parent Loop BB8_892 Depth=2
                                        ;       Parent Loop BB8_895 Depth=3
                                        ; =>      This Inner Loop Header: Depth=4
	s_add_co_i32 s88, s88, 1
	s_delay_alu instid0(SALU_CYCLE_1) | instskip(SKIP_1) | instid1(SALU_CYCLE_1)
	s_cmp_lg_u32 s88, 0x2710
	s_cselect_b32 s89, -1, 0
	s_and_b32 vcc_lo, exec_lo, s89
	s_cbranch_vccz .LBB8_1832
; %bb.1831:                             ;   in Loop: Header=BB8_1830 Depth=4
	s_mov_b32 s91, -1
	s_or_b32 s79, s79, exec_lo
	s_and_saveexec_b32 s90, s89
	s_cbranch_execz .LBB8_1829
	s_branch .LBB8_1833
.LBB8_1832:                             ;   in Loop: Header=BB8_1830 Depth=4
	s_trap 2
	ds_load_b64 v[4:5], v0
	s_and_not1_b32 s89, s89, exec_lo
	s_mov_b32 s88, 0
	s_wait_loadcnt_dscnt 0x0
	flat_load_b32 v2, v[4:5] scope:SCOPE_SYS
	s_wait_loadcnt_dscnt 0x0
	global_inv scope:SCOPE_SYS
	v_cmp_eq_u32_e32 vcc_lo, 0, v2
	s_and_b32 s90, vcc_lo, exec_lo
	s_delay_alu instid0(SALU_CYCLE_1)
	s_or_b32 s89, s89, s90
	s_mov_b32 s91, -1
	s_or_b32 s79, s79, exec_lo
	s_wait_xcnt 0x0
	s_and_saveexec_b32 s90, s89
	s_cbranch_execz .LBB8_1829
.LBB8_1833:                             ;   in Loop: Header=BB8_1830 Depth=4
	s_sleep 1
	s_trap 2
	ds_load_b64 v[4:5], v0
	s_wait_dscnt 0x0
	s_and_not1_b32 s79, s79, exec_lo
	v_cmp_ge_u64_e32 vcc_lo, v[4:5], v[80:81]
	s_or_not1_b32 s91, vcc_lo, exec_lo
	s_branch .LBB8_1829
.LBB8_1834:                             ;   in Loop: Header=BB8_895 Depth=3
	s_or_b32 exec_lo, exec_lo, s77
	s_and_saveexec_b32 s77, s78
	s_delay_alu instid0(SALU_CYCLE_1)
	s_xor_b32 s77, exec_lo, s77
	s_cbranch_execz .LBB8_1836
; %bb.1835:                             ;   in Loop: Header=BB8_895 Depth=3
	ds_store_b32 v0, v111
	s_trap 2
.LBB8_1836:                             ;   in Loop: Header=BB8_895 Depth=3
	s_or_b32 exec_lo, exec_lo, s41
	;;#ASMSTART
	s_wakeup
	;;#ASMEND
.LBB8_1837:                             ;   in Loop: Header=BB8_895 Depth=3
	s_or_b32 exec_lo, exec_lo, s40
.LBB8_1838:                             ;   in Loop: Header=BB8_895 Depth=3
	s_and_not1_saveexec_b32 s15, s15
	s_cbranch_execz .LBB8_1840
; %bb.1839:                             ;   in Loop: Header=BB8_895 Depth=3
	global_wb scope:SCOPE_DEV
	s_wait_storecnt 0x0
	s_wait_loadcnt_dscnt 0x0
	global_inv scope:SCOPE_DEV
	s_barrier_signal -1
	s_barrier_wait -1
.LBB8_1840:                             ;   in Loop: Header=BB8_895 Depth=3
	s_or_b32 exec_lo, exec_lo, s15
	s_delay_alu instid0(SALU_CYCLE_1) | instskip(SKIP_1) | instid1(SALU_CYCLE_1)
	s_or_b32 exec_lo, exec_lo, s14
                                        ; implicit-def: $vgpr2
	s_and_saveexec_b32 s14, s12
	s_xor_b32 s14, exec_lo, s14
	s_cbranch_execnz .LBB8_971
.LBB8_1841:                             ;   in Loop: Header=BB8_895 Depth=3
	s_and_not1_saveexec_b32 s13, s14
	s_cbranch_execz .LBB8_1860
.LBB8_1842:                             ;   in Loop: Header=BB8_895 Depth=3
	s_and_saveexec_b32 s14, s3
	s_delay_alu instid0(SALU_CYCLE_1)
	s_xor_b32 s14, exec_lo, s14
	s_cbranch_execz .LBB8_1857
; %bb.1843:                             ;   in Loop: Header=BB8_895 Depth=3
	s_and_saveexec_b32 s15, s6
	s_cbranch_execz .LBB8_1856
; %bb.1844:                             ;   in Loop: Header=BB8_895 Depth=3
	s_mov_b32 s41, exec_lo
	s_mov_b32 s40, exec_lo
	v_mbcnt_lo_u32_b32 v2, s41, 0
	;;#ASMSTART
	s_waitcnt lgkmcnt(0) vmcnt(0)
	;;#ASMEND
	s_delay_alu instid0(VALU_DEP_1)
	v_cmpx_eq_u32_e32 0, v2
	s_cbranch_execz .LBB8_1846
; %bb.1845:                             ;   in Loop: Header=BB8_895 Depth=3
	s_bcnt1_i32_b32 s41, s41
	s_delay_alu instid0(SALU_CYCLE_1)
	v_mov_b32_e32 v2, s41
	s_wait_storecnt 0x0
	s_wait_loadcnt_dscnt 0x0
	ds_add_u64 v0, v[2:3]
	s_trap 2
.LBB8_1846:                             ;   in Loop: Header=BB8_895 Depth=3
	s_or_b32 exec_lo, exec_lo, s40
	s_trap 2
	ds_load_b64 v[4:5], v0
	s_wait_dscnt 0x0
	v_add_nc_u64_e32 v[80:81], v[80:81], v[84:85]
	s_mov_b32 s40, exec_lo
	s_delay_alu instid0(VALU_DEP_1)
	v_cmpx_lt_u64_e64 v[4:5], v[80:81]
	s_cbranch_execz .LBB8_1855
; %bb.1847:                             ;   in Loop: Header=BB8_895 Depth=3
	s_mov_b32 s41, 0
	s_mov_b32 s79, 0
                                        ; implicit-def: $sgpr77
                                        ; implicit-def: $sgpr78
	s_branch .LBB8_1849
.LBB8_1848:                             ;   in Loop: Header=BB8_1849 Depth=4
	s_or_b32 exec_lo, exec_lo, s89
	s_delay_alu instid0(SALU_CYCLE_1) | instskip(NEXT) | instid1(SALU_CYCLE_1)
	s_and_b32 s88, exec_lo, s90
	s_or_b32 s41, s88, s41
	s_and_not1_b32 s77, s77, exec_lo
	s_and_b32 s88, s78, exec_lo
	s_delay_alu instid0(SALU_CYCLE_1)
	s_or_b32 s77, s77, s88
	s_and_not1_b32 exec_lo, exec_lo, s41
	s_cbranch_execz .LBB8_1853
.LBB8_1849:                             ;   Parent Loop BB8_47 Depth=1
                                        ;     Parent Loop BB8_892 Depth=2
                                        ;       Parent Loop BB8_895 Depth=3
                                        ; =>      This Inner Loop Header: Depth=4
	s_add_co_i32 s79, s79, 1
	s_delay_alu instid0(SALU_CYCLE_1) | instskip(SKIP_1) | instid1(SALU_CYCLE_1)
	s_cmp_lg_u32 s79, 0x2710
	s_cselect_b32 s88, -1, 0
	s_and_b32 vcc_lo, exec_lo, s88
	s_cbranch_vccz .LBB8_1851
; %bb.1850:                             ;   in Loop: Header=BB8_1849 Depth=4
	s_mov_b32 s90, -1
	s_or_b32 s78, s78, exec_lo
	s_and_saveexec_b32 s89, s88
	s_cbranch_execz .LBB8_1848
	s_branch .LBB8_1852
.LBB8_1851:                             ;   in Loop: Header=BB8_1849 Depth=4
	s_trap 2
	ds_load_b64 v[4:5], v0
	s_and_not1_b32 s88, s88, exec_lo
	s_mov_b32 s79, 0
	s_wait_storecnt 0x0
	s_wait_loadcnt_dscnt 0x0
	flat_load_b32 v2, v[4:5] scope:SCOPE_SYS
	s_wait_loadcnt_dscnt 0x0
	global_inv scope:SCOPE_SYS
	v_cmp_eq_u32_e32 vcc_lo, 0, v2
	s_and_b32 s89, vcc_lo, exec_lo
	s_delay_alu instid0(SALU_CYCLE_1)
	s_or_b32 s88, s88, s89
	s_mov_b32 s90, -1
	s_or_b32 s78, s78, exec_lo
	s_wait_xcnt 0x0
	s_and_saveexec_b32 s89, s88
	s_cbranch_execz .LBB8_1848
.LBB8_1852:                             ;   in Loop: Header=BB8_1849 Depth=4
	s_sleep 1
	s_trap 2
	ds_load_b64 v[4:5], v0
	s_wait_dscnt 0x0
	s_and_not1_b32 s78, s78, exec_lo
	v_cmp_ge_u64_e32 vcc_lo, v[4:5], v[80:81]
	s_or_not1_b32 s90, vcc_lo, exec_lo
	s_branch .LBB8_1848
.LBB8_1853:                             ;   in Loop: Header=BB8_895 Depth=3
	s_or_b32 exec_lo, exec_lo, s41
	s_and_saveexec_b32 s41, s77
	s_delay_alu instid0(SALU_CYCLE_1)
	s_xor_b32 s41, exec_lo, s41
	s_cbranch_execz .LBB8_1855
; %bb.1854:                             ;   in Loop: Header=BB8_895 Depth=3
	ds_store_b32 v0, v111
	s_trap 2
.LBB8_1855:                             ;   in Loop: Header=BB8_895 Depth=3
	s_or_b32 exec_lo, exec_lo, s40
	;;#ASMSTART
	s_wakeup
	;;#ASMEND
.LBB8_1856:                             ;   in Loop: Header=BB8_895 Depth=3
	s_or_b32 exec_lo, exec_lo, s15
.LBB8_1857:                             ;   in Loop: Header=BB8_895 Depth=3
	s_and_not1_saveexec_b32 s14, s14
	s_cbranch_execz .LBB8_1859
; %bb.1858:                             ;   in Loop: Header=BB8_895 Depth=3
	;;#ASMSTART
	s_waitcnt lgkmcnt(0) vmcnt(0)
	;;#ASMEND
	s_barrier_signal -1
	s_barrier_wait -1
.LBB8_1859:                             ;   in Loop: Header=BB8_895 Depth=3
	s_or_b32 exec_lo, exec_lo, s14
	v_and_b32_e32 v2, 16, v30
.LBB8_1860:                             ;   in Loop: Header=BB8_895 Depth=3
	s_or_b32 exec_lo, exec_lo, s13
	s_delay_alu instid0(VALU_DEP_1) | instskip(SKIP_1) | instid1(SALU_CYCLE_1)
	v_cmp_ne_u32_e32 vcc_lo, 0, v2
	s_xor_b32 s13, s4, -1
	s_and_b32 s14, vcc_lo, s13
	s_delay_alu instid0(SALU_CYCLE_1)
	s_and_saveexec_b32 s13, s14
	s_cbranch_execz .LBB8_1862
; %bb.1861:                             ;   in Loop: Header=BB8_895 Depth=3
	global_wb scope:SCOPE_SYS
	s_wait_storecnt 0x0
	s_wait_loadcnt_dscnt 0x0
	flat_store_b32 v[70:71], v111 scope:SCOPE_SYS
.LBB8_1862:                             ;   in Loop: Header=BB8_895 Depth=3
	s_wait_xcnt 0x0
	s_or_b32 exec_lo, exec_lo, s13
	v_and_b32_e32 v2, 48, v30
	s_mov_b32 s13, exec_lo
	s_delay_alu instid0(VALU_DEP_1)
	v_cmpx_ne_u32_e32 0, v2
	s_cbranch_execz .LBB8_894
; %bb.1863:                             ;   in Loop: Header=BB8_895 Depth=3
	v_add_nc_u64_e32 v[58:59], 2, v[58:59]
	global_wb scope:SCOPE_SYS
	s_wait_storecnt 0x0
	s_wait_loadcnt_dscnt 0x0
	flat_store_b64 v[64:65], v[58:59] scope:SCOPE_SYS
	s_branch .LBB8_894
.LBB8_1864:                             ;   in Loop: Header=BB8_892 Depth=2
	s_or_b32 exec_lo, exec_lo, s74
.LBB8_1865:                             ;   in Loop: Header=BB8_892 Depth=2
	s_delay_alu instid0(SALU_CYCLE_1) | instskip(NEXT) | instid1(SALU_CYCLE_1)
	s_or_b32 exec_lo, exec_lo, s27
	s_mov_b32 s14, exec_lo
	v_cmpx_gt_i32_e32 2, v2
	s_cbranch_execz .LBB8_891
; %bb.1866:                             ;   in Loop: Header=BB8_892 Depth=2
	v_cmp_eq_u32_e64 s27, 0, v2
	s_mov_b32 s15, 0
	s_branch .LBB8_1868
.LBB8_1867:                             ;   in Loop: Header=BB8_1868 Depth=3
	s_wait_xcnt 0x0
	s_or_b32 exec_lo, exec_lo, s13
	v_add_nc_u32_e32 v74, v72, v74
	s_mov_b32 s27, 0
	s_and_not1_b32 exec_lo, exec_lo, s15
	s_cbranch_execz .LBB8_890
.LBB8_1868:                             ;   Parent Loop BB8_47 Depth=1
                                        ;     Parent Loop BB8_892 Depth=2
                                        ; =>    This Loop Header: Depth=3
                                        ;         Child Loop BB8_1874 Depth 4
                                        ;         Child Loop BB8_1902 Depth 4
	;; [unrolled: 1-line block ×3, first 2 shown]
	s_delay_alu instid0(VALU_DEP_1) | instskip(SKIP_2) | instid1(VALU_DEP_2)
	v_sub_nc_u32_e32 v2, v104, v74
	v_and_b32_e32 v4, 12, v30
	s_mov_b32 s40, exec_lo
	v_min_i32_e32 v72, v72, v2
	s_delay_alu instid0(VALU_DEP_2)
	v_cmpx_ne_u32_e32 0, v4
	s_cbranch_execz .LBB8_1894
; %bb.1869:                             ;   in Loop: Header=BB8_1868 Depth=3
	v_and_b32_e32 v2, 8, v30
	v_add_nc_u64_e32 v[8:9], 2, v[58:59]
	s_mov_b32 s41, exec_lo
	s_wait_loadcnt_dscnt 0x1
	s_delay_alu instid0(VALU_DEP_2) | instskip(NEXT) | instid1(VALU_DEP_1)
	v_add_nc_u64_e32 v[4:5], v[82:83], v[2:3]
	v_cmpx_lt_u64_e64 v[4:5], v[8:9]
	s_cbranch_execz .LBB8_1881
; %bb.1870:                             ;   in Loop: Header=BB8_1868 Depth=3
	v_and_b32_e32 v4, 64, v30
	s_mov_b32 s74, 0
	s_mov_b32 s78, 0
                                        ; implicit-def: $sgpr75
                                        ; implicit-def: $sgpr76
                                        ; implicit-def: $sgpr77
	s_delay_alu instid0(VALU_DEP_1)
	v_cmp_eq_u32_e32 vcc_lo, 0, v4
	s_branch .LBB8_1874
.LBB8_1871:                             ;   in Loop: Header=BB8_1874 Depth=4
	s_wait_loadcnt_dscnt 0x0
	v_add_nc_u64_e32 v[10:11], v[82:83], v[2:3]
	s_or_b32 s89, s89, exec_lo
	s_delay_alu instid0(VALU_DEP_1)
	v_cmp_ge_u64_e64 s13, v[10:11], v[8:9]
	s_or_not1_b32 s88, s13, exec_lo
.LBB8_1872:                             ;   in Loop: Header=BB8_1874 Depth=4
	s_or_b32 exec_lo, exec_lo, s91
	s_delay_alu instid0(SALU_CYCLE_1)
	s_and_not1_b32 s13, s77, exec_lo
	s_and_b32 s77, s89, exec_lo
	s_and_not1_b32 s76, s76, exec_lo
	s_and_b32 s88, s88, exec_lo
	s_or_b32 s77, s13, s77
	s_or_b32 s76, s76, s88
.LBB8_1873:                             ;   in Loop: Header=BB8_1874 Depth=4
	s_or_b32 exec_lo, exec_lo, s79
	s_delay_alu instid0(SALU_CYCLE_1) | instskip(NEXT) | instid1(SALU_CYCLE_1)
	s_and_b32 s13, exec_lo, s76
	s_or_b32 s74, s13, s74
	s_and_not1_b32 s13, s75, exec_lo
	s_and_b32 s75, s77, exec_lo
	s_delay_alu instid0(SALU_CYCLE_1)
	s_or_b32 s75, s13, s75
	s_and_not1_b32 exec_lo, exec_lo, s74
	s_cbranch_execz .LBB8_1878
.LBB8_1874:                             ;   Parent Loop BB8_47 Depth=1
                                        ;     Parent Loop BB8_892 Depth=2
                                        ;       Parent Loop BB8_1868 Depth=3
                                        ; =>      This Inner Loop Header: Depth=4
	s_sleep 1
	s_wait_loadcnt_dscnt 0x0
	flat_load_b64 v[82:83], v[64:65] scope:SCOPE_SYS
	s_or_b32 s77, s77, exec_lo
	s_or_b32 s76, s76, exec_lo
                                        ; implicit-def: $vgpr4
	s_wait_xcnt 0x0
	s_and_saveexec_b32 s79, vcc_lo
	s_cbranch_execz .LBB8_1873
; %bb.1875:                             ;   in Loop: Header=BB8_1874 Depth=4
	s_cmp_lt_i32 s78, 0x270f
	s_mov_b32 s88, -1
	s_cselect_b32 s90, -1, 0
	s_cmp_gt_i32 s78, 0x270e
	s_cbranch_scc0 .LBB8_1877
; %bb.1876:                             ;   in Loop: Header=BB8_1874 Depth=4
	s_trap 2
	ds_load_b64 v[4:5], v0
	s_and_not1_b32 s78, s90, exec_lo
	s_mov_b32 s89, 0
	s_wait_storecnt 0x0
	s_wait_loadcnt_dscnt 0x0
	flat_load_b32 v4, v[4:5] scope:SCOPE_SYS
	s_wait_loadcnt_dscnt 0x0
	global_inv scope:SCOPE_SYS
	v_cmp_eq_u32_e64 s13, 0, v4
	s_and_b32 s13, s13, exec_lo
	s_delay_alu instid0(SALU_CYCLE_1)
	s_or_b32 s90, s78, s13
	s_mov_b32 s78, 0
	s_wait_xcnt 0x0
	s_and_saveexec_b32 s91, s90
	s_cbranch_execz .LBB8_1872
	s_branch .LBB8_1871
.LBB8_1877:                             ;   in Loop: Header=BB8_1874 Depth=4
	s_add_co_i32 s78, s78, 1
	s_mov_b32 s89, -1
                                        ; implicit-def: $vgpr4
	s_and_saveexec_b32 s91, s90
	s_cbranch_execz .LBB8_1872
	s_branch .LBB8_1871
.LBB8_1878:                             ;   in Loop: Header=BB8_1868 Depth=3
	s_or_b32 exec_lo, exec_lo, s74
	s_xor_b32 s13, s75, -1
	s_delay_alu instid0(SALU_CYCLE_1) | instskip(NEXT) | instid1(SALU_CYCLE_1)
	s_and_saveexec_b32 s74, s13
	s_xor_b32 s13, exec_lo, s74
	s_cbranch_execz .LBB8_1880
; %bb.1879:                             ;   in Loop: Header=BB8_1868 Depth=3
	v_or_b32_e32 v30, 64, v30
	s_wait_storecnt 0x0
	s_wait_loadcnt_dscnt 0x0
	ds_store_b32 v0, v4
	s_trap 2
.LBB8_1880:                             ;   in Loop: Header=BB8_1868 Depth=3
	s_or_b32 exec_lo, exec_lo, s13
.LBB8_1881:                             ;   in Loop: Header=BB8_1868 Depth=3
	s_delay_alu instid0(SALU_CYCLE_1) | instskip(SKIP_3) | instid1(VALU_DEP_1)
	s_or_b32 exec_lo, exec_lo, s41
	v_and_b32_e32 v4, 0x108, v30
	s_mov_b32 s13, exec_lo
	;;#ASMSTART
	s_wakeup
	;;#ASMEND
                                        ; implicit-def: $vgpr10_vgpr11
	v_cmpx_ne_u32_e32 0x108, v4
	s_xor_b32 s13, exec_lo, s13
; %bb.1882:                             ;   in Loop: Header=BB8_1868 Depth=3
	v_dual_mov_b32 v11, v3 :: v_dual_bitop2_b32 v10, 7, v58 bitop3:0x40
                                        ; implicit-def: $vgpr58_vgpr59
; %bb.1883:                             ;   in Loop: Header=BB8_1868 Depth=3
	s_and_not1_saveexec_b32 s13, s13
	s_cbranch_execz .LBB8_1885
; %bb.1884:                             ;   in Loop: Header=BB8_1868 Depth=3
	v_dual_ashrrev_i32 v73, 31, v72 :: v_dual_bitop2_b32 v10, 7, v58 bitop3:0x40
	v_mov_b32_e32 v11, v3
	s_delay_alu instid0(VALU_DEP_2) | instskip(NEXT) | instid1(VALU_DEP_3)
	v_mad_nc_u64_u32 v[4:5], v10, 24, v[6:7]
	v_lshlrev_b64_e32 v[12:13], 1, v[72:73]
	flat_store_b64 v[4:5], v[12:13] offset:8
.LBB8_1885:                             ;   in Loop: Header=BB8_1868 Depth=3
	s_wait_xcnt 0x0
	s_or_b32 exec_lo, exec_lo, s13
	v_and_b32_e32 v4, 0x100, v30
	s_mov_b32 s13, -1
	s_mov_b32 s41, exec_lo
                                        ; implicit-def: $vgpr12_vgpr13
	s_delay_alu instid0(VALU_DEP_1)
	v_cmpx_ne_u32_e32 0, v4
	s_cbranch_execz .LBB8_1889
; %bb.1886:                             ;   in Loop: Header=BB8_1868 Depth=3
	v_mad_nc_u64_u32 v[14:15], v10, 24, v[6:7]
	s_mov_b32 s74, exec_lo
                                        ; implicit-def: $vgpr12_vgpr13
	s_delay_alu instid0(VALU_DEP_1)
	v_mad_u32 v15, v11, 24, v15
	flat_load_b32 v4, v[14:15]
	s_wait_loadcnt_dscnt 0x0
	v_cmp_ne_u32_e32 vcc_lo, 1, v4
	s_wait_xcnt 0x0
	v_cmpx_eq_u32_e32 1, v4
	s_cbranch_execz .LBB8_1888
; %bb.1887:                             ;   in Loop: Header=BB8_1868 Depth=3
	flat_load_b32 v4, v[14:15] offset:4 scope:SCOPE_SYS
	s_wait_loadcnt_dscnt 0x0
	v_ashrrev_i32_e32 v5, 31, v4
	s_delay_alu instid0(VALU_DEP_1)
	v_lshrrev_b64 v[12:13], 1, v[4:5]
.LBB8_1888:                             ;   in Loop: Header=BB8_1868 Depth=3
	s_wait_xcnt 0x0
	s_or_b32 exec_lo, exec_lo, s74
	s_delay_alu instid0(SALU_CYCLE_1)
	s_or_not1_b32 s13, vcc_lo, exec_lo
.LBB8_1889:                             ;   in Loop: Header=BB8_1868 Depth=3
	s_or_b32 exec_lo, exec_lo, s41
	s_and_saveexec_b32 s41, s13
; %bb.1890:                             ;   in Loop: Header=BB8_1868 Depth=3
	v_mul_u64_e32 v[12:13], v[10:11], v[66:67]
; %bb.1891:                             ;   in Loop: Header=BB8_1868 Depth=3
	s_or_b32 exec_lo, exec_lo, s41
	v_cmp_eq_u32_e32 vcc_lo, 0, v2
	v_and_b32_e32 v10, 0x2000, v30
	s_delay_alu instid0(VALU_DEP_3) | instskip(SKIP_2) | instid1(VALU_DEP_1)
	v_lshl_add_u64 v[4:5], v[12:13], 1, v[68:69]
	s_mov_b32 s13, exec_lo
	v_cndmask_b32_e32 v2, 0xc8, v120, vcc_lo
	v_add_nc_u32_e32 v2, v0, v2
	ds_store_b64 v2, v[4:5] offset:584
	v_cmpx_ne_u32_e32 0, v10
	s_cbranch_execz .LBB8_1893
; %bb.1892:                             ;   in Loop: Header=BB8_1868 Depth=3
	ds_load_b64 v[4:5], v0 offset:872
	s_wait_dscnt 0x0
	v_add_nc_u64_e32 v[4:5], 1, v[4:5]
	ds_store_b64 v0, v[4:5] offset:872
.LBB8_1893:                             ;   in Loop: Header=BB8_1868 Depth=3
	s_or_b32 exec_lo, exec_lo, s13
	v_mov_b64_e32 v[58:59], v[8:9]
.LBB8_1894:                             ;   in Loop: Header=BB8_1868 Depth=3
	s_or_b32 exec_lo, exec_lo, s40
	s_xor_b32 s13, s27, -1
	s_delay_alu instid0(SALU_CYCLE_1) | instskip(NEXT) | instid1(SALU_CYCLE_1)
	s_and_b32 s13, exec_lo, s13
	s_or_b32 s15, s13, s15
	s_and_saveexec_b32 s13, s2
	s_cbranch_execz .LBB8_1913
; %bb.1895:                             ;   in Loop: Header=BB8_1868 Depth=3
	s_and_saveexec_b32 s27, s3
	s_delay_alu instid0(SALU_CYCLE_1)
	s_xor_b32 s27, exec_lo, s27
	s_cbranch_execz .LBB8_1910
; %bb.1896:                             ;   in Loop: Header=BB8_1868 Depth=3
	s_and_saveexec_b32 s40, s6
	s_cbranch_execz .LBB8_1909
; %bb.1897:                             ;   in Loop: Header=BB8_1868 Depth=3
	s_mov_b32 s74, exec_lo
	s_mov_b32 s41, exec_lo
	v_mbcnt_lo_u32_b32 v2, s74, 0
	global_wb scope:SCOPE_DEV
	s_wait_storecnt 0x0
	s_wait_loadcnt_dscnt 0x0
	global_inv scope:SCOPE_DEV
	v_cmpx_eq_u32_e32 0, v2
	s_cbranch_execz .LBB8_1899
; %bb.1898:                             ;   in Loop: Header=BB8_1868 Depth=3
	s_bcnt1_i32_b32 s74, s74
	s_delay_alu instid0(SALU_CYCLE_1)
	v_mov_b32_e32 v2, s74
	s_wait_loadcnt 0x0
	ds_add_u64 v0, v[2:3]
	s_trap 2
.LBB8_1899:                             ;   in Loop: Header=BB8_1868 Depth=3
	s_or_b32 exec_lo, exec_lo, s41
	s_trap 2
	ds_load_b64 v[4:5], v0
	s_wait_dscnt 0x0
	v_add_nc_u64_e32 v[80:81], v[80:81], v[84:85]
	s_mov_b32 s41, exec_lo
	s_delay_alu instid0(VALU_DEP_1)
	v_cmpx_lt_u64_e64 v[4:5], v[80:81]
	s_cbranch_execz .LBB8_1908
; %bb.1900:                             ;   in Loop: Header=BB8_1868 Depth=3
	s_mov_b32 s74, 0
	s_mov_b32 s77, 0
                                        ; implicit-def: $sgpr75
                                        ; implicit-def: $sgpr76
	s_branch .LBB8_1902
.LBB8_1901:                             ;   in Loop: Header=BB8_1902 Depth=4
	s_or_b32 exec_lo, exec_lo, s79
	s_delay_alu instid0(SALU_CYCLE_1) | instskip(NEXT) | instid1(SALU_CYCLE_1)
	s_and_b32 s78, exec_lo, s88
	s_or_b32 s74, s78, s74
	s_and_not1_b32 s75, s75, exec_lo
	s_and_b32 s78, s76, exec_lo
	s_delay_alu instid0(SALU_CYCLE_1)
	s_or_b32 s75, s75, s78
	s_and_not1_b32 exec_lo, exec_lo, s74
	s_cbranch_execz .LBB8_1906
.LBB8_1902:                             ;   Parent Loop BB8_47 Depth=1
                                        ;     Parent Loop BB8_892 Depth=2
                                        ;       Parent Loop BB8_1868 Depth=3
                                        ; =>      This Inner Loop Header: Depth=4
	s_add_co_i32 s77, s77, 1
	s_delay_alu instid0(SALU_CYCLE_1) | instskip(SKIP_1) | instid1(SALU_CYCLE_1)
	s_cmp_lg_u32 s77, 0x2710
	s_cselect_b32 s78, -1, 0
	s_and_b32 vcc_lo, exec_lo, s78
	s_cbranch_vccz .LBB8_1904
; %bb.1903:                             ;   in Loop: Header=BB8_1902 Depth=4
	s_mov_b32 s88, -1
	s_or_b32 s76, s76, exec_lo
	s_and_saveexec_b32 s79, s78
	s_cbranch_execz .LBB8_1901
	s_branch .LBB8_1905
.LBB8_1904:                             ;   in Loop: Header=BB8_1902 Depth=4
	s_trap 2
	ds_load_b64 v[4:5], v0
	s_and_not1_b32 s78, s78, exec_lo
	s_mov_b32 s77, 0
	s_wait_loadcnt_dscnt 0x0
	flat_load_b32 v2, v[4:5] scope:SCOPE_SYS
	s_wait_loadcnt_dscnt 0x0
	global_inv scope:SCOPE_SYS
	v_cmp_eq_u32_e32 vcc_lo, 0, v2
	s_and_b32 s79, vcc_lo, exec_lo
	s_delay_alu instid0(SALU_CYCLE_1)
	s_or_b32 s78, s78, s79
	s_mov_b32 s88, -1
	s_or_b32 s76, s76, exec_lo
	s_wait_xcnt 0x0
	s_and_saveexec_b32 s79, s78
	s_cbranch_execz .LBB8_1901
.LBB8_1905:                             ;   in Loop: Header=BB8_1902 Depth=4
	s_sleep 1
	s_trap 2
	ds_load_b64 v[4:5], v0
	s_wait_dscnt 0x0
	s_and_not1_b32 s76, s76, exec_lo
	v_cmp_ge_u64_e32 vcc_lo, v[4:5], v[80:81]
	s_or_not1_b32 s88, vcc_lo, exec_lo
	s_branch .LBB8_1901
.LBB8_1906:                             ;   in Loop: Header=BB8_1868 Depth=3
	s_or_b32 exec_lo, exec_lo, s74
	s_and_saveexec_b32 s74, s75
	s_delay_alu instid0(SALU_CYCLE_1)
	s_xor_b32 s74, exec_lo, s74
	s_cbranch_execz .LBB8_1908
; %bb.1907:                             ;   in Loop: Header=BB8_1868 Depth=3
	ds_store_b32 v0, v111
	s_trap 2
.LBB8_1908:                             ;   in Loop: Header=BB8_1868 Depth=3
	s_or_b32 exec_lo, exec_lo, s41
	;;#ASMSTART
	s_wakeup
	;;#ASMEND
.LBB8_1909:                             ;   in Loop: Header=BB8_1868 Depth=3
	s_or_b32 exec_lo, exec_lo, s40
.LBB8_1910:                             ;   in Loop: Header=BB8_1868 Depth=3
	s_and_not1_saveexec_b32 s27, s27
	s_cbranch_execz .LBB8_1912
; %bb.1911:                             ;   in Loop: Header=BB8_1868 Depth=3
	global_wb scope:SCOPE_DEV
	s_wait_storecnt 0x0
	s_wait_loadcnt_dscnt 0x0
	global_inv scope:SCOPE_DEV
	s_barrier_signal -1
	s_barrier_wait -1
.LBB8_1912:                             ;   in Loop: Header=BB8_1868 Depth=3
	s_or_b32 exec_lo, exec_lo, s27
.LBB8_1913:                             ;   in Loop: Header=BB8_1868 Depth=3
	s_delay_alu instid0(SALU_CYCLE_1) | instskip(SKIP_1) | instid1(SALU_CYCLE_1)
	s_or_b32 exec_lo, exec_lo, s13
                                        ; implicit-def: $vgpr2
	s_and_saveexec_b32 s13, s61
	s_xor_b32 s13, exec_lo, s13
	s_cbranch_execz .LBB8_1925
; %bb.1914:                             ;   in Loop: Header=BB8_1868 Depth=3
	s_and_saveexec_b32 s27, s3
	s_delay_alu instid0(SALU_CYCLE_1)
	s_xor_b32 s27, exec_lo, s27
	s_cbranch_execz .LBB8_1930
; %bb.1915:                             ;   in Loop: Header=BB8_1868 Depth=3
	s_and_saveexec_b32 s40, s6
	s_cbranch_execz .LBB8_1929
; %bb.1916:                             ;   in Loop: Header=BB8_1868 Depth=3
	s_mov_b32 s74, exec_lo
	s_mov_b32 s41, exec_lo
	v_mbcnt_lo_u32_b32 v2, s74, 0
	;;#ASMSTART
	s_waitcnt lgkmcnt(0) vmcnt(0)
	;;#ASMEND
	s_delay_alu instid0(VALU_DEP_1)
	v_cmpx_eq_u32_e32 0, v2
	s_cbranch_execz .LBB8_1918
; %bb.1917:                             ;   in Loop: Header=BB8_1868 Depth=3
	s_bcnt1_i32_b32 s74, s74
	s_delay_alu instid0(SALU_CYCLE_1)
	v_mov_b32_e32 v2, s74
	s_wait_storecnt 0x0
	s_wait_loadcnt_dscnt 0x0
	ds_add_u64 v0, v[2:3]
	s_trap 2
.LBB8_1918:                             ;   in Loop: Header=BB8_1868 Depth=3
	s_or_b32 exec_lo, exec_lo, s41
	s_trap 2
	ds_load_b64 v[4:5], v0
	s_wait_dscnt 0x0
	v_add_nc_u64_e32 v[80:81], v[80:81], v[84:85]
	s_mov_b32 s41, exec_lo
	s_delay_alu instid0(VALU_DEP_1)
	v_cmpx_lt_u64_e64 v[4:5], v[80:81]
	s_cbranch_execz .LBB8_1928
; %bb.1919:                             ;   in Loop: Header=BB8_1868 Depth=3
	s_mov_b32 s74, 0
	s_mov_b32 s77, 0
                                        ; implicit-def: $sgpr75
                                        ; implicit-def: $sgpr76
	s_branch .LBB8_1921
.LBB8_1920:                             ;   in Loop: Header=BB8_1921 Depth=4
	s_or_b32 exec_lo, exec_lo, s79
	s_delay_alu instid0(SALU_CYCLE_1) | instskip(NEXT) | instid1(SALU_CYCLE_1)
	s_and_b32 s78, exec_lo, s88
	s_or_b32 s74, s78, s74
	s_and_not1_b32 s75, s75, exec_lo
	s_and_b32 s78, s76, exec_lo
	s_delay_alu instid0(SALU_CYCLE_1)
	s_or_b32 s75, s75, s78
	s_and_not1_b32 exec_lo, exec_lo, s74
	s_cbranch_execz .LBB8_1926
.LBB8_1921:                             ;   Parent Loop BB8_47 Depth=1
                                        ;     Parent Loop BB8_892 Depth=2
                                        ;       Parent Loop BB8_1868 Depth=3
                                        ; =>      This Inner Loop Header: Depth=4
	s_add_co_i32 s77, s77, 1
	s_delay_alu instid0(SALU_CYCLE_1) | instskip(SKIP_1) | instid1(SALU_CYCLE_1)
	s_cmp_lg_u32 s77, 0x2710
	s_cselect_b32 s78, -1, 0
	s_and_b32 vcc_lo, exec_lo, s78
	s_cbranch_vccz .LBB8_1923
; %bb.1922:                             ;   in Loop: Header=BB8_1921 Depth=4
	s_mov_b32 s88, -1
	s_or_b32 s76, s76, exec_lo
	s_and_saveexec_b32 s79, s78
	s_cbranch_execz .LBB8_1920
	s_branch .LBB8_1924
.LBB8_1923:                             ;   in Loop: Header=BB8_1921 Depth=4
	s_trap 2
	ds_load_b64 v[4:5], v0
	s_and_not1_b32 s78, s78, exec_lo
	s_mov_b32 s77, 0
	s_wait_storecnt 0x0
	s_wait_loadcnt_dscnt 0x0
	flat_load_b32 v2, v[4:5] scope:SCOPE_SYS
	s_wait_loadcnt_dscnt 0x0
	global_inv scope:SCOPE_SYS
	v_cmp_eq_u32_e32 vcc_lo, 0, v2
	s_and_b32 s79, vcc_lo, exec_lo
	s_delay_alu instid0(SALU_CYCLE_1)
	s_or_b32 s78, s78, s79
	s_mov_b32 s88, -1
	s_or_b32 s76, s76, exec_lo
	s_wait_xcnt 0x0
	s_and_saveexec_b32 s79, s78
	s_cbranch_execz .LBB8_1920
.LBB8_1924:                             ;   in Loop: Header=BB8_1921 Depth=4
	s_sleep 1
	s_trap 2
	ds_load_b64 v[4:5], v0
	s_wait_dscnt 0x0
	s_and_not1_b32 s76, s76, exec_lo
	v_cmp_ge_u64_e32 vcc_lo, v[4:5], v[80:81]
	s_or_not1_b32 s88, vcc_lo, exec_lo
	s_branch .LBB8_1920
.LBB8_1925:                             ;   in Loop: Header=BB8_1868 Depth=3
	s_and_not1_saveexec_b32 s27, s13
	s_cbranch_execnz .LBB8_1933
	s_branch .LBB8_1936
.LBB8_1926:                             ;   in Loop: Header=BB8_1868 Depth=3
	s_or_b32 exec_lo, exec_lo, s74
	s_and_saveexec_b32 s74, s75
	s_delay_alu instid0(SALU_CYCLE_1)
	s_xor_b32 s74, exec_lo, s74
	s_cbranch_execz .LBB8_1928
; %bb.1927:                             ;   in Loop: Header=BB8_1868 Depth=3
	ds_store_b32 v0, v111
	s_trap 2
.LBB8_1928:                             ;   in Loop: Header=BB8_1868 Depth=3
	s_or_b32 exec_lo, exec_lo, s41
	;;#ASMSTART
	s_wakeup
	;;#ASMEND
.LBB8_1929:                             ;   in Loop: Header=BB8_1868 Depth=3
	s_or_b32 exec_lo, exec_lo, s40
.LBB8_1930:                             ;   in Loop: Header=BB8_1868 Depth=3
	s_and_not1_saveexec_b32 s27, s27
	s_cbranch_execz .LBB8_1932
; %bb.1931:                             ;   in Loop: Header=BB8_1868 Depth=3
	;;#ASMSTART
	s_waitcnt lgkmcnt(0) vmcnt(0)
	;;#ASMEND
	s_barrier_signal -1
	s_barrier_wait -1
.LBB8_1932:                             ;   in Loop: Header=BB8_1868 Depth=3
	s_or_b32 exec_lo, exec_lo, s27
	v_and_b32_e32 v2, 16, v30
	s_and_not1_saveexec_b32 s27, s13
	s_cbranch_execz .LBB8_1936
.LBB8_1933:                             ;   in Loop: Header=BB8_1868 Depth=3
	s_trap 2
	ds_load_b32 v2, v0
	v_cmp_lt_i32_e32 vcc_lo, 0, v72
	s_wait_dscnt 0x0
	v_readfirstlane_b32 s13, v2
	v_and_b32_e32 v2, 16, v30
	s_cmp_eq_u32 s13, 0
	s_delay_alu instid0(VALU_DEP_1) | instskip(SKIP_3) | instid1(SALU_CYCLE_1)
	v_cmp_ne_u32_e64 s13, 0, v2
	s_cselect_b32 s40, -1, 0
	v_and_b32_e32 v2, 16, v30
	s_and_b32 s40, vcc_lo, s40
	s_and_b32 s40, s13, s40
	s_delay_alu instid0(SALU_CYCLE_1)
	s_and_saveexec_b32 s13, s40
	s_cbranch_execz .LBB8_1935
; %bb.1934:                             ;   in Loop: Header=BB8_1868 Depth=3
	v_mov_b32_e32 v2, 1
	global_wb scope:SCOPE_SYS
	s_wait_loadcnt 0x0
	s_wait_storecnt 0x0
	global_inv scope:SCOPE_SYS
.LBB8_1935:                             ;   in Loop: Header=BB8_1868 Depth=3
	s_or_b32 exec_lo, exec_lo, s13
.LBB8_1936:                             ;   in Loop: Header=BB8_1868 Depth=3
	s_delay_alu instid0(SALU_CYCLE_1) | instskip(NEXT) | instid1(VALU_DEP_1)
	s_or_b32 exec_lo, exec_lo, s27
	v_cmp_ne_u32_e32 vcc_lo, 0, v2
	s_xor_b32 s13, s4, -1
	s_delay_alu instid0(SALU_CYCLE_1) | instskip(NEXT) | instid1(SALU_CYCLE_1)
	s_and_b32 s27, vcc_lo, s13
	s_and_saveexec_b32 s13, s27
	s_cbranch_execz .LBB8_1938
; %bb.1937:                             ;   in Loop: Header=BB8_1868 Depth=3
	global_wb scope:SCOPE_SYS
	s_wait_storecnt 0x0
	s_wait_loadcnt_dscnt 0x0
	flat_store_b32 v[70:71], v111 scope:SCOPE_SYS
.LBB8_1938:                             ;   in Loop: Header=BB8_1868 Depth=3
	s_wait_xcnt 0x0
	s_or_b32 exec_lo, exec_lo, s13
	v_and_b32_e32 v2, 48, v30
	s_mov_b32 s13, exec_lo
	s_delay_alu instid0(VALU_DEP_1)
	v_cmpx_ne_u32_e32 0, v2
	s_cbranch_execz .LBB8_1867
; %bb.1939:                             ;   in Loop: Header=BB8_1868 Depth=3
	v_add_nc_u64_e32 v[58:59], 2, v[58:59]
	global_wb scope:SCOPE_SYS
	s_wait_storecnt 0x0
	s_wait_loadcnt_dscnt 0x0
	flat_store_b64 v[64:65], v[58:59] scope:SCOPE_SYS
	s_branch .LBB8_1867
.LBB8_1940:                             ;   in Loop: Header=BB8_47 Depth=1
	v_mul_u64_e32 v[8:9], s[16:17], v[56:57]
	v_mov_b32_e32 v74, 0
	s_delay_alu instid0(VALU_DEP_2) | instskip(NEXT) | instid1(VALU_DEP_1)
	v_sub_nc_u64_e32 v[4:5], v[60:61], v[8:9]
	v_min_i64 v[4:5], v[56:57], v[4:5]
	s_delay_alu instid0(VALU_DEP_1) | instskip(SKIP_1) | instid1(VALU_DEP_2)
	v_max_i32_e32 v124, 0, v4
	v_cmp_lt_i32_e32 vcc_lo, 0, v4
	v_add_nc_u32_e32 v2, 31, v124
	s_and_b32 s13, s63, vcc_lo
	s_delay_alu instid0(VALU_DEP_1) | instskip(NEXT) | instid1(VALU_DEP_1)
	v_lshrrev_b32_e32 v2, 1, v2
	v_and_b32_e32 v5, 0x3ffffff0, v2
	s_delay_alu instid0(VALU_DEP_1)
	v_dual_mov_b32 v2, 0 :: v_dual_max_i32 v72, s45, v5
	s_and_saveexec_b32 s18, s13
	s_cbranch_execz .LBB8_3785
; %bb.1941:                             ;   in Loop: Header=BB8_47 Depth=1
	v_add_nc_u64_e32 v[4:5], v[8:9], v[62:63]
	v_mov_b32_e32 v74, 0
	s_mov_b32 s75, 1
	s_mov_b32 s74, -1
	s_mov_b32 s27, 0
	s_delay_alu instid0(VALU_DEP_2)
	v_lshlrev_b64_e32 v[76:77], 1, v[4:5]
	s_branch .LBB8_1943
.LBB8_1942:                             ;   in Loop: Header=BB8_1943 Depth=2
	s_wait_xcnt 0x0
	s_or_b32 exec_lo, exec_lo, s13
	v_dual_add_nc_u32 v74, v72, v74 :: v_dual_mov_b32 v2, s75
	s_xor_b32 s13, s74, -1
	s_mov_b32 s74, 0
	s_mov_b32 s75, 2
	s_delay_alu instid0(VALU_DEP_1) | instskip(SKIP_1) | instid1(SALU_CYCLE_1)
	v_cmp_ge_i32_e32 vcc_lo, v74, v124
	s_or_b32 s13, s13, vcc_lo
	s_and_b32 s13, exec_lo, s13
	s_delay_alu instid0(SALU_CYCLE_1) | instskip(NEXT) | instid1(SALU_CYCLE_1)
	s_or_b32 s27, s13, s27
	s_and_not1_b32 exec_lo, exec_lo, s27
	s_cbranch_execz .LBB8_3784
.LBB8_1943:                             ;   Parent Loop BB8_47 Depth=1
                                        ; =>  This Loop Header: Depth=2
                                        ;       Child Loop BB8_1951 Depth 3
                                        ;       Child Loop BB8_1979 Depth 3
	;; [unrolled: 1-line block ×5, first 2 shown]
                                        ;         Child Loop BB8_2422 Depth 4
                                        ;         Child Loop BB8_2489 Depth 4
	;; [unrolled: 1-line block ×4, first 2 shown]
                                        ;       Child Loop BB8_2629 Depth 3
                                        ;       Child Loop BB8_2637 Depth 3
	;; [unrolled: 1-line block ×3, first 2 shown]
                                        ;         Child Loop BB8_2843 Depth 4
                                        ;         Child Loop BB8_2854 Depth 4
	;; [unrolled: 1-line block ×4, first 2 shown]
                                        ;       Child Loop BB8_2881 Depth 3
                                        ;       Child Loop BB8_2893 Depth 3
	;; [unrolled: 1-line block ×3, first 2 shown]
                                        ;         Child Loop BB8_3292 Depth 4
                                        ;         Child Loop BB8_3361 Depth 4
                                        ;       Child Loop BB8_3502 Depth 3
                                        ;       Child Loop BB8_3705 Depth 3
                                        ;         Child Loop BB8_3706 Depth 4
                                        ;         Child Loop BB8_3719 Depth 4
                                        ;       Child Loop BB8_3746 Depth 3
                                        ;       Child Loop BB8_3769 Depth 3
	s_and_saveexec_b32 s13, s0
	s_cbranch_execz .LBB8_1945
; %bb.1944:                             ;   in Loop: Header=BB8_1943 Depth=2
	s_trap 2
	ds_load_b64 v[4:5], v0
	ds_load_2addr_b64 v[8:11], v0 offset1:1
	s_wait_dscnt 0x1
	v_cmp_ne_u64_e32 vcc_lo, 0, v[4:5]
	v_ashrrev_i32_e32 v75, 31, v74
	v_add_nc_u64_e32 v[14:15], v[4:5], v[76:77]
	s_wait_dscnt 0x0
	v_add_nc_u64_e32 v[8:9], v[8:9], v[76:77]
	v_add_nc_u64_e32 v[10:11], v[10:11], v[76:77]
	v_lshlrev_b64_e32 v[12:13], 1, v[74:75]
	s_delay_alu instid0(VALU_DEP_1) | instskip(NEXT) | instid1(VALU_DEP_4)
	v_add_nc_u64_e32 v[14:15], v[14:15], v[12:13]
	v_add_nc_u64_e32 v[4:5], v[8:9], v[12:13]
	s_delay_alu instid0(VALU_DEP_4) | instskip(NEXT) | instid1(VALU_DEP_3)
	v_add_nc_u64_e32 v[8:9], v[10:11], v[12:13]
	v_dual_cndmask_b32 v11, 0, v15 :: v_dual_cndmask_b32 v10, 0, v14
	ds_store_b64 v0, v[4:5]
	ds_store_b64 v0, v[8:9]
	;; [unrolled: 1-line block ×3, first 2 shown]
.LBB8_1945:                             ;   in Loop: Header=BB8_1943 Depth=2
	s_or_b32 exec_lo, exec_lo, s13
	v_sub_nc_u32_e32 v2, v124, v74
	v_and_b32_e32 v4, 12, v30
	s_mov_b32 s14, exec_lo
	s_delay_alu instid0(VALU_DEP_2) | instskip(NEXT) | instid1(VALU_DEP_2)
	v_min_i32_e32 v72, v72, v2
	v_cmpx_ne_u32_e32 0, v4
	s_cbranch_execz .LBB8_1971
; %bb.1946:                             ;   in Loop: Header=BB8_1943 Depth=2
	v_and_b32_e32 v2, 8, v30
	v_add_nc_u64_e32 v[8:9], 2, v[58:59]
	s_mov_b32 s15, exec_lo
	s_wait_loadcnt_dscnt 0x1
	s_delay_alu instid0(VALU_DEP_2) | instskip(NEXT) | instid1(VALU_DEP_1)
	v_add_nc_u64_e32 v[4:5], v[82:83], v[2:3]
	v_cmpx_lt_u64_e64 v[4:5], v[8:9]
	s_cbranch_execz .LBB8_1958
; %bb.1947:                             ;   in Loop: Header=BB8_1943 Depth=2
	v_and_b32_e32 v4, 64, v30
	s_mov_b32 s40, 0
	s_mov_b32 s78, 0
                                        ; implicit-def: $sgpr41
                                        ; implicit-def: $sgpr76
                                        ; implicit-def: $sgpr77
	s_delay_alu instid0(VALU_DEP_1)
	v_cmp_eq_u32_e32 vcc_lo, 0, v4
	s_branch .LBB8_1951
.LBB8_1948:                             ;   in Loop: Header=BB8_1951 Depth=3
	s_wait_loadcnt_dscnt 0x0
	v_add_nc_u64_e32 v[10:11], v[82:83], v[2:3]
	s_or_b32 s89, s89, exec_lo
	s_delay_alu instid0(VALU_DEP_1)
	v_cmp_ge_u64_e64 s13, v[10:11], v[8:9]
	s_or_not1_b32 s88, s13, exec_lo
.LBB8_1949:                             ;   in Loop: Header=BB8_1951 Depth=3
	s_or_b32 exec_lo, exec_lo, s91
	s_delay_alu instid0(SALU_CYCLE_1)
	s_and_not1_b32 s13, s77, exec_lo
	s_and_b32 s77, s89, exec_lo
	s_and_not1_b32 s76, s76, exec_lo
	s_and_b32 s88, s88, exec_lo
	s_or_b32 s77, s13, s77
	s_or_b32 s76, s76, s88
.LBB8_1950:                             ;   in Loop: Header=BB8_1951 Depth=3
	s_or_b32 exec_lo, exec_lo, s79
	s_delay_alu instid0(SALU_CYCLE_1) | instskip(NEXT) | instid1(SALU_CYCLE_1)
	s_and_b32 s13, exec_lo, s76
	s_or_b32 s40, s13, s40
	s_and_not1_b32 s13, s41, exec_lo
	s_and_b32 s41, s77, exec_lo
	s_delay_alu instid0(SALU_CYCLE_1)
	s_or_b32 s41, s13, s41
	s_and_not1_b32 exec_lo, exec_lo, s40
	s_cbranch_execz .LBB8_1955
.LBB8_1951:                             ;   Parent Loop BB8_47 Depth=1
                                        ;     Parent Loop BB8_1943 Depth=2
                                        ; =>    This Inner Loop Header: Depth=3
	s_sleep 1
	s_wait_loadcnt_dscnt 0x0
	flat_load_b64 v[82:83], v[64:65] scope:SCOPE_SYS
	s_or_b32 s77, s77, exec_lo
	s_or_b32 s76, s76, exec_lo
                                        ; implicit-def: $vgpr4
	s_wait_xcnt 0x0
	s_and_saveexec_b32 s79, vcc_lo
	s_cbranch_execz .LBB8_1950
; %bb.1952:                             ;   in Loop: Header=BB8_1951 Depth=3
	s_cmp_lt_i32 s78, 0x270f
	s_mov_b32 s88, -1
	s_cselect_b32 s90, -1, 0
	s_cmp_gt_i32 s78, 0x270e
	s_cbranch_scc0 .LBB8_1954
; %bb.1953:                             ;   in Loop: Header=BB8_1951 Depth=3
	s_trap 2
	ds_load_b64 v[4:5], v0
	s_and_not1_b32 s78, s90, exec_lo
	s_mov_b32 s89, 0
	s_wait_storecnt 0x0
	s_wait_loadcnt_dscnt 0x0
	flat_load_b32 v4, v[4:5] scope:SCOPE_SYS
	s_wait_loadcnt_dscnt 0x0
	global_inv scope:SCOPE_SYS
	v_cmp_eq_u32_e64 s13, 0, v4
	s_and_b32 s13, s13, exec_lo
	s_delay_alu instid0(SALU_CYCLE_1)
	s_or_b32 s90, s78, s13
	s_mov_b32 s78, 0
	s_wait_xcnt 0x0
	s_and_saveexec_b32 s91, s90
	s_cbranch_execz .LBB8_1949
	s_branch .LBB8_1948
.LBB8_1954:                             ;   in Loop: Header=BB8_1951 Depth=3
	s_add_co_i32 s78, s78, 1
	s_mov_b32 s89, -1
                                        ; implicit-def: $vgpr4
	s_and_saveexec_b32 s91, s90
	s_cbranch_execz .LBB8_1949
	s_branch .LBB8_1948
.LBB8_1955:                             ;   in Loop: Header=BB8_1943 Depth=2
	s_or_b32 exec_lo, exec_lo, s40
	s_xor_b32 s13, s41, -1
	s_delay_alu instid0(SALU_CYCLE_1) | instskip(NEXT) | instid1(SALU_CYCLE_1)
	s_and_saveexec_b32 s40, s13
	s_xor_b32 s13, exec_lo, s40
	s_cbranch_execz .LBB8_1957
; %bb.1956:                             ;   in Loop: Header=BB8_1943 Depth=2
	v_or_b32_e32 v30, 64, v30
	s_wait_storecnt 0x0
	s_wait_loadcnt_dscnt 0x0
	ds_store_b32 v0, v4
	s_trap 2
.LBB8_1957:                             ;   in Loop: Header=BB8_1943 Depth=2
	s_or_b32 exec_lo, exec_lo, s13
.LBB8_1958:                             ;   in Loop: Header=BB8_1943 Depth=2
	s_delay_alu instid0(SALU_CYCLE_1) | instskip(SKIP_4) | instid1(VALU_DEP_2)
	s_or_b32 exec_lo, exec_lo, s15
	v_and_b32_e32 v4, 0x108, v30
	v_and_b32_e32 v10, 7, v58
	s_mov_b32 s13, exec_lo
	;;#ASMSTART
	s_wakeup
	;;#ASMEND
	v_cmpx_ne_u32_e32 0x108, v4
	s_xor_b32 s13, exec_lo, s13
; %bb.1959:                             ;   in Loop: Header=BB8_1943 Depth=2
	v_mov_b32_e32 v11, v3
; %bb.1960:                             ;   in Loop: Header=BB8_1943 Depth=2
	s_and_not1_saveexec_b32 s13, s13
	s_cbranch_execz .LBB8_1962
; %bb.1961:                             ;   in Loop: Header=BB8_1943 Depth=2
	v_dual_ashrrev_i32 v73, 31, v72 :: v_dual_mov_b32 v11, v3
	v_mad_nc_u64_u32 v[4:5], v10, 24, v[6:7]
	s_delay_alu instid0(VALU_DEP_2)
	v_lshlrev_b64_e32 v[12:13], 1, v[72:73]
	flat_store_b64 v[4:5], v[12:13] offset:8
.LBB8_1962:                             ;   in Loop: Header=BB8_1943 Depth=2
	s_wait_xcnt 0x0
	s_or_b32 exec_lo, exec_lo, s13
	v_and_b32_e32 v4, 0x100, v30
	s_mov_b32 s13, -1
	s_mov_b32 s15, exec_lo
                                        ; implicit-def: $vgpr12_vgpr13
	s_delay_alu instid0(VALU_DEP_1)
	v_cmpx_ne_u32_e32 0, v4
	s_cbranch_execz .LBB8_1966
; %bb.1963:                             ;   in Loop: Header=BB8_1943 Depth=2
	v_mad_nc_u64_u32 v[14:15], v10, 24, v[6:7]
	s_mov_b32 s40, exec_lo
                                        ; implicit-def: $vgpr12_vgpr13
	s_delay_alu instid0(VALU_DEP_1)
	v_mad_u32 v15, v11, 24, v15
	flat_load_b32 v4, v[14:15]
	s_wait_loadcnt_dscnt 0x0
	v_cmp_ne_u32_e32 vcc_lo, 1, v4
	s_wait_xcnt 0x0
	v_cmpx_eq_u32_e32 1, v4
	s_cbranch_execz .LBB8_1965
; %bb.1964:                             ;   in Loop: Header=BB8_1943 Depth=2
	flat_load_b32 v4, v[14:15] offset:4 scope:SCOPE_SYS
	s_wait_loadcnt_dscnt 0x0
	v_ashrrev_i32_e32 v5, 31, v4
	s_delay_alu instid0(VALU_DEP_1)
	v_lshrrev_b64 v[12:13], 1, v[4:5]
.LBB8_1965:                             ;   in Loop: Header=BB8_1943 Depth=2
	s_wait_xcnt 0x0
	s_or_b32 exec_lo, exec_lo, s40
	s_delay_alu instid0(SALU_CYCLE_1)
	s_or_not1_b32 s13, vcc_lo, exec_lo
.LBB8_1966:                             ;   in Loop: Header=BB8_1943 Depth=2
	s_or_b32 exec_lo, exec_lo, s15
	s_and_saveexec_b32 s15, s13
; %bb.1967:                             ;   in Loop: Header=BB8_1943 Depth=2
	v_mul_u64_e32 v[12:13], v[10:11], v[66:67]
; %bb.1968:                             ;   in Loop: Header=BB8_1943 Depth=2
	s_or_b32 exec_lo, exec_lo, s15
	v_cmp_eq_u32_e32 vcc_lo, 0, v2
	v_and_b32_e32 v10, 0x2000, v30
	s_delay_alu instid0(VALU_DEP_3) | instskip(SKIP_2) | instid1(VALU_DEP_1)
	v_lshl_add_u64 v[4:5], v[12:13], 1, v[68:69]
	s_mov_b32 s13, exec_lo
	v_cndmask_b32_e32 v2, 0xd0, v120, vcc_lo
	v_add_nc_u32_e32 v2, v0, v2
	ds_store_b64 v2, v[4:5] offset:584
	v_cmpx_ne_u32_e32 0, v10
	s_cbranch_execz .LBB8_1970
; %bb.1969:                             ;   in Loop: Header=BB8_1943 Depth=2
	ds_load_b64 v[4:5], v0 offset:872
	s_wait_dscnt 0x0
	v_add_nc_u64_e32 v[4:5], 1, v[4:5]
	ds_store_b64 v0, v[4:5] offset:872
.LBB8_1970:                             ;   in Loop: Header=BB8_1943 Depth=2
	s_or_b32 exec_lo, exec_lo, s13
	v_mov_b64_e32 v[58:59], v[8:9]
.LBB8_1971:                             ;   in Loop: Header=BB8_1943 Depth=2
	s_or_b32 exec_lo, exec_lo, s14
	s_and_saveexec_b32 s13, s2
	s_cbranch_execz .LBB8_1990
; %bb.1972:                             ;   in Loop: Header=BB8_1943 Depth=2
	s_and_saveexec_b32 s14, s3
	s_delay_alu instid0(SALU_CYCLE_1)
	s_xor_b32 s14, exec_lo, s14
	s_cbranch_execz .LBB8_1987
; %bb.1973:                             ;   in Loop: Header=BB8_1943 Depth=2
	s_and_saveexec_b32 s15, s6
	s_cbranch_execz .LBB8_1986
; %bb.1974:                             ;   in Loop: Header=BB8_1943 Depth=2
	s_mov_b32 s41, exec_lo
	s_mov_b32 s40, exec_lo
	v_mbcnt_lo_u32_b32 v2, s41, 0
	global_wb scope:SCOPE_DEV
	s_wait_storecnt 0x0
	s_wait_loadcnt_dscnt 0x0
	global_inv scope:SCOPE_DEV
	v_cmpx_eq_u32_e32 0, v2
	s_cbranch_execz .LBB8_1976
; %bb.1975:                             ;   in Loop: Header=BB8_1943 Depth=2
	s_bcnt1_i32_b32 s41, s41
	s_delay_alu instid0(SALU_CYCLE_1)
	v_mov_b32_e32 v2, s41
	s_wait_loadcnt 0x0
	ds_add_u64 v0, v[2:3]
	s_trap 2
.LBB8_1976:                             ;   in Loop: Header=BB8_1943 Depth=2
	s_or_b32 exec_lo, exec_lo, s40
	s_trap 2
	ds_load_b64 v[4:5], v0
	s_wait_dscnt 0x0
	v_add_nc_u64_e32 v[80:81], v[80:81], v[84:85]
	s_mov_b32 s40, exec_lo
	s_delay_alu instid0(VALU_DEP_1)
	v_cmpx_lt_u64_e64 v[4:5], v[80:81]
	s_cbranch_execz .LBB8_1985
; %bb.1977:                             ;   in Loop: Header=BB8_1943 Depth=2
	s_mov_b32 s41, 0
	s_mov_b32 s78, 0
                                        ; implicit-def: $sgpr76
                                        ; implicit-def: $sgpr77
	s_branch .LBB8_1979
.LBB8_1978:                             ;   in Loop: Header=BB8_1979 Depth=3
	s_or_b32 exec_lo, exec_lo, s88
	s_delay_alu instid0(SALU_CYCLE_1) | instskip(NEXT) | instid1(SALU_CYCLE_1)
	s_and_b32 s79, exec_lo, s89
	s_or_b32 s41, s79, s41
	s_and_not1_b32 s76, s76, exec_lo
	s_and_b32 s79, s77, exec_lo
	s_delay_alu instid0(SALU_CYCLE_1)
	s_or_b32 s76, s76, s79
	s_and_not1_b32 exec_lo, exec_lo, s41
	s_cbranch_execz .LBB8_1983
.LBB8_1979:                             ;   Parent Loop BB8_47 Depth=1
                                        ;     Parent Loop BB8_1943 Depth=2
                                        ; =>    This Inner Loop Header: Depth=3
	s_add_co_i32 s78, s78, 1
	s_delay_alu instid0(SALU_CYCLE_1) | instskip(SKIP_1) | instid1(SALU_CYCLE_1)
	s_cmp_lg_u32 s78, 0x2710
	s_cselect_b32 s79, -1, 0
	s_and_b32 vcc_lo, exec_lo, s79
	s_cbranch_vccz .LBB8_1981
; %bb.1980:                             ;   in Loop: Header=BB8_1979 Depth=3
	s_mov_b32 s89, -1
	s_or_b32 s77, s77, exec_lo
	s_and_saveexec_b32 s88, s79
	s_cbranch_execz .LBB8_1978
	s_branch .LBB8_1982
.LBB8_1981:                             ;   in Loop: Header=BB8_1979 Depth=3
	s_trap 2
	ds_load_b64 v[4:5], v0
	s_and_not1_b32 s79, s79, exec_lo
	s_mov_b32 s78, 0
	s_wait_loadcnt_dscnt 0x0
	flat_load_b32 v2, v[4:5] scope:SCOPE_SYS
	s_wait_loadcnt_dscnt 0x0
	global_inv scope:SCOPE_SYS
	v_cmp_eq_u32_e32 vcc_lo, 0, v2
	s_and_b32 s88, vcc_lo, exec_lo
	s_delay_alu instid0(SALU_CYCLE_1)
	s_or_b32 s79, s79, s88
	s_mov_b32 s89, -1
	s_or_b32 s77, s77, exec_lo
	s_wait_xcnt 0x0
	s_and_saveexec_b32 s88, s79
	s_cbranch_execz .LBB8_1978
.LBB8_1982:                             ;   in Loop: Header=BB8_1979 Depth=3
	s_sleep 1
	s_trap 2
	ds_load_b64 v[4:5], v0
	s_wait_dscnt 0x0
	s_and_not1_b32 s77, s77, exec_lo
	v_cmp_ge_u64_e32 vcc_lo, v[4:5], v[80:81]
	s_or_not1_b32 s89, vcc_lo, exec_lo
	s_branch .LBB8_1978
.LBB8_1983:                             ;   in Loop: Header=BB8_1943 Depth=2
	s_or_b32 exec_lo, exec_lo, s41
	s_and_saveexec_b32 s41, s76
	s_delay_alu instid0(SALU_CYCLE_1)
	s_xor_b32 s41, exec_lo, s41
	s_cbranch_execz .LBB8_1985
; %bb.1984:                             ;   in Loop: Header=BB8_1943 Depth=2
	ds_store_b32 v0, v111
	s_trap 2
.LBB8_1985:                             ;   in Loop: Header=BB8_1943 Depth=2
	s_or_b32 exec_lo, exec_lo, s40
	;;#ASMSTART
	s_wakeup
	;;#ASMEND
.LBB8_1986:                             ;   in Loop: Header=BB8_1943 Depth=2
	s_or_b32 exec_lo, exec_lo, s15
.LBB8_1987:                             ;   in Loop: Header=BB8_1943 Depth=2
	s_and_not1_saveexec_b32 s14, s14
	s_cbranch_execz .LBB8_1989
; %bb.1988:                             ;   in Loop: Header=BB8_1943 Depth=2
	global_wb scope:SCOPE_DEV
	s_wait_storecnt 0x0
	s_wait_loadcnt_dscnt 0x0
	global_inv scope:SCOPE_DEV
	s_barrier_signal -1
	s_barrier_wait -1
.LBB8_1989:                             ;   in Loop: Header=BB8_1943 Depth=2
	s_or_b32 exec_lo, exec_lo, s14
.LBB8_1990:                             ;   in Loop: Header=BB8_1943 Depth=2
	s_delay_alu instid0(SALU_CYCLE_1) | instskip(SKIP_4) | instid1(VALU_DEP_1)
	s_or_b32 exec_lo, exec_lo, s13
	s_trap 2
	ds_load_b32 v4, v0
	v_and_b32_e32 v2, 0x4000, v30
	s_xor_b32 s13, s1, -1
	v_cmp_ne_u32_e32 vcc_lo, 0, v2
	s_and_b32 s14, s13, vcc_lo
	s_delay_alu instid0(SALU_CYCLE_1)
	s_and_saveexec_b32 s13, s14
	s_cbranch_execz .LBB8_2009
; %bb.1991:                             ;   in Loop: Header=BB8_1943 Depth=2
	s_and_saveexec_b32 s14, s3
	s_delay_alu instid0(SALU_CYCLE_1)
	s_xor_b32 s14, exec_lo, s14
	s_cbranch_execz .LBB8_2006
; %bb.1992:                             ;   in Loop: Header=BB8_1943 Depth=2
	s_and_saveexec_b32 s15, s6
	s_cbranch_execz .LBB8_2005
; %bb.1993:                             ;   in Loop: Header=BB8_1943 Depth=2
	s_mov_b32 s41, exec_lo
	s_mov_b32 s40, exec_lo
	v_mbcnt_lo_u32_b32 v2, s41, 0
	global_wb scope:SCOPE_DEV
	s_wait_storecnt 0x0
	s_wait_loadcnt_dscnt 0x0
	global_inv scope:SCOPE_DEV
	v_cmpx_eq_u32_e32 0, v2
	s_cbranch_execz .LBB8_1995
; %bb.1994:                             ;   in Loop: Header=BB8_1943 Depth=2
	s_bcnt1_i32_b32 s41, s41
	s_delay_alu instid0(SALU_CYCLE_1)
	v_mov_b32_e32 v2, s41
	s_wait_loadcnt 0x0
	ds_add_u64 v0, v[2:3]
	s_trap 2
.LBB8_1995:                             ;   in Loop: Header=BB8_1943 Depth=2
	s_or_b32 exec_lo, exec_lo, s40
	s_trap 2
	ds_load_b64 v[8:9], v0
	s_wait_dscnt 0x0
	v_add_nc_u64_e32 v[80:81], v[80:81], v[84:85]
	s_mov_b32 s40, exec_lo
	s_delay_alu instid0(VALU_DEP_1)
	v_cmpx_lt_u64_e64 v[8:9], v[80:81]
	s_cbranch_execz .LBB8_2004
; %bb.1996:                             ;   in Loop: Header=BB8_1943 Depth=2
	s_mov_b32 s41, 0
	s_mov_b32 s78, 0
                                        ; implicit-def: $sgpr76
                                        ; implicit-def: $sgpr77
	s_branch .LBB8_1998
.LBB8_1997:                             ;   in Loop: Header=BB8_1998 Depth=3
	s_or_b32 exec_lo, exec_lo, s88
	s_delay_alu instid0(SALU_CYCLE_1) | instskip(NEXT) | instid1(SALU_CYCLE_1)
	s_and_b32 s79, exec_lo, s89
	s_or_b32 s41, s79, s41
	s_and_not1_b32 s76, s76, exec_lo
	s_and_b32 s79, s77, exec_lo
	s_delay_alu instid0(SALU_CYCLE_1)
	s_or_b32 s76, s76, s79
	s_and_not1_b32 exec_lo, exec_lo, s41
	s_cbranch_execz .LBB8_2002
.LBB8_1998:                             ;   Parent Loop BB8_47 Depth=1
                                        ;     Parent Loop BB8_1943 Depth=2
                                        ; =>    This Inner Loop Header: Depth=3
	s_add_co_i32 s78, s78, 1
	s_delay_alu instid0(SALU_CYCLE_1) | instskip(SKIP_1) | instid1(SALU_CYCLE_1)
	s_cmp_lg_u32 s78, 0x2710
	s_cselect_b32 s79, -1, 0
	s_and_b32 vcc_lo, exec_lo, s79
	s_cbranch_vccz .LBB8_2000
; %bb.1999:                             ;   in Loop: Header=BB8_1998 Depth=3
	s_mov_b32 s89, -1
	s_or_b32 s77, s77, exec_lo
	s_and_saveexec_b32 s88, s79
	s_cbranch_execz .LBB8_1997
	s_branch .LBB8_2001
.LBB8_2000:                             ;   in Loop: Header=BB8_1998 Depth=3
	s_trap 2
	ds_load_b64 v[8:9], v0
	s_and_not1_b32 s79, s79, exec_lo
	s_mov_b32 s78, 0
	s_wait_loadcnt_dscnt 0x0
	flat_load_b32 v2, v[8:9] scope:SCOPE_SYS
	s_wait_loadcnt_dscnt 0x0
	global_inv scope:SCOPE_SYS
	v_cmp_eq_u32_e32 vcc_lo, 0, v2
	s_and_b32 s88, vcc_lo, exec_lo
	s_delay_alu instid0(SALU_CYCLE_1)
	s_or_b32 s79, s79, s88
	s_mov_b32 s89, -1
	s_or_b32 s77, s77, exec_lo
	s_wait_xcnt 0x0
	s_and_saveexec_b32 s88, s79
	s_cbranch_execz .LBB8_1997
.LBB8_2001:                             ;   in Loop: Header=BB8_1998 Depth=3
	s_sleep 1
	s_trap 2
	ds_load_b64 v[8:9], v0
	s_wait_dscnt 0x0
	s_and_not1_b32 s77, s77, exec_lo
	v_cmp_ge_u64_e32 vcc_lo, v[8:9], v[80:81]
	s_or_not1_b32 s89, vcc_lo, exec_lo
	s_branch .LBB8_1997
.LBB8_2002:                             ;   in Loop: Header=BB8_1943 Depth=2
	s_or_b32 exec_lo, exec_lo, s41
	s_and_saveexec_b32 s41, s76
	s_delay_alu instid0(SALU_CYCLE_1)
	s_xor_b32 s41, exec_lo, s41
	s_cbranch_execz .LBB8_2004
; %bb.2003:                             ;   in Loop: Header=BB8_1943 Depth=2
	ds_store_b32 v0, v111
	s_trap 2
.LBB8_2004:                             ;   in Loop: Header=BB8_1943 Depth=2
	s_or_b32 exec_lo, exec_lo, s40
	;;#ASMSTART
	s_wakeup
	;;#ASMEND
.LBB8_2005:                             ;   in Loop: Header=BB8_1943 Depth=2
	s_or_b32 exec_lo, exec_lo, s15
.LBB8_2006:                             ;   in Loop: Header=BB8_1943 Depth=2
	s_and_not1_saveexec_b32 s14, s14
	s_cbranch_execz .LBB8_2008
; %bb.2007:                             ;   in Loop: Header=BB8_1943 Depth=2
	global_wb scope:SCOPE_DEV
	s_wait_storecnt 0x0
	s_wait_loadcnt_dscnt 0x0
	global_inv scope:SCOPE_DEV
	s_barrier_signal -1
	s_barrier_wait -1
.LBB8_2008:                             ;   in Loop: Header=BB8_1943 Depth=2
	s_or_b32 exec_lo, exec_lo, s14
.LBB8_2009:                             ;   in Loop: Header=BB8_1943 Depth=2
	s_delay_alu instid0(SALU_CYCLE_1)
	s_or_b32 exec_lo, exec_lo, s13
	s_trap 2
	ds_load_b64 v[78:79], v0
	s_wait_dscnt 0x0
	v_cmp_eq_u64_e32 vcc_lo, 0, v[78:79]
	s_cbranch_vccnz .LBB8_2283
; %bb.2010:                             ;   in Loop: Header=BB8_1943 Depth=2
	s_trap 2
	ds_load_b64 v[88:89], v0
	s_wait_dscnt 0x0
	v_cmp_eq_u64_e32 vcc_lo, 0, v[88:89]
	s_cbranch_vccnz .LBB8_2283
; %bb.2011:                             ;   in Loop: Header=BB8_1943 Depth=2
	s_trap 2
	ds_load_b64 v[90:91], v0
	v_cmp_eq_u32_e32 vcc_lo, 0, v4
	s_mov_b32 s13, -1
	v_cndmask_b32_e32 v2, 0, v72, vcc_lo
	s_delay_alu instid0(VALU_DEP_1)
	v_lshlrev_b32_e32 v73, 1, v2
	s_wait_dscnt 0x0
	v_cmp_ne_u64_e32 vcc_lo, 0, v[90:91]
	s_cbranch_vccz .LBB8_2883
; %bb.2012:                             ;   in Loop: Header=BB8_1943 Depth=2
	s_and_saveexec_b32 s14, s11
	s_cbranch_execz .LBB8_2014
; %bb.2013:                             ;   in Loop: Header=BB8_1943 Depth=2
	ds_load_b32 v4, v0 offset:720
	s_wait_dscnt 0x0
	v_and_b32_e32 v4, 15, v4
	s_delay_alu instid0(VALU_DEP_1)
	v_cmp_eq_u32_e32 vcc_lo, 0, v4
	s_or_not1_b32 s13, vcc_lo, exec_lo
.LBB8_2014:                             ;   in Loop: Header=BB8_1943 Depth=2
	s_or_b32 exec_lo, exec_lo, s14
	s_and_saveexec_b32 s14, s11
	s_cbranch_execz .LBB8_2016
; %bb.2015:                             ;   in Loop: Header=BB8_1943 Depth=2
	ds_load_b32 v4, v0 offset:784
	s_wait_dscnt 0x0
	v_and_b32_e32 v4, 15, v4
	s_delay_alu instid0(VALU_DEP_1) | instskip(SKIP_3) | instid1(SALU_CYCLE_1)
	v_cmp_eq_u32_e32 vcc_lo, 0, v4
	s_and_b32 s15, s13, vcc_lo
	s_and_not1_b32 s13, s13, exec_lo
	s_and_b32 s15, s15, exec_lo
	s_or_b32 s13, s13, s15
.LBB8_2016:                             ;   in Loop: Header=BB8_1943 Depth=2
	s_or_b32 exec_lo, exec_lo, s14
	s_xor_b32 s13, s13, -1
	s_delay_alu instid0(SALU_CYCLE_1) | instskip(SKIP_1) | instid1(VALU_DEP_1)
	v_cndmask_b32_e64 v4, 0, 1, s13
	s_mov_b32 s13, -1
	v_cmp_ne_u32_e32 vcc_lo, 0, v4
	s_cbranch_vccz .LBB8_2284
; %bb.2017:                             ;   in Loop: Header=BB8_1943 Depth=2
	s_mov_b32 s76, -1
	v_mov_b32_e32 v21, 0
	s_cbranch_execnz .LBB8_2285
.LBB8_2018:                             ;   in Loop: Header=BB8_1943 Depth=2
	v_ashrrev_i32_e32 v4, 31, v73
	v_add_nc_u64_e32 v[94:95], v[88:89], v[112:113]
	v_add_nc_u64_e32 v[92:93], v[90:91], v[112:113]
	s_mov_b32 s14, 0
	s_mov_b32 s13, exec_lo
	v_lshrrev_b32_e32 v4, 22, v4
                                        ; implicit-def: $vgpr32_vgpr33
                                        ; implicit-def: $vgpr16_vgpr17
                                        ; implicit-def: $vgpr12_vgpr13
                                        ; implicit-def: $vgpr8_vgpr9
	s_delay_alu instid0(VALU_DEP_1) | instskip(NEXT) | instid1(VALU_DEP_1)
	v_add_nc_u32_e32 v4, v73, v4
	v_ashrrev_i32_e32 v125, 10, v4
	s_delay_alu instid0(VALU_DEP_1) | instskip(NEXT) | instid1(VALU_DEP_1)
	v_sub_nc_u32_e32 v75, v125, v110
	v_cmpx_lt_i32_e32 0, v75
	s_cbranch_execz .LBB8_2287
; %bb.2019:                             ;   in Loop: Header=BB8_1943 Depth=2
	s_trap 2
	ds_load_b64 v[4:5], v0
	ds_load_b32 v8, v0
	v_add_nc_u64_e32 v[104:105], v[78:79], v[112:113]
	s_mov_b32 s40, 0
                                        ; implicit-def: $sgpr15
                                        ; implicit-def: $vgpr32_vgpr33
                                        ; implicit-def: $vgpr16_vgpr17
                                        ; implicit-def: $vgpr12_vgpr13
	s_wait_dscnt 0x1
	v_add_nc_u64_e32 v[106:107], v[4:5], v[112:113]
	s_wait_dscnt 0x0
	v_lshlrev_b32_e32 v126, 16, v8
                                        ; implicit-def: $vgpr8_vgpr9
	s_branch .LBB8_2021
.LBB8_2020:                             ;   in Loop: Header=BB8_2021 Depth=3
	s_or_b32 exec_lo, exec_lo, s41
	s_delay_alu instid0(VALU_DEP_1) | instskip(SKIP_3) | instid1(SALU_CYCLE_1)
	v_cmp_gt_i32_e32 vcc_lo, 1, v75
	s_or_b32 s14, vcc_lo, s14
	s_and_not1_b32 s15, s15, exec_lo
	s_and_b32 s41, s40, exec_lo
	s_or_b32 s15, s15, s41
	s_and_not1_b32 exec_lo, exec_lo, s14
	s_cbranch_execz .LBB8_2286
.LBB8_2021:                             ;   Parent Loop BB8_47 Depth=1
                                        ;     Parent Loop BB8_1943 Depth=2
                                        ; =>    This Inner Loop Header: Depth=3
	s_clause 0x1
	global_load_b128 v[48:51], v[104:105], off th:TH_LOAD_NT
	global_load_b128 v[36:39], v[104:105], off offset:512 th:TH_LOAD_NT
	s_clause 0x1
	global_load_b128 v[24:27], v[106:107], off th:TH_LOAD_NT
	global_load_b128 v[20:23], v[106:107], off offset:512 th:TH_LOAD_NT
	s_wait_xcnt 0x0
	s_and_saveexec_b32 s41, s40
	s_cbranch_execz .LBB8_2151
; %bb.2022:                             ;   in Loop: Header=BB8_2021 Depth=3
	v_lshlrev_b32_e32 v4, 16, v32
	s_delay_alu instid0(VALU_DEP_1) | instskip(NEXT) | instid1(VALU_DEP_1)
	v_mul_f32_e32 v5, v126, v4
	v_and_b32_e32 v4, 0x7f800000, v5
	s_delay_alu instid0(VALU_DEP_1) | instskip(SKIP_1) | instid1(SALU_CYCLE_1)
	v_cmp_ne_u32_e32 vcc_lo, 0x7f800000, v4
                                        ; implicit-def: $vgpr4
	s_and_saveexec_b32 s40, vcc_lo
	s_xor_b32 s40, exec_lo, s40
; %bb.2023:                             ;   in Loop: Header=BB8_2021 Depth=3
	v_bfe_u32 v4, v5, 16, 1
	s_delay_alu instid0(VALU_DEP_1)
	v_add3_u32 v4, v5, v4, 0x7fff
                                        ; implicit-def: $vgpr5
; %bb.2024:                             ;   in Loop: Header=BB8_2021 Depth=3
	s_and_not1_saveexec_b32 s40, s40
; %bb.2025:                             ;   in Loop: Header=BB8_2021 Depth=3
	v_and_b32_e32 v4, 0xffff, v5
	v_or_b32_e32 v28, 0x10000, v5
	s_delay_alu instid0(VALU_DEP_2) | instskip(NEXT) | instid1(VALU_DEP_2)
	v_cmp_eq_u32_e32 vcc_lo, 0, v4
	v_cndmask_b32_e32 v4, v28, v5, vcc_lo
; %bb.2026:                             ;   in Loop: Header=BB8_2021 Depth=3
	s_or_b32 exec_lo, exec_lo, s40
	v_and_b32_e32 v5, 0xffff0000, v32
	s_mov_b32 s40, exec_lo
                                        ; implicit-def: $vgpr98
	s_delay_alu instid0(VALU_DEP_1) | instskip(NEXT) | instid1(VALU_DEP_1)
	v_mul_f32_e32 v5, v126, v5
	v_and_b32_e32 v28, 0x7f800000, v5
	s_delay_alu instid0(VALU_DEP_1)
	v_cmpx_ne_u32_e32 0x7f800000, v28
	s_xor_b32 s40, exec_lo, s40
; %bb.2027:                             ;   in Loop: Header=BB8_2021 Depth=3
	v_bfe_u32 v28, v5, 16, 1
	s_delay_alu instid0(VALU_DEP_1)
	v_add3_u32 v98, v5, v28, 0x7fff
                                        ; implicit-def: $vgpr5
; %bb.2028:                             ;   in Loop: Header=BB8_2021 Depth=3
	s_and_not1_saveexec_b32 s40, s40
; %bb.2029:                             ;   in Loop: Header=BB8_2021 Depth=3
	v_and_b32_e32 v28, 0xffff, v5
	v_or_b32_e32 v29, 0x10000, v5
	s_delay_alu instid0(VALU_DEP_2) | instskip(NEXT) | instid1(VALU_DEP_2)
	v_cmp_eq_u32_e32 vcc_lo, 0, v28
	v_cndmask_b32_e32 v98, v29, v5, vcc_lo
; %bb.2030:                             ;   in Loop: Header=BB8_2021 Depth=3
	s_or_b32 exec_lo, exec_lo, s40
	v_lshlrev_b32_e32 v5, 16, v33
	s_mov_b32 s40, exec_lo
                                        ; implicit-def: $vgpr99
	s_delay_alu instid0(VALU_DEP_1) | instskip(NEXT) | instid1(VALU_DEP_1)
	v_mul_f32_e32 v5, v126, v5
	v_and_b32_e32 v28, 0x7f800000, v5
	s_delay_alu instid0(VALU_DEP_1)
	v_cmpx_ne_u32_e32 0x7f800000, v28
	s_xor_b32 s40, exec_lo, s40
; %bb.2031:                             ;   in Loop: Header=BB8_2021 Depth=3
	v_bfe_u32 v28, v5, 16, 1
	s_delay_alu instid0(VALU_DEP_1)
	v_add3_u32 v99, v5, v28, 0x7fff
                                        ; implicit-def: $vgpr5
; %bb.2032:                             ;   in Loop: Header=BB8_2021 Depth=3
	s_and_not1_saveexec_b32 s40, s40
; %bb.2033:                             ;   in Loop: Header=BB8_2021 Depth=3
	v_and_b32_e32 v28, 0xffff, v5
	v_or_b32_e32 v29, 0x10000, v5
	s_delay_alu instid0(VALU_DEP_2) | instskip(NEXT) | instid1(VALU_DEP_2)
	v_cmp_eq_u32_e32 vcc_lo, 0, v28
	v_cndmask_b32_e32 v99, v29, v5, vcc_lo
; %bb.2034:                             ;   in Loop: Header=BB8_2021 Depth=3
	s_or_b32 exec_lo, exec_lo, s40
	v_and_b32_e32 v5, 0xffff0000, v33
	s_mov_b32 s40, exec_lo
                                        ; implicit-def: $vgpr55
	s_delay_alu instid0(VALU_DEP_1) | instskip(NEXT) | instid1(VALU_DEP_1)
	v_mul_f32_e32 v5, v126, v5
	v_and_b32_e32 v28, 0x7f800000, v5
	s_delay_alu instid0(VALU_DEP_1)
	v_cmpx_ne_u32_e32 0x7f800000, v28
	s_xor_b32 s40, exec_lo, s40
; %bb.2035:                             ;   in Loop: Header=BB8_2021 Depth=3
	v_bfe_u32 v28, v5, 16, 1
	s_delay_alu instid0(VALU_DEP_1)
	v_add3_u32 v55, v5, v28, 0x7fff
                                        ; implicit-def: $vgpr5
; %bb.2036:                             ;   in Loop: Header=BB8_2021 Depth=3
	s_and_not1_saveexec_b32 s40, s40
; %bb.2037:                             ;   in Loop: Header=BB8_2021 Depth=3
	v_and_b32_e32 v28, 0xffff, v5
	v_or_b32_e32 v29, 0x10000, v5
	s_delay_alu instid0(VALU_DEP_2) | instskip(NEXT) | instid1(VALU_DEP_2)
	v_cmp_eq_u32_e32 vcc_lo, 0, v28
	v_cndmask_b32_e32 v55, v29, v5, vcc_lo
; %bb.2038:                             ;   in Loop: Header=BB8_2021 Depth=3
	s_or_b32 exec_lo, exec_lo, s40
	v_lshlrev_b32_e32 v5, 16, v34
	s_mov_b32 s40, exec_lo
                                        ; implicit-def: $vgpr108
	s_delay_alu instid0(VALU_DEP_1) | instskip(NEXT) | instid1(VALU_DEP_1)
	v_mul_f32_e32 v5, v126, v5
	v_and_b32_e32 v28, 0x7f800000, v5
	s_delay_alu instid0(VALU_DEP_1)
	v_cmpx_ne_u32_e32 0x7f800000, v28
	s_xor_b32 s40, exec_lo, s40
; %bb.2039:                             ;   in Loop: Header=BB8_2021 Depth=3
	v_bfe_u32 v28, v5, 16, 1
	s_delay_alu instid0(VALU_DEP_1)
	v_add3_u32 v108, v5, v28, 0x7fff
                                        ; implicit-def: $vgpr5
; %bb.2040:                             ;   in Loop: Header=BB8_2021 Depth=3
	s_and_not1_saveexec_b32 s40, s40
; %bb.2041:                             ;   in Loop: Header=BB8_2021 Depth=3
	v_and_b32_e32 v28, 0xffff, v5
	v_or_b32_e32 v29, 0x10000, v5
	s_delay_alu instid0(VALU_DEP_2) | instskip(NEXT) | instid1(VALU_DEP_2)
	v_cmp_eq_u32_e32 vcc_lo, 0, v28
	v_cndmask_b32_e32 v108, v29, v5, vcc_lo
; %bb.2042:                             ;   in Loop: Header=BB8_2021 Depth=3
	s_or_b32 exec_lo, exec_lo, s40
	v_and_b32_e32 v5, 0xffff0000, v34
	s_mov_b32 s40, exec_lo
                                        ; implicit-def: $vgpr53
	s_delay_alu instid0(VALU_DEP_1) | instskip(NEXT) | instid1(VALU_DEP_1)
	v_mul_f32_e32 v5, v126, v5
	v_and_b32_e32 v28, 0x7f800000, v5
	s_delay_alu instid0(VALU_DEP_1)
	v_cmpx_ne_u32_e32 0x7f800000, v28
	s_xor_b32 s40, exec_lo, s40
; %bb.2043:                             ;   in Loop: Header=BB8_2021 Depth=3
	v_bfe_u32 v28, v5, 16, 1
	s_delay_alu instid0(VALU_DEP_1)
	v_add3_u32 v53, v5, v28, 0x7fff
                                        ; implicit-def: $vgpr5
; %bb.2044:                             ;   in Loop: Header=BB8_2021 Depth=3
	s_and_not1_saveexec_b32 s40, s40
; %bb.2045:                             ;   in Loop: Header=BB8_2021 Depth=3
	v_and_b32_e32 v28, 0xffff, v5
	v_or_b32_e32 v29, 0x10000, v5
	s_delay_alu instid0(VALU_DEP_2) | instskip(NEXT) | instid1(VALU_DEP_2)
	v_cmp_eq_u32_e32 vcc_lo, 0, v28
	v_cndmask_b32_e32 v53, v29, v5, vcc_lo
; %bb.2046:                             ;   in Loop: Header=BB8_2021 Depth=3
	s_or_b32 exec_lo, exec_lo, s40
	v_lshlrev_b32_e32 v5, 16, v35
	s_mov_b32 s40, exec_lo
                                        ; implicit-def: $vgpr54
	s_delay_alu instid0(VALU_DEP_1) | instskip(NEXT) | instid1(VALU_DEP_1)
	v_mul_f32_e32 v5, v126, v5
	v_and_b32_e32 v28, 0x7f800000, v5
	s_delay_alu instid0(VALU_DEP_1)
	v_cmpx_ne_u32_e32 0x7f800000, v28
	s_xor_b32 s40, exec_lo, s40
; %bb.2047:                             ;   in Loop: Header=BB8_2021 Depth=3
	v_bfe_u32 v28, v5, 16, 1
	s_delay_alu instid0(VALU_DEP_1)
	v_add3_u32 v54, v5, v28, 0x7fff
                                        ; implicit-def: $vgpr5
; %bb.2048:                             ;   in Loop: Header=BB8_2021 Depth=3
	s_and_not1_saveexec_b32 s40, s40
; %bb.2049:                             ;   in Loop: Header=BB8_2021 Depth=3
	v_and_b32_e32 v28, 0xffff, v5
	v_or_b32_e32 v29, 0x10000, v5
	s_delay_alu instid0(VALU_DEP_2) | instskip(NEXT) | instid1(VALU_DEP_2)
	v_cmp_eq_u32_e32 vcc_lo, 0, v28
	v_cndmask_b32_e32 v54, v29, v5, vcc_lo
; %bb.2050:                             ;   in Loop: Header=BB8_2021 Depth=3
	s_or_b32 exec_lo, exec_lo, s40
	v_and_b32_e32 v5, 0xffff0000, v35
	s_mov_b32 s40, exec_lo
                                        ; implicit-def: $vgpr35
	s_delay_alu instid0(VALU_DEP_1) | instskip(NEXT) | instid1(VALU_DEP_1)
	v_mul_f32_e32 v5, v126, v5
	v_and_b32_e32 v28, 0x7f800000, v5
	s_delay_alu instid0(VALU_DEP_1)
	v_cmpx_ne_u32_e32 0x7f800000, v28
	s_xor_b32 s40, exec_lo, s40
; %bb.2051:                             ;   in Loop: Header=BB8_2021 Depth=3
	v_bfe_u32 v28, v5, 16, 1
	s_delay_alu instid0(VALU_DEP_1)
	v_add3_u32 v35, v5, v28, 0x7fff
                                        ; implicit-def: $vgpr5
; %bb.2052:                             ;   in Loop: Header=BB8_2021 Depth=3
	s_and_not1_saveexec_b32 s40, s40
; %bb.2053:                             ;   in Loop: Header=BB8_2021 Depth=3
	v_and_b32_e32 v28, 0xffff, v5
	v_or_b32_e32 v29, 0x10000, v5
	s_delay_alu instid0(VALU_DEP_2) | instskip(NEXT) | instid1(VALU_DEP_2)
	v_cmp_eq_u32_e32 vcc_lo, 0, v28
	v_cndmask_b32_e32 v35, v29, v5, vcc_lo
; %bb.2054:                             ;   in Loop: Header=BB8_2021 Depth=3
	s_or_b32 exec_lo, exec_lo, s40
	v_lshlrev_b32_e32 v5, 16, v16
	s_mov_b32 s40, exec_lo
                                        ; implicit-def: $vgpr52
	s_delay_alu instid0(VALU_DEP_1) | instskip(NEXT) | instid1(VALU_DEP_1)
	v_mul_f32_e32 v5, v126, v5
	v_and_b32_e32 v28, 0x7f800000, v5
	s_delay_alu instid0(VALU_DEP_1)
	v_cmpx_ne_u32_e32 0x7f800000, v28
	s_xor_b32 s40, exec_lo, s40
; %bb.2055:                             ;   in Loop: Header=BB8_2021 Depth=3
	v_bfe_u32 v28, v5, 16, 1
	s_delay_alu instid0(VALU_DEP_1)
	v_add3_u32 v52, v5, v28, 0x7fff
                                        ; implicit-def: $vgpr5
; %bb.2056:                             ;   in Loop: Header=BB8_2021 Depth=3
	s_and_not1_saveexec_b32 s40, s40
; %bb.2057:                             ;   in Loop: Header=BB8_2021 Depth=3
	v_and_b32_e32 v28, 0xffff, v5
	v_or_b32_e32 v29, 0x10000, v5
	s_delay_alu instid0(VALU_DEP_2) | instskip(NEXT) | instid1(VALU_DEP_2)
	v_cmp_eq_u32_e32 vcc_lo, 0, v28
	v_cndmask_b32_e32 v52, v29, v5, vcc_lo
; %bb.2058:                             ;   in Loop: Header=BB8_2021 Depth=3
	s_or_b32 exec_lo, exec_lo, s40
	v_and_b32_e32 v5, 0xffff0000, v16
	s_mov_b32 s40, exec_lo
                                        ; implicit-def: $vgpr33
	s_delay_alu instid0(VALU_DEP_1) | instskip(NEXT) | instid1(VALU_DEP_1)
	v_mul_f32_e32 v5, v126, v5
	v_and_b32_e32 v16, 0x7f800000, v5
	s_delay_alu instid0(VALU_DEP_1)
	v_cmpx_ne_u32_e32 0x7f800000, v16
	s_xor_b32 s40, exec_lo, s40
; %bb.2059:                             ;   in Loop: Header=BB8_2021 Depth=3
	v_bfe_u32 v16, v5, 16, 1
	s_delay_alu instid0(VALU_DEP_1)
	v_add3_u32 v33, v5, v16, 0x7fff
                                        ; implicit-def: $vgpr5
; %bb.2060:                             ;   in Loop: Header=BB8_2021 Depth=3
	s_and_not1_saveexec_b32 s40, s40
; %bb.2061:                             ;   in Loop: Header=BB8_2021 Depth=3
	v_and_b32_e32 v16, 0xffff, v5
	v_or_b32_e32 v28, 0x10000, v5
	s_delay_alu instid0(VALU_DEP_2) | instskip(NEXT) | instid1(VALU_DEP_2)
	v_cmp_eq_u32_e32 vcc_lo, 0, v16
	v_cndmask_b32_e32 v33, v28, v5, vcc_lo
; %bb.2062:                             ;   in Loop: Header=BB8_2021 Depth=3
	s_or_b32 exec_lo, exec_lo, s40
	v_lshlrev_b32_e32 v5, 16, v17
	s_mov_b32 s40, exec_lo
                                        ; implicit-def: $vgpr34
	s_delay_alu instid0(VALU_DEP_1) | instskip(NEXT) | instid1(VALU_DEP_1)
	v_mul_f32_e32 v5, v126, v5
	v_and_b32_e32 v16, 0x7f800000, v5
	s_delay_alu instid0(VALU_DEP_1)
	v_cmpx_ne_u32_e32 0x7f800000, v16
	s_xor_b32 s40, exec_lo, s40
; %bb.2063:                             ;   in Loop: Header=BB8_2021 Depth=3
	v_bfe_u32 v16, v5, 16, 1
	s_delay_alu instid0(VALU_DEP_1)
	v_add3_u32 v34, v5, v16, 0x7fff
                                        ; implicit-def: $vgpr5
; %bb.2064:                             ;   in Loop: Header=BB8_2021 Depth=3
	s_and_not1_saveexec_b32 s40, s40
; %bb.2065:                             ;   in Loop: Header=BB8_2021 Depth=3
	v_and_b32_e32 v16, 0xffff, v5
	v_or_b32_e32 v28, 0x10000, v5
	s_delay_alu instid0(VALU_DEP_2) | instskip(NEXT) | instid1(VALU_DEP_2)
	v_cmp_eq_u32_e32 vcc_lo, 0, v16
	v_cndmask_b32_e32 v34, v28, v5, vcc_lo
; %bb.2066:                             ;   in Loop: Header=BB8_2021 Depth=3
	s_or_b32 exec_lo, exec_lo, s40
	v_and_b32_e32 v5, 0xffff0000, v17
	s_mov_b32 s40, exec_lo
                                        ; implicit-def: $vgpr29
	s_delay_alu instid0(VALU_DEP_1) | instskip(NEXT) | instid1(VALU_DEP_1)
	v_mul_f32_e32 v5, v126, v5
	v_and_b32_e32 v16, 0x7f800000, v5
	s_delay_alu instid0(VALU_DEP_1)
	v_cmpx_ne_u32_e32 0x7f800000, v16
	s_xor_b32 s40, exec_lo, s40
; %bb.2067:                             ;   in Loop: Header=BB8_2021 Depth=3
	v_bfe_u32 v16, v5, 16, 1
	s_delay_alu instid0(VALU_DEP_1)
	v_add3_u32 v29, v5, v16, 0x7fff
                                        ; implicit-def: $vgpr5
; %bb.2068:                             ;   in Loop: Header=BB8_2021 Depth=3
	s_and_not1_saveexec_b32 s40, s40
; %bb.2069:                             ;   in Loop: Header=BB8_2021 Depth=3
	v_and_b32_e32 v16, 0xffff, v5
	v_or_b32_e32 v17, 0x10000, v5
	s_delay_alu instid0(VALU_DEP_2) | instskip(NEXT) | instid1(VALU_DEP_2)
	v_cmp_eq_u32_e32 vcc_lo, 0, v16
	v_cndmask_b32_e32 v29, v17, v5, vcc_lo
; %bb.2070:                             ;   in Loop: Header=BB8_2021 Depth=3
	s_or_b32 exec_lo, exec_lo, s40
	v_lshlrev_b32_e32 v5, 16, v18
	s_mov_b32 s40, exec_lo
                                        ; implicit-def: $vgpr32
	s_delay_alu instid0(VALU_DEP_1) | instskip(NEXT) | instid1(VALU_DEP_1)
	v_mul_f32_e32 v5, v126, v5
	v_and_b32_e32 v16, 0x7f800000, v5
	s_delay_alu instid0(VALU_DEP_1)
	v_cmpx_ne_u32_e32 0x7f800000, v16
	s_xor_b32 s40, exec_lo, s40
; %bb.2071:                             ;   in Loop: Header=BB8_2021 Depth=3
	v_bfe_u32 v16, v5, 16, 1
	s_delay_alu instid0(VALU_DEP_1)
	v_add3_u32 v32, v5, v16, 0x7fff
                                        ; implicit-def: $vgpr5
; %bb.2072:                             ;   in Loop: Header=BB8_2021 Depth=3
	s_and_not1_saveexec_b32 s40, s40
; %bb.2073:                             ;   in Loop: Header=BB8_2021 Depth=3
	v_and_b32_e32 v16, 0xffff, v5
	v_or_b32_e32 v17, 0x10000, v5
	s_delay_alu instid0(VALU_DEP_2) | instskip(NEXT) | instid1(VALU_DEP_2)
	v_cmp_eq_u32_e32 vcc_lo, 0, v16
	v_cndmask_b32_e32 v32, v17, v5, vcc_lo
; %bb.2074:                             ;   in Loop: Header=BB8_2021 Depth=3
	s_or_b32 exec_lo, exec_lo, s40
	v_and_b32_e32 v5, 0xffff0000, v18
	s_mov_b32 s40, exec_lo
                                        ; implicit-def: $vgpr18
	s_delay_alu instid0(VALU_DEP_1) | instskip(NEXT) | instid1(VALU_DEP_1)
	v_mul_f32_e32 v5, v126, v5
	v_and_b32_e32 v16, 0x7f800000, v5
	s_delay_alu instid0(VALU_DEP_1)
	v_cmpx_ne_u32_e32 0x7f800000, v16
	s_xor_b32 s40, exec_lo, s40
; %bb.2075:                             ;   in Loop: Header=BB8_2021 Depth=3
	v_bfe_u32 v16, v5, 16, 1
	s_delay_alu instid0(VALU_DEP_1)
	v_add3_u32 v18, v5, v16, 0x7fff
                                        ; implicit-def: $vgpr5
; %bb.2076:                             ;   in Loop: Header=BB8_2021 Depth=3
	s_and_not1_saveexec_b32 s40, s40
; %bb.2077:                             ;   in Loop: Header=BB8_2021 Depth=3
	v_and_b32_e32 v16, 0xffff, v5
	v_or_b32_e32 v17, 0x10000, v5
	s_delay_alu instid0(VALU_DEP_2) | instskip(NEXT) | instid1(VALU_DEP_2)
	v_cmp_eq_u32_e32 vcc_lo, 0, v16
	v_cndmask_b32_e32 v18, v17, v5, vcc_lo
; %bb.2078:                             ;   in Loop: Header=BB8_2021 Depth=3
	s_or_b32 exec_lo, exec_lo, s40
	v_lshlrev_b32_e32 v5, 16, v19
	s_mov_b32 s40, exec_lo
                                        ; implicit-def: $vgpr28
	s_delay_alu instid0(VALU_DEP_1) | instskip(NEXT) | instid1(VALU_DEP_1)
	v_mul_f32_e32 v5, v126, v5
	v_and_b32_e32 v16, 0x7f800000, v5
	s_delay_alu instid0(VALU_DEP_1)
	v_cmpx_ne_u32_e32 0x7f800000, v16
	s_xor_b32 s40, exec_lo, s40
; %bb.2079:                             ;   in Loop: Header=BB8_2021 Depth=3
	v_bfe_u32 v16, v5, 16, 1
	s_delay_alu instid0(VALU_DEP_1)
	v_add3_u32 v28, v5, v16, 0x7fff
                                        ; implicit-def: $vgpr5
; %bb.2080:                             ;   in Loop: Header=BB8_2021 Depth=3
	s_and_not1_saveexec_b32 s40, s40
; %bb.2081:                             ;   in Loop: Header=BB8_2021 Depth=3
	v_and_b32_e32 v16, 0xffff, v5
	v_or_b32_e32 v17, 0x10000, v5
	s_delay_alu instid0(VALU_DEP_2) | instskip(NEXT) | instid1(VALU_DEP_2)
	v_cmp_eq_u32_e32 vcc_lo, 0, v16
	v_cndmask_b32_e32 v28, v17, v5, vcc_lo
; %bb.2082:                             ;   in Loop: Header=BB8_2021 Depth=3
	s_or_b32 exec_lo, exec_lo, s40
	v_and_b32_e32 v5, 0xffff0000, v19
	s_mov_b32 s40, exec_lo
                                        ; implicit-def: $vgpr17
	s_delay_alu instid0(VALU_DEP_1) | instskip(NEXT) | instid1(VALU_DEP_1)
	v_mul_f32_e32 v5, v126, v5
	v_and_b32_e32 v16, 0x7f800000, v5
	s_delay_alu instid0(VALU_DEP_1)
	v_cmpx_ne_u32_e32 0x7f800000, v16
	s_xor_b32 s40, exec_lo, s40
; %bb.2083:                             ;   in Loop: Header=BB8_2021 Depth=3
	v_bfe_u32 v16, v5, 16, 1
	s_delay_alu instid0(VALU_DEP_1)
	v_add3_u32 v17, v5, v16, 0x7fff
                                        ; implicit-def: $vgpr5
; %bb.2084:                             ;   in Loop: Header=BB8_2021 Depth=3
	s_and_not1_saveexec_b32 s40, s40
; %bb.2085:                             ;   in Loop: Header=BB8_2021 Depth=3
	v_and_b32_e32 v16, 0xffff, v5
	v_or_b32_e32 v17, 0x10000, v5
	s_delay_alu instid0(VALU_DEP_2) | instskip(NEXT) | instid1(VALU_DEP_2)
	v_cmp_eq_u32_e32 vcc_lo, 0, v16
	v_cndmask_b32_e32 v17, v17, v5, vcc_lo
; %bb.2086:                             ;   in Loop: Header=BB8_2021 Depth=3
	s_or_b32 exec_lo, exec_lo, s40
	v_and_b32_e32 v4, 0xffff0000, v4
	v_lshlrev_b32_e32 v5, 16, v12
	s_mov_b32 s40, exec_lo
                                        ; implicit-def: $vgpr16
	s_delay_alu instid0(VALU_DEP_1) | instskip(NEXT) | instid1(VALU_DEP_1)
	v_add_f32_e32 v4, v5, v4
	v_and_b32_e32 v5, 0x7f800000, v4
	s_delay_alu instid0(VALU_DEP_1)
	v_cmpx_ne_u32_e32 0x7f800000, v5
	s_xor_b32 s40, exec_lo, s40
; %bb.2087:                             ;   in Loop: Header=BB8_2021 Depth=3
	v_bfe_u32 v5, v4, 16, 1
	s_delay_alu instid0(VALU_DEP_1)
	v_add3_u32 v16, v4, v5, 0x7fff
                                        ; implicit-def: $vgpr4
; %bb.2088:                             ;   in Loop: Header=BB8_2021 Depth=3
	s_and_not1_saveexec_b32 s40, s40
; %bb.2089:                             ;   in Loop: Header=BB8_2021 Depth=3
	v_and_b32_e32 v5, 0xffff, v4
	v_or_b32_e32 v16, 0x10000, v4
	s_delay_alu instid0(VALU_DEP_2) | instskip(NEXT) | instid1(VALU_DEP_2)
	v_cmp_eq_u32_e32 vcc_lo, 0, v5
	v_cndmask_b32_e32 v16, v16, v4, vcc_lo
; %bb.2090:                             ;   in Loop: Header=BB8_2021 Depth=3
	s_or_b32 exec_lo, exec_lo, s40
	v_and_b32_e32 v4, 0xffff0000, v12
	v_and_b32_e32 v5, 0xffff0000, v98
	s_delay_alu instid0(VALU_DEP_1) | instskip(NEXT) | instid1(VALU_DEP_1)
	v_add_f32_e32 v5, v4, v5
	v_and_b32_e32 v4, 0x7f800000, v5
	s_delay_alu instid0(VALU_DEP_1) | instskip(SKIP_1) | instid1(SALU_CYCLE_1)
	v_cmp_ne_u32_e32 vcc_lo, 0x7f800000, v4
                                        ; implicit-def: $vgpr4
	s_and_saveexec_b32 s40, vcc_lo
	s_xor_b32 s40, exec_lo, s40
; %bb.2091:                             ;   in Loop: Header=BB8_2021 Depth=3
	v_bfe_u32 v4, v5, 16, 1
	s_delay_alu instid0(VALU_DEP_1)
	v_add3_u32 v4, v5, v4, 0x7fff
                                        ; implicit-def: $vgpr5
; %bb.2092:                             ;   in Loop: Header=BB8_2021 Depth=3
	s_and_not1_saveexec_b32 s40, s40
; %bb.2093:                             ;   in Loop: Header=BB8_2021 Depth=3
	v_and_b32_e32 v4, 0xffff, v5
	v_or_b32_e32 v19, 0x10000, v5
	s_delay_alu instid0(VALU_DEP_2) | instskip(NEXT) | instid1(VALU_DEP_2)
	v_cmp_eq_u32_e32 vcc_lo, 0, v4
	v_cndmask_b32_e32 v4, v19, v5, vcc_lo
; %bb.2094:                             ;   in Loop: Header=BB8_2021 Depth=3
	s_or_b32 exec_lo, exec_lo, s40
	v_and_b32_e32 v5, 0xffff0000, v99
	v_lshlrev_b32_e32 v19, 16, v13
	s_delay_alu instid0(VALU_DEP_1) | instskip(NEXT) | instid1(VALU_DEP_1)
	v_add_f32_e32 v19, v19, v5
	v_and_b32_e32 v5, 0x7f800000, v19
	s_delay_alu instid0(VALU_DEP_1) | instskip(SKIP_1) | instid1(SALU_CYCLE_1)
	v_cmp_ne_u32_e32 vcc_lo, 0x7f800000, v5
                                        ; implicit-def: $vgpr5
	s_and_saveexec_b32 s40, vcc_lo
	s_xor_b32 s40, exec_lo, s40
; %bb.2095:                             ;   in Loop: Header=BB8_2021 Depth=3
	v_bfe_u32 v5, v19, 16, 1
	s_delay_alu instid0(VALU_DEP_1)
	v_add3_u32 v5, v19, v5, 0x7fff
                                        ; implicit-def: $vgpr19
; %bb.2096:                             ;   in Loop: Header=BB8_2021 Depth=3
	s_and_not1_saveexec_b32 s40, s40
; %bb.2097:                             ;   in Loop: Header=BB8_2021 Depth=3
	v_and_b32_e32 v5, 0xffff, v19
	v_or_b32_e32 v96, 0x10000, v19
	s_delay_alu instid0(VALU_DEP_2) | instskip(NEXT) | instid1(VALU_DEP_2)
	v_cmp_eq_u32_e32 vcc_lo, 0, v5
	v_cndmask_b32_e32 v5, v96, v19, vcc_lo
; %bb.2098:                             ;   in Loop: Header=BB8_2021 Depth=3
	s_or_b32 exec_lo, exec_lo, s40
	v_and_b32_e32 v19, 0xffff0000, v13
	v_and_b32_e32 v55, 0xffff0000, v55
	s_delay_alu instid0(VALU_DEP_1) | instskip(NEXT) | instid1(VALU_DEP_1)
	v_add_f32_e32 v55, v19, v55
	v_and_b32_e32 v19, 0x7f800000, v55
	s_delay_alu instid0(VALU_DEP_1) | instskip(SKIP_1) | instid1(SALU_CYCLE_1)
	v_cmp_ne_u32_e32 vcc_lo, 0x7f800000, v19
                                        ; implicit-def: $vgpr19
	s_and_saveexec_b32 s40, vcc_lo
	s_xor_b32 s40, exec_lo, s40
; %bb.2099:                             ;   in Loop: Header=BB8_2021 Depth=3
	v_bfe_u32 v19, v55, 16, 1
	s_delay_alu instid0(VALU_DEP_1)
	v_add3_u32 v19, v55, v19, 0x7fff
                                        ; implicit-def: $vgpr55
; %bb.2100:                             ;   in Loop: Header=BB8_2021 Depth=3
	s_and_not1_saveexec_b32 s40, s40
; %bb.2101:                             ;   in Loop: Header=BB8_2021 Depth=3
	v_and_b32_e32 v19, 0xffff, v55
	v_or_b32_e32 v96, 0x10000, v55
	s_delay_alu instid0(VALU_DEP_2) | instskip(NEXT) | instid1(VALU_DEP_2)
	v_cmp_eq_u32_e32 vcc_lo, 0, v19
	v_cndmask_b32_e32 v19, v96, v55, vcc_lo
; %bb.2102:                             ;   in Loop: Header=BB8_2021 Depth=3
	s_or_b32 exec_lo, exec_lo, s40
	v_and_b32_e32 v55, 0xffff0000, v108
	v_lshlrev_b32_e32 v96, 16, v14
	s_delay_alu instid0(VALU_DEP_1) | instskip(NEXT) | instid1(VALU_DEP_1)
	v_add_f32_e32 v96, v96, v55
	v_and_b32_e32 v55, 0x7f800000, v96
	s_delay_alu instid0(VALU_DEP_1) | instskip(SKIP_1) | instid1(SALU_CYCLE_1)
	v_cmp_ne_u32_e32 vcc_lo, 0x7f800000, v55
                                        ; implicit-def: $vgpr55
	s_and_saveexec_b32 s40, vcc_lo
	s_xor_b32 s40, exec_lo, s40
; %bb.2103:                             ;   in Loop: Header=BB8_2021 Depth=3
	v_bfe_u32 v55, v96, 16, 1
	s_delay_alu instid0(VALU_DEP_1)
	v_add3_u32 v55, v96, v55, 0x7fff
                                        ; implicit-def: $vgpr96
; %bb.2104:                             ;   in Loop: Header=BB8_2021 Depth=3
	s_and_not1_saveexec_b32 s40, s40
; %bb.2105:                             ;   in Loop: Header=BB8_2021 Depth=3
	v_and_b32_e32 v55, 0xffff, v96
	v_or_b32_e32 v97, 0x10000, v96
	s_delay_alu instid0(VALU_DEP_2) | instskip(NEXT) | instid1(VALU_DEP_2)
	v_cmp_eq_u32_e32 vcc_lo, 0, v55
	v_cndmask_b32_e32 v55, v97, v96, vcc_lo
; %bb.2106:                             ;   in Loop: Header=BB8_2021 Depth=3
	s_or_b32 exec_lo, exec_lo, s40
	v_and_b32_e32 v96, 0xffff0000, v14
	v_and_b32_e32 v53, 0xffff0000, v53
	s_delay_alu instid0(VALU_DEP_1) | instskip(NEXT) | instid1(VALU_DEP_1)
	v_add_f32_e32 v96, v96, v53
	v_and_b32_e32 v53, 0x7f800000, v96
	s_delay_alu instid0(VALU_DEP_1) | instskip(SKIP_1) | instid1(SALU_CYCLE_1)
	v_cmp_ne_u32_e32 vcc_lo, 0x7f800000, v53
                                        ; implicit-def: $vgpr53
	s_and_saveexec_b32 s40, vcc_lo
	s_xor_b32 s40, exec_lo, s40
; %bb.2107:                             ;   in Loop: Header=BB8_2021 Depth=3
	v_bfe_u32 v53, v96, 16, 1
	s_delay_alu instid0(VALU_DEP_1)
	v_add3_u32 v53, v96, v53, 0x7fff
                                        ; implicit-def: $vgpr96
; %bb.2108:                             ;   in Loop: Header=BB8_2021 Depth=3
	s_and_not1_saveexec_b32 s40, s40
; %bb.2109:                             ;   in Loop: Header=BB8_2021 Depth=3
	v_and_b32_e32 v53, 0xffff, v96
	v_or_b32_e32 v97, 0x10000, v96
	s_delay_alu instid0(VALU_DEP_2) | instskip(NEXT) | instid1(VALU_DEP_2)
	v_cmp_eq_u32_e32 vcc_lo, 0, v53
	v_cndmask_b32_e32 v53, v97, v96, vcc_lo
; %bb.2110:                             ;   in Loop: Header=BB8_2021 Depth=3
	s_or_b32 exec_lo, exec_lo, s40
	v_and_b32_e32 v54, 0xffff0000, v54
	v_lshlrev_b32_e32 v96, 16, v15
	s_delay_alu instid0(VALU_DEP_1) | instskip(NEXT) | instid1(VALU_DEP_1)
	v_add_f32_e32 v96, v96, v54
	v_and_b32_e32 v54, 0x7f800000, v96
	s_delay_alu instid0(VALU_DEP_1) | instskip(SKIP_1) | instid1(SALU_CYCLE_1)
	v_cmp_ne_u32_e32 vcc_lo, 0x7f800000, v54
                                        ; implicit-def: $vgpr54
	s_and_saveexec_b32 s40, vcc_lo
	s_xor_b32 s40, exec_lo, s40
; %bb.2111:                             ;   in Loop: Header=BB8_2021 Depth=3
	v_bfe_u32 v54, v96, 16, 1
	s_delay_alu instid0(VALU_DEP_1)
	v_add3_u32 v54, v96, v54, 0x7fff
                                        ; implicit-def: $vgpr96
; %bb.2112:                             ;   in Loop: Header=BB8_2021 Depth=3
	s_and_not1_saveexec_b32 s40, s40
; %bb.2113:                             ;   in Loop: Header=BB8_2021 Depth=3
	v_and_b32_e32 v54, 0xffff, v96
	v_or_b32_e32 v97, 0x10000, v96
	s_delay_alu instid0(VALU_DEP_2) | instskip(NEXT) | instid1(VALU_DEP_2)
	v_cmp_eq_u32_e32 vcc_lo, 0, v54
	v_cndmask_b32_e32 v54, v97, v96, vcc_lo
; %bb.2114:                             ;   in Loop: Header=BB8_2021 Depth=3
	s_or_b32 exec_lo, exec_lo, s40
	v_and_b32_e32 v96, 0xffff0000, v15
	v_and_b32_e32 v35, 0xffff0000, v35
	s_delay_alu instid0(VALU_DEP_1) | instskip(NEXT) | instid1(VALU_DEP_1)
	v_add_f32_e32 v96, v96, v35
	v_and_b32_e32 v35, 0x7f800000, v96
	s_delay_alu instid0(VALU_DEP_1) | instskip(SKIP_1) | instid1(SALU_CYCLE_1)
	v_cmp_ne_u32_e32 vcc_lo, 0x7f800000, v35
                                        ; implicit-def: $vgpr35
	s_and_saveexec_b32 s40, vcc_lo
	s_xor_b32 s40, exec_lo, s40
; %bb.2115:                             ;   in Loop: Header=BB8_2021 Depth=3
	v_bfe_u32 v35, v96, 16, 1
	s_delay_alu instid0(VALU_DEP_1)
	v_add3_u32 v35, v96, v35, 0x7fff
                                        ; implicit-def: $vgpr96
; %bb.2116:                             ;   in Loop: Header=BB8_2021 Depth=3
	s_and_not1_saveexec_b32 s40, s40
; %bb.2117:                             ;   in Loop: Header=BB8_2021 Depth=3
	v_and_b32_e32 v35, 0xffff, v96
	v_or_b32_e32 v97, 0x10000, v96
	s_delay_alu instid0(VALU_DEP_2) | instskip(NEXT) | instid1(VALU_DEP_2)
	v_cmp_eq_u32_e32 vcc_lo, 0, v35
	v_cndmask_b32_e32 v35, v97, v96, vcc_lo
; %bb.2118:                             ;   in Loop: Header=BB8_2021 Depth=3
	s_or_b32 exec_lo, exec_lo, s40
	v_and_b32_e32 v52, 0xffff0000, v52
	v_lshlrev_b32_e32 v96, 16, v8
	s_delay_alu instid0(VALU_DEP_1) | instskip(NEXT) | instid1(VALU_DEP_1)
	v_add_f32_e32 v96, v96, v52
	v_and_b32_e32 v52, 0x7f800000, v96
	s_delay_alu instid0(VALU_DEP_1) | instskip(SKIP_1) | instid1(SALU_CYCLE_1)
	v_cmp_ne_u32_e32 vcc_lo, 0x7f800000, v52
                                        ; implicit-def: $vgpr52
	s_and_saveexec_b32 s40, vcc_lo
	s_xor_b32 s40, exec_lo, s40
; %bb.2119:                             ;   in Loop: Header=BB8_2021 Depth=3
	v_bfe_u32 v52, v96, 16, 1
	s_delay_alu instid0(VALU_DEP_1)
	v_add3_u32 v52, v96, v52, 0x7fff
                                        ; implicit-def: $vgpr96
; %bb.2120:                             ;   in Loop: Header=BB8_2021 Depth=3
	s_and_not1_saveexec_b32 s40, s40
; %bb.2121:                             ;   in Loop: Header=BB8_2021 Depth=3
	v_and_b32_e32 v52, 0xffff, v96
	v_or_b32_e32 v97, 0x10000, v96
	s_delay_alu instid0(VALU_DEP_2) | instskip(NEXT) | instid1(VALU_DEP_2)
	v_cmp_eq_u32_e32 vcc_lo, 0, v52
	v_cndmask_b32_e32 v52, v97, v96, vcc_lo
; %bb.2122:                             ;   in Loop: Header=BB8_2021 Depth=3
	s_or_b32 exec_lo, exec_lo, s40
	v_and_b32_e32 v96, 0xffff0000, v8
	v_and_b32_e32 v33, 0xffff0000, v33
	s_mov_b32 s40, exec_lo
                                        ; implicit-def: $vgpr98
	s_delay_alu instid0(VALU_DEP_1) | instskip(NEXT) | instid1(VALU_DEP_1)
	v_add_f32_e32 v33, v96, v33
	v_and_b32_e32 v96, 0x7f800000, v33
	s_delay_alu instid0(VALU_DEP_1)
	v_cmpx_ne_u32_e32 0x7f800000, v96
	s_xor_b32 s40, exec_lo, s40
; %bb.2123:                             ;   in Loop: Header=BB8_2021 Depth=3
	v_bfe_u32 v96, v33, 16, 1
	s_delay_alu instid0(VALU_DEP_1)
	v_add3_u32 v98, v33, v96, 0x7fff
                                        ; implicit-def: $vgpr33
; %bb.2124:                             ;   in Loop: Header=BB8_2021 Depth=3
	s_and_not1_saveexec_b32 s40, s40
; %bb.2125:                             ;   in Loop: Header=BB8_2021 Depth=3
	v_and_b32_e32 v96, 0xffff, v33
	v_or_b32_e32 v97, 0x10000, v33
	s_delay_alu instid0(VALU_DEP_2) | instskip(NEXT) | instid1(VALU_DEP_2)
	v_cmp_eq_u32_e32 vcc_lo, 0, v96
	v_cndmask_b32_e32 v98, v97, v33, vcc_lo
; %bb.2126:                             ;   in Loop: Header=BB8_2021 Depth=3
	s_or_b32 exec_lo, exec_lo, s40
	v_and_b32_e32 v33, 0xffff0000, v34
	v_lshlrev_b32_e32 v34, 16, v9
	s_mov_b32 s40, exec_lo
                                        ; implicit-def: $vgpr99
	s_delay_alu instid0(VALU_DEP_1) | instskip(NEXT) | instid1(VALU_DEP_1)
	v_add_f32_e32 v33, v34, v33
	v_and_b32_e32 v34, 0x7f800000, v33
	s_delay_alu instid0(VALU_DEP_1)
	v_cmpx_ne_u32_e32 0x7f800000, v34
	s_xor_b32 s40, exec_lo, s40
; %bb.2127:                             ;   in Loop: Header=BB8_2021 Depth=3
	v_bfe_u32 v34, v33, 16, 1
	s_delay_alu instid0(VALU_DEP_1)
	v_add3_u32 v99, v33, v34, 0x7fff
                                        ; implicit-def: $vgpr33
; %bb.2128:                             ;   in Loop: Header=BB8_2021 Depth=3
	s_and_not1_saveexec_b32 s40, s40
; %bb.2129:                             ;   in Loop: Header=BB8_2021 Depth=3
	v_and_b32_e32 v34, 0xffff, v33
	v_or_b32_e32 v96, 0x10000, v33
	s_delay_alu instid0(VALU_DEP_2) | instskip(NEXT) | instid1(VALU_DEP_2)
	v_cmp_eq_u32_e32 vcc_lo, 0, v34
	v_cndmask_b32_e32 v99, v96, v33, vcc_lo
; %bb.2130:                             ;   in Loop: Header=BB8_2021 Depth=3
	s_or_b32 exec_lo, exec_lo, s40
	v_and_b32_e32 v33, 0xffff0000, v9
	v_and_b32_e32 v29, 0xffff0000, v29
	s_delay_alu instid0(VALU_DEP_1) | instskip(NEXT) | instid1(VALU_DEP_1)
	v_add_f32_e32 v33, v33, v29
	v_and_b32_e32 v29, 0x7f800000, v33
	s_delay_alu instid0(VALU_DEP_1) | instskip(SKIP_1) | instid1(SALU_CYCLE_1)
	v_cmp_ne_u32_e32 vcc_lo, 0x7f800000, v29
                                        ; implicit-def: $vgpr29
	s_and_saveexec_b32 s40, vcc_lo
	s_xor_b32 s40, exec_lo, s40
; %bb.2131:                             ;   in Loop: Header=BB8_2021 Depth=3
	v_bfe_u32 v29, v33, 16, 1
	s_delay_alu instid0(VALU_DEP_1)
	v_add3_u32 v29, v33, v29, 0x7fff
                                        ; implicit-def: $vgpr33
; %bb.2132:                             ;   in Loop: Header=BB8_2021 Depth=3
	s_and_not1_saveexec_b32 s40, s40
; %bb.2133:                             ;   in Loop: Header=BB8_2021 Depth=3
	v_and_b32_e32 v29, 0xffff, v33
	v_or_b32_e32 v34, 0x10000, v33
	s_delay_alu instid0(VALU_DEP_2) | instskip(NEXT) | instid1(VALU_DEP_2)
	v_cmp_eq_u32_e32 vcc_lo, 0, v29
	v_cndmask_b32_e32 v29, v34, v33, vcc_lo
; %bb.2134:                             ;   in Loop: Header=BB8_2021 Depth=3
	s_or_b32 exec_lo, exec_lo, s40
	v_and_b32_e32 v32, 0xffff0000, v32
	v_lshlrev_b32_e32 v33, 16, v10
	s_mov_b32 s40, exec_lo
                                        ; implicit-def: $vgpr108
	s_delay_alu instid0(VALU_DEP_1) | instskip(NEXT) | instid1(VALU_DEP_1)
	v_add_f32_e32 v32, v33, v32
	v_and_b32_e32 v33, 0x7f800000, v32
	s_delay_alu instid0(VALU_DEP_1)
	v_cmpx_ne_u32_e32 0x7f800000, v33
	s_xor_b32 s40, exec_lo, s40
; %bb.2135:                             ;   in Loop: Header=BB8_2021 Depth=3
	v_bfe_u32 v33, v32, 16, 1
	s_delay_alu instid0(VALU_DEP_1)
	v_add3_u32 v108, v32, v33, 0x7fff
                                        ; implicit-def: $vgpr32
; %bb.2136:                             ;   in Loop: Header=BB8_2021 Depth=3
	s_and_not1_saveexec_b32 s40, s40
; %bb.2137:                             ;   in Loop: Header=BB8_2021 Depth=3
	v_and_b32_e32 v33, 0xffff, v32
	v_or_b32_e32 v34, 0x10000, v32
	s_delay_alu instid0(VALU_DEP_2) | instskip(NEXT) | instid1(VALU_DEP_2)
	v_cmp_eq_u32_e32 vcc_lo, 0, v33
	v_cndmask_b32_e32 v108, v34, v32, vcc_lo
; %bb.2138:                             ;   in Loop: Header=BB8_2021 Depth=3
	s_or_b32 exec_lo, exec_lo, s40
	v_and_b32_e32 v32, 0xffff0000, v10
	v_and_b32_e32 v18, 0xffff0000, v18
	s_delay_alu instid0(VALU_DEP_1) | instskip(NEXT) | instid1(VALU_DEP_1)
	v_add_f32_e32 v32, v32, v18
	v_and_b32_e32 v18, 0x7f800000, v32
	s_delay_alu instid0(VALU_DEP_1) | instskip(SKIP_1) | instid1(SALU_CYCLE_1)
	v_cmp_ne_u32_e32 vcc_lo, 0x7f800000, v18
                                        ; implicit-def: $vgpr18
	s_and_saveexec_b32 s40, vcc_lo
	s_xor_b32 s40, exec_lo, s40
; %bb.2139:                             ;   in Loop: Header=BB8_2021 Depth=3
	v_bfe_u32 v18, v32, 16, 1
	s_delay_alu instid0(VALU_DEP_1)
	v_add3_u32 v18, v32, v18, 0x7fff
                                        ; implicit-def: $vgpr32
; %bb.2140:                             ;   in Loop: Header=BB8_2021 Depth=3
	s_and_not1_saveexec_b32 s40, s40
; %bb.2141:                             ;   in Loop: Header=BB8_2021 Depth=3
	v_and_b32_e32 v18, 0xffff, v32
	v_or_b32_e32 v33, 0x10000, v32
	s_delay_alu instid0(VALU_DEP_2) | instskip(NEXT) | instid1(VALU_DEP_2)
	v_cmp_eq_u32_e32 vcc_lo, 0, v18
	v_cndmask_b32_e32 v18, v33, v32, vcc_lo
; %bb.2142:                             ;   in Loop: Header=BB8_2021 Depth=3
	s_or_b32 exec_lo, exec_lo, s40
	v_and_b32_e32 v28, 0xffff0000, v28
	v_lshlrev_b32_e32 v32, 16, v11
	s_delay_alu instid0(VALU_DEP_1) | instskip(NEXT) | instid1(VALU_DEP_1)
	v_add_f32_e32 v32, v32, v28
	v_and_b32_e32 v28, 0x7f800000, v32
	s_delay_alu instid0(VALU_DEP_1) | instskip(SKIP_1) | instid1(SALU_CYCLE_1)
	v_cmp_ne_u32_e32 vcc_lo, 0x7f800000, v28
                                        ; implicit-def: $vgpr28
	s_and_saveexec_b32 s40, vcc_lo
	s_xor_b32 s40, exec_lo, s40
; %bb.2143:                             ;   in Loop: Header=BB8_2021 Depth=3
	v_bfe_u32 v28, v32, 16, 1
	s_delay_alu instid0(VALU_DEP_1)
	v_add3_u32 v28, v32, v28, 0x7fff
                                        ; implicit-def: $vgpr32
; %bb.2144:                             ;   in Loop: Header=BB8_2021 Depth=3
	s_and_not1_saveexec_b32 s40, s40
; %bb.2145:                             ;   in Loop: Header=BB8_2021 Depth=3
	v_and_b32_e32 v28, 0xffff, v32
	v_or_b32_e32 v33, 0x10000, v32
	s_delay_alu instid0(VALU_DEP_2) | instskip(NEXT) | instid1(VALU_DEP_2)
	v_cmp_eq_u32_e32 vcc_lo, 0, v28
	v_cndmask_b32_e32 v28, v33, v32, vcc_lo
; %bb.2146:                             ;   in Loop: Header=BB8_2021 Depth=3
	s_or_b32 exec_lo, exec_lo, s40
	v_and_b32_e32 v32, 0xffff0000, v11
	v_and_b32_e32 v17, 0xffff0000, v17
	s_mov_b32 s40, exec_lo
                                        ; implicit-def: $vgpr96
	s_delay_alu instid0(VALU_DEP_1) | instskip(NEXT) | instid1(VALU_DEP_1)
	v_add_f32_e32 v17, v32, v17
	v_and_b32_e32 v32, 0x7f800000, v17
	s_delay_alu instid0(VALU_DEP_1)
	v_cmpx_ne_u32_e32 0x7f800000, v32
	s_xor_b32 s40, exec_lo, s40
; %bb.2147:                             ;   in Loop: Header=BB8_2021 Depth=3
	v_bfe_u32 v32, v17, 16, 1
	s_delay_alu instid0(VALU_DEP_1)
	v_add3_u32 v96, v17, v32, 0x7fff
                                        ; implicit-def: $vgpr17
; %bb.2148:                             ;   in Loop: Header=BB8_2021 Depth=3
	s_and_not1_saveexec_b32 s40, s40
; %bb.2149:                             ;   in Loop: Header=BB8_2021 Depth=3
	v_and_b32_e32 v32, 0xffff, v17
	v_or_b32_e32 v33, 0x10000, v17
	s_delay_alu instid0(VALU_DEP_2) | instskip(NEXT) | instid1(VALU_DEP_2)
	v_cmp_eq_u32_e32 vcc_lo, 0, v32
	v_cndmask_b32_e32 v96, v33, v17, vcc_lo
; %bb.2150:                             ;   in Loop: Header=BB8_2021 Depth=3
	s_or_b32 exec_lo, exec_lo, s40
	v_dual_lshrrev_b32 v5, 16, v5 :: v_dual_lshrrev_b32 v16, 16, v16
	v_dual_lshrrev_b32 v17, 16, v55 :: v_dual_lshrrev_b32 v28, 16, v28
	s_delay_alu instid0(VALU_DEP_2) | instskip(NEXT) | instid1(VALU_DEP_3)
	v_and_or_b32 v33, 0xffff0000, v19, v5
	v_and_or_b32 v32, 0xffff0000, v4, v16
	v_dual_lshrrev_b32 v4, 16, v54 :: v_dual_lshrrev_b32 v5, 16, v99
	v_lshrrev_b32_e32 v16, 16, v52
	v_lshrrev_b32_e32 v19, 16, v108
	v_and_or_b32 v34, 0xffff0000, v53, v17
	s_delay_alu instid0(VALU_DEP_4)
	v_and_or_b32 v35, 0xffff0000, v35, v4
	v_and_or_b32 v17, 0xffff0000, v29, v5
	;; [unrolled: 1-line block ×5, first 2 shown]
	s_clause 0x1
	global_store_b128 v[94:95], v[32:35], off th:TH_STORE_NT
	global_store_b128 v[94:95], v[16:19], off offset:512 th:TH_STORE_NT
	s_clause 0x1
	global_store_b128 v[92:93], v[32:35], off th:TH_STORE_NT
	global_store_b128 v[92:93], v[16:19], off offset:512 th:TH_STORE_NT
	s_wait_xcnt 0x2
	v_add_nc_u64_e32 v[94:95], v[94:95], v[42:43]
	s_wait_xcnt 0x0
	v_add_nc_u64_e32 v[92:93], v[92:93], v[42:43]
.LBB8_2151:                             ;   in Loop: Header=BB8_2021 Depth=3
	s_or_b32 exec_lo, exec_lo, s41
	v_sub_nc_u32_e32 v75, v75, v84
	v_add_nc_u64_e32 v[104:105], v[104:105], v[42:43]
	v_add_nc_u64_e32 v[106:107], v[106:107], v[42:43]
	s_delay_alu instid0(VALU_DEP_3)
	v_cmp_lt_i32_e64 s40, 0, v75
	s_and_saveexec_b32 s41, s40
	s_cbranch_execz .LBB8_2153
; %bb.2152:                             ;   in Loop: Header=BB8_2021 Depth=3
	s_clause 0x1
	global_load_b128 v[32:35], v[104:105], off th:TH_LOAD_NT
	global_load_b128 v[16:19], v[104:105], off offset:512 th:TH_LOAD_NT
	s_clause 0x1
	global_load_b128 v[12:15], v[106:107], off th:TH_LOAD_NT
	global_load_b128 v[8:11], v[106:107], off offset:512 th:TH_LOAD_NT
	s_wait_xcnt 0x2
	v_add_nc_u64_e32 v[104:105], 0x400, v[104:105]
	s_wait_xcnt 0x0
	v_add_nc_u64_e32 v[106:107], 0x400, v[106:107]
.LBB8_2153:                             ;   in Loop: Header=BB8_2021 Depth=3
	s_or_b32 exec_lo, exec_lo, s41
	s_wait_loadcnt 0x3
	v_lshlrev_b32_e32 v4, 16, v48
	s_delay_alu instid0(VALU_DEP_1) | instskip(NEXT) | instid1(VALU_DEP_1)
	v_mul_f32_e32 v4, v126, v4
	v_and_b32_e32 v5, 0x7f800000, v4
	s_delay_alu instid0(VALU_DEP_1) | instskip(SKIP_1) | instid1(SALU_CYCLE_1)
	v_cmp_ne_u32_e32 vcc_lo, 0x7f800000, v5
                                        ; implicit-def: $vgpr5
	s_and_saveexec_b32 s41, vcc_lo
	s_xor_b32 s41, exec_lo, s41
; %bb.2154:                             ;   in Loop: Header=BB8_2021 Depth=3
	v_bfe_u32 v5, v4, 16, 1
	s_delay_alu instid0(VALU_DEP_1)
	v_add3_u32 v5, v4, v5, 0x7fff
                                        ; implicit-def: $vgpr4
; %bb.2155:                             ;   in Loop: Header=BB8_2021 Depth=3
	s_and_not1_saveexec_b32 s41, s41
; %bb.2156:                             ;   in Loop: Header=BB8_2021 Depth=3
	v_and_b32_e32 v5, 0xffff, v4
	v_or_b32_e32 v28, 0x10000, v4
	s_delay_alu instid0(VALU_DEP_2) | instskip(NEXT) | instid1(VALU_DEP_2)
	v_cmp_eq_u32_e32 vcc_lo, 0, v5
	v_cndmask_b32_e32 v5, v28, v4, vcc_lo
; %bb.2157:                             ;   in Loop: Header=BB8_2021 Depth=3
	s_or_b32 exec_lo, exec_lo, s41
	v_and_b32_e32 v4, 0xffff0000, v48
	s_mov_b32 s41, exec_lo
                                        ; implicit-def: $vgpr99
	s_delay_alu instid0(VALU_DEP_1) | instskip(NEXT) | instid1(VALU_DEP_1)
	v_mul_f32_e32 v4, v126, v4
	v_and_b32_e32 v28, 0x7f800000, v4
	s_delay_alu instid0(VALU_DEP_1)
	v_cmpx_ne_u32_e32 0x7f800000, v28
	s_xor_b32 s41, exec_lo, s41
; %bb.2158:                             ;   in Loop: Header=BB8_2021 Depth=3
	v_bfe_u32 v28, v4, 16, 1
	s_delay_alu instid0(VALU_DEP_1)
	v_add3_u32 v99, v4, v28, 0x7fff
                                        ; implicit-def: $vgpr4
; %bb.2159:                             ;   in Loop: Header=BB8_2021 Depth=3
	s_and_not1_saveexec_b32 s41, s41
; %bb.2160:                             ;   in Loop: Header=BB8_2021 Depth=3
	v_and_b32_e32 v28, 0xffff, v4
	v_or_b32_e32 v29, 0x10000, v4
	s_delay_alu instid0(VALU_DEP_2) | instskip(NEXT) | instid1(VALU_DEP_2)
	v_cmp_eq_u32_e32 vcc_lo, 0, v28
	v_cndmask_b32_e32 v99, v29, v4, vcc_lo
; %bb.2161:                             ;   in Loop: Header=BB8_2021 Depth=3
	s_or_b32 exec_lo, exec_lo, s41
	v_lshlrev_b32_e32 v4, 16, v49
	s_delay_alu instid0(VALU_DEP_1) | instskip(NEXT) | instid1(VALU_DEP_1)
	v_mul_f32_e32 v28, v126, v4
	v_and_b32_e32 v4, 0x7f800000, v28
	s_delay_alu instid0(VALU_DEP_1) | instskip(SKIP_1) | instid1(SALU_CYCLE_1)
	v_cmp_ne_u32_e32 vcc_lo, 0x7f800000, v4
                                        ; implicit-def: $vgpr4
	s_and_saveexec_b32 s41, vcc_lo
	s_xor_b32 s41, exec_lo, s41
; %bb.2162:                             ;   in Loop: Header=BB8_2021 Depth=3
	v_bfe_u32 v4, v28, 16, 1
	s_delay_alu instid0(VALU_DEP_1)
	v_add3_u32 v4, v28, v4, 0x7fff
                                        ; implicit-def: $vgpr28
; %bb.2163:                             ;   in Loop: Header=BB8_2021 Depth=3
	s_and_not1_saveexec_b32 s41, s41
; %bb.2164:                             ;   in Loop: Header=BB8_2021 Depth=3
	v_and_b32_e32 v4, 0xffff, v28
	v_or_b32_e32 v29, 0x10000, v28
	s_delay_alu instid0(VALU_DEP_2) | instskip(NEXT) | instid1(VALU_DEP_2)
	v_cmp_eq_u32_e32 vcc_lo, 0, v4
	v_cndmask_b32_e32 v4, v29, v28, vcc_lo
; %bb.2165:                             ;   in Loop: Header=BB8_2021 Depth=3
	s_or_b32 exec_lo, exec_lo, s41
	v_and_b32_e32 v28, 0xffff0000, v49
	s_mov_b32 s41, exec_lo
                                        ; implicit-def: $vgpr108
	s_delay_alu instid0(VALU_DEP_1) | instskip(NEXT) | instid1(VALU_DEP_1)
	v_mul_f32_e32 v28, v126, v28
	v_and_b32_e32 v29, 0x7f800000, v28
	s_delay_alu instid0(VALU_DEP_1)
	v_cmpx_ne_u32_e32 0x7f800000, v29
	s_xor_b32 s41, exec_lo, s41
; %bb.2166:                             ;   in Loop: Header=BB8_2021 Depth=3
	v_bfe_u32 v29, v28, 16, 1
	s_delay_alu instid0(VALU_DEP_1)
	v_add3_u32 v108, v28, v29, 0x7fff
                                        ; implicit-def: $vgpr28
; %bb.2167:                             ;   in Loop: Header=BB8_2021 Depth=3
	s_and_not1_saveexec_b32 s41, s41
; %bb.2168:                             ;   in Loop: Header=BB8_2021 Depth=3
	v_and_b32_e32 v29, 0xffff, v28
	v_or_b32_e32 v48, 0x10000, v28
	s_delay_alu instid0(VALU_DEP_2) | instskip(NEXT) | instid1(VALU_DEP_2)
	v_cmp_eq_u32_e32 vcc_lo, 0, v29
	v_cndmask_b32_e32 v108, v48, v28, vcc_lo
; %bb.2169:                             ;   in Loop: Header=BB8_2021 Depth=3
	s_or_b32 exec_lo, exec_lo, s41
	v_lshlrev_b32_e32 v28, 16, v50
	s_mov_b32 s41, exec_lo
                                        ; implicit-def: $vgpr98
	s_delay_alu instid0(VALU_DEP_1) | instskip(NEXT) | instid1(VALU_DEP_1)
	v_mul_f32_e32 v28, v126, v28
	v_and_b32_e32 v29, 0x7f800000, v28
	s_delay_alu instid0(VALU_DEP_1)
	v_cmpx_ne_u32_e32 0x7f800000, v29
	s_xor_b32 s41, exec_lo, s41
; %bb.2170:                             ;   in Loop: Header=BB8_2021 Depth=3
	v_bfe_u32 v29, v28, 16, 1
	s_delay_alu instid0(VALU_DEP_1)
	v_add3_u32 v98, v28, v29, 0x7fff
                                        ; implicit-def: $vgpr28
; %bb.2171:                             ;   in Loop: Header=BB8_2021 Depth=3
	s_and_not1_saveexec_b32 s41, s41
; %bb.2172:                             ;   in Loop: Header=BB8_2021 Depth=3
	v_and_b32_e32 v29, 0xffff, v28
	v_or_b32_e32 v48, 0x10000, v28
	s_delay_alu instid0(VALU_DEP_2) | instskip(NEXT) | instid1(VALU_DEP_2)
	v_cmp_eq_u32_e32 vcc_lo, 0, v29
	v_cndmask_b32_e32 v98, v48, v28, vcc_lo
; %bb.2173:                             ;   in Loop: Header=BB8_2021 Depth=3
	s_or_b32 exec_lo, exec_lo, s41
	v_and_b32_e32 v28, 0xffff0000, v50
	s_mov_b32 s41, exec_lo
                                        ; implicit-def: $vgpr54
	s_delay_alu instid0(VALU_DEP_1) | instskip(NEXT) | instid1(VALU_DEP_1)
	v_mul_f32_e32 v28, v126, v28
	v_and_b32_e32 v29, 0x7f800000, v28
	s_delay_alu instid0(VALU_DEP_1)
	v_cmpx_ne_u32_e32 0x7f800000, v29
	s_xor_b32 s41, exec_lo, s41
; %bb.2174:                             ;   in Loop: Header=BB8_2021 Depth=3
	v_bfe_u32 v29, v28, 16, 1
	s_delay_alu instid0(VALU_DEP_1)
	v_add3_u32 v54, v28, v29, 0x7fff
                                        ; implicit-def: $vgpr28
; %bb.2175:                             ;   in Loop: Header=BB8_2021 Depth=3
	s_and_not1_saveexec_b32 s41, s41
; %bb.2176:                             ;   in Loop: Header=BB8_2021 Depth=3
	v_and_b32_e32 v29, 0xffff, v28
	v_or_b32_e32 v48, 0x10000, v28
	s_delay_alu instid0(VALU_DEP_2) | instskip(NEXT) | instid1(VALU_DEP_2)
	v_cmp_eq_u32_e32 vcc_lo, 0, v29
	v_cndmask_b32_e32 v54, v48, v28, vcc_lo
; %bb.2177:                             ;   in Loop: Header=BB8_2021 Depth=3
	s_or_b32 exec_lo, exec_lo, s41
	v_lshlrev_b32_e32 v28, 16, v51
	s_mov_b32 s41, exec_lo
                                        ; implicit-def: $vgpr55
	s_delay_alu instid0(VALU_DEP_1) | instskip(NEXT) | instid1(VALU_DEP_1)
	v_mul_f32_e32 v28, v126, v28
	v_and_b32_e32 v29, 0x7f800000, v28
	s_delay_alu instid0(VALU_DEP_1)
	v_cmpx_ne_u32_e32 0x7f800000, v29
	s_xor_b32 s41, exec_lo, s41
; %bb.2178:                             ;   in Loop: Header=BB8_2021 Depth=3
	v_bfe_u32 v29, v28, 16, 1
	s_delay_alu instid0(VALU_DEP_1)
	v_add3_u32 v55, v28, v29, 0x7fff
                                        ; implicit-def: $vgpr28
; %bb.2179:                             ;   in Loop: Header=BB8_2021 Depth=3
	s_and_not1_saveexec_b32 s41, s41
; %bb.2180:                             ;   in Loop: Header=BB8_2021 Depth=3
	v_and_b32_e32 v29, 0xffff, v28
	v_or_b32_e32 v48, 0x10000, v28
	s_delay_alu instid0(VALU_DEP_2) | instskip(NEXT) | instid1(VALU_DEP_2)
	v_cmp_eq_u32_e32 vcc_lo, 0, v29
	v_cndmask_b32_e32 v55, v48, v28, vcc_lo
; %bb.2181:                             ;   in Loop: Header=BB8_2021 Depth=3
	s_or_b32 exec_lo, exec_lo, s41
	v_and_b32_e32 v28, 0xffff0000, v51
	s_mov_b32 s41, exec_lo
                                        ; implicit-def: $vgpr52
	s_delay_alu instid0(VALU_DEP_1) | instskip(NEXT) | instid1(VALU_DEP_1)
	v_mul_f32_e32 v28, v126, v28
	v_and_b32_e32 v29, 0x7f800000, v28
	s_delay_alu instid0(VALU_DEP_1)
	v_cmpx_ne_u32_e32 0x7f800000, v29
	s_xor_b32 s41, exec_lo, s41
; %bb.2182:                             ;   in Loop: Header=BB8_2021 Depth=3
	v_bfe_u32 v29, v28, 16, 1
	s_delay_alu instid0(VALU_DEP_1)
	v_add3_u32 v52, v28, v29, 0x7fff
                                        ; implicit-def: $vgpr28
; %bb.2183:                             ;   in Loop: Header=BB8_2021 Depth=3
	s_and_not1_saveexec_b32 s41, s41
; %bb.2184:                             ;   in Loop: Header=BB8_2021 Depth=3
	v_and_b32_e32 v29, 0xffff, v28
	v_or_b32_e32 v48, 0x10000, v28
	s_delay_alu instid0(VALU_DEP_2) | instskip(NEXT) | instid1(VALU_DEP_2)
	v_cmp_eq_u32_e32 vcc_lo, 0, v29
	v_cndmask_b32_e32 v52, v48, v28, vcc_lo
; %bb.2185:                             ;   in Loop: Header=BB8_2021 Depth=3
	s_or_b32 exec_lo, exec_lo, s41
	s_wait_loadcnt 0x2
	v_lshlrev_b32_e32 v28, 16, v36
	s_mov_b32 s41, exec_lo
                                        ; implicit-def: $vgpr53
	s_delay_alu instid0(VALU_DEP_1) | instskip(NEXT) | instid1(VALU_DEP_1)
	v_mul_f32_e32 v28, v126, v28
	v_and_b32_e32 v29, 0x7f800000, v28
	s_delay_alu instid0(VALU_DEP_1)
	v_cmpx_ne_u32_e32 0x7f800000, v29
	s_xor_b32 s41, exec_lo, s41
; %bb.2186:                             ;   in Loop: Header=BB8_2021 Depth=3
	v_bfe_u32 v29, v28, 16, 1
	s_delay_alu instid0(VALU_DEP_1)
	v_add3_u32 v53, v28, v29, 0x7fff
                                        ; implicit-def: $vgpr28
; %bb.2187:                             ;   in Loop: Header=BB8_2021 Depth=3
	s_and_not1_saveexec_b32 s41, s41
; %bb.2188:                             ;   in Loop: Header=BB8_2021 Depth=3
	v_and_b32_e32 v29, 0xffff, v28
	v_or_b32_e32 v48, 0x10000, v28
	s_delay_alu instid0(VALU_DEP_2) | instskip(NEXT) | instid1(VALU_DEP_2)
	v_cmp_eq_u32_e32 vcc_lo, 0, v29
	v_cndmask_b32_e32 v53, v48, v28, vcc_lo
; %bb.2189:                             ;   in Loop: Header=BB8_2021 Depth=3
	s_or_b32 exec_lo, exec_lo, s41
	v_and_b32_e32 v28, 0xffff0000, v36
	s_mov_b32 s41, exec_lo
                                        ; implicit-def: $vgpr50
	s_delay_alu instid0(VALU_DEP_1) | instskip(NEXT) | instid1(VALU_DEP_1)
	v_mul_f32_e32 v28, v126, v28
	v_and_b32_e32 v29, 0x7f800000, v28
	s_delay_alu instid0(VALU_DEP_1)
	v_cmpx_ne_u32_e32 0x7f800000, v29
	s_xor_b32 s41, exec_lo, s41
; %bb.2190:                             ;   in Loop: Header=BB8_2021 Depth=3
	v_bfe_u32 v29, v28, 16, 1
	s_delay_alu instid0(VALU_DEP_1)
	v_add3_u32 v50, v28, v29, 0x7fff
                                        ; implicit-def: $vgpr28
; %bb.2191:                             ;   in Loop: Header=BB8_2021 Depth=3
	s_and_not1_saveexec_b32 s41, s41
; %bb.2192:                             ;   in Loop: Header=BB8_2021 Depth=3
	v_and_b32_e32 v29, 0xffff, v28
	v_or_b32_e32 v36, 0x10000, v28
	s_delay_alu instid0(VALU_DEP_2) | instskip(NEXT) | instid1(VALU_DEP_2)
	v_cmp_eq_u32_e32 vcc_lo, 0, v29
	v_cndmask_b32_e32 v50, v36, v28, vcc_lo
; %bb.2193:                             ;   in Loop: Header=BB8_2021 Depth=3
	s_or_b32 exec_lo, exec_lo, s41
	v_lshlrev_b32_e32 v28, 16, v37
	s_mov_b32 s41, exec_lo
                                        ; implicit-def: $vgpr51
	s_delay_alu instid0(VALU_DEP_1) | instskip(NEXT) | instid1(VALU_DEP_1)
	v_mul_f32_e32 v28, v126, v28
	v_and_b32_e32 v29, 0x7f800000, v28
	s_delay_alu instid0(VALU_DEP_1)
	v_cmpx_ne_u32_e32 0x7f800000, v29
	s_xor_b32 s41, exec_lo, s41
; %bb.2194:                             ;   in Loop: Header=BB8_2021 Depth=3
	v_bfe_u32 v29, v28, 16, 1
	s_delay_alu instid0(VALU_DEP_1)
	v_add3_u32 v51, v28, v29, 0x7fff
                                        ; implicit-def: $vgpr28
; %bb.2195:                             ;   in Loop: Header=BB8_2021 Depth=3
	s_and_not1_saveexec_b32 s41, s41
; %bb.2196:                             ;   in Loop: Header=BB8_2021 Depth=3
	v_and_b32_e32 v29, 0xffff, v28
	v_or_b32_e32 v36, 0x10000, v28
	s_delay_alu instid0(VALU_DEP_2) | instskip(NEXT) | instid1(VALU_DEP_2)
	v_cmp_eq_u32_e32 vcc_lo, 0, v29
	v_cndmask_b32_e32 v51, v36, v28, vcc_lo
; %bb.2197:                             ;   in Loop: Header=BB8_2021 Depth=3
	s_or_b32 exec_lo, exec_lo, s41
	v_and_b32_e32 v28, 0xffff0000, v37
	s_mov_b32 s41, exec_lo
                                        ; implicit-def: $vgpr48
	s_delay_alu instid0(VALU_DEP_1) | instskip(NEXT) | instid1(VALU_DEP_1)
	v_mul_f32_e32 v28, v126, v28
	v_and_b32_e32 v29, 0x7f800000, v28
	s_delay_alu instid0(VALU_DEP_1)
	v_cmpx_ne_u32_e32 0x7f800000, v29
	s_xor_b32 s41, exec_lo, s41
; %bb.2198:                             ;   in Loop: Header=BB8_2021 Depth=3
	v_bfe_u32 v29, v28, 16, 1
	s_delay_alu instid0(VALU_DEP_1)
	v_add3_u32 v48, v28, v29, 0x7fff
                                        ; implicit-def: $vgpr28
; %bb.2199:                             ;   in Loop: Header=BB8_2021 Depth=3
	s_and_not1_saveexec_b32 s41, s41
; %bb.2200:                             ;   in Loop: Header=BB8_2021 Depth=3
	v_and_b32_e32 v29, 0xffff, v28
	v_or_b32_e32 v36, 0x10000, v28
	s_delay_alu instid0(VALU_DEP_2) | instskip(NEXT) | instid1(VALU_DEP_2)
	v_cmp_eq_u32_e32 vcc_lo, 0, v29
	v_cndmask_b32_e32 v48, v36, v28, vcc_lo
; %bb.2201:                             ;   in Loop: Header=BB8_2021 Depth=3
	s_or_b32 exec_lo, exec_lo, s41
	v_lshlrev_b32_e32 v28, 16, v38
	s_mov_b32 s41, exec_lo
                                        ; implicit-def: $vgpr49
	s_delay_alu instid0(VALU_DEP_1) | instskip(NEXT) | instid1(VALU_DEP_1)
	v_mul_f32_e32 v28, v126, v28
	v_and_b32_e32 v29, 0x7f800000, v28
	s_delay_alu instid0(VALU_DEP_1)
	v_cmpx_ne_u32_e32 0x7f800000, v29
	s_xor_b32 s41, exec_lo, s41
; %bb.2202:                             ;   in Loop: Header=BB8_2021 Depth=3
	v_bfe_u32 v29, v28, 16, 1
	s_delay_alu instid0(VALU_DEP_1)
	v_add3_u32 v49, v28, v29, 0x7fff
                                        ; implicit-def: $vgpr28
; %bb.2203:                             ;   in Loop: Header=BB8_2021 Depth=3
	s_and_not1_saveexec_b32 s41, s41
; %bb.2204:                             ;   in Loop: Header=BB8_2021 Depth=3
	v_and_b32_e32 v29, 0xffff, v28
	v_or_b32_e32 v36, 0x10000, v28
	s_delay_alu instid0(VALU_DEP_2) | instskip(NEXT) | instid1(VALU_DEP_2)
	v_cmp_eq_u32_e32 vcc_lo, 0, v29
	v_cndmask_b32_e32 v49, v36, v28, vcc_lo
; %bb.2205:                             ;   in Loop: Header=BB8_2021 Depth=3
	s_or_b32 exec_lo, exec_lo, s41
	v_and_b32_e32 v28, 0xffff0000, v38
	s_mov_b32 s41, exec_lo
                                        ; implicit-def: $vgpr36
	s_delay_alu instid0(VALU_DEP_1) | instskip(NEXT) | instid1(VALU_DEP_1)
	v_mul_f32_e32 v28, v126, v28
	v_and_b32_e32 v29, 0x7f800000, v28
	s_delay_alu instid0(VALU_DEP_1)
	v_cmpx_ne_u32_e32 0x7f800000, v29
	s_xor_b32 s41, exec_lo, s41
; %bb.2206:                             ;   in Loop: Header=BB8_2021 Depth=3
	v_bfe_u32 v29, v28, 16, 1
	s_delay_alu instid0(VALU_DEP_1)
	v_add3_u32 v36, v28, v29, 0x7fff
                                        ; implicit-def: $vgpr28
; %bb.2207:                             ;   in Loop: Header=BB8_2021 Depth=3
	s_and_not1_saveexec_b32 s41, s41
; %bb.2208:                             ;   in Loop: Header=BB8_2021 Depth=3
	v_and_b32_e32 v29, 0xffff, v28
	v_or_b32_e32 v36, 0x10000, v28
	s_delay_alu instid0(VALU_DEP_2) | instskip(NEXT) | instid1(VALU_DEP_2)
	v_cmp_eq_u32_e32 vcc_lo, 0, v29
	v_cndmask_b32_e32 v36, v36, v28, vcc_lo
; %bb.2209:                             ;   in Loop: Header=BB8_2021 Depth=3
	s_or_b32 exec_lo, exec_lo, s41
	v_lshlrev_b32_e32 v28, 16, v39
	s_mov_b32 s41, exec_lo
                                        ; implicit-def: $vgpr37
	s_delay_alu instid0(VALU_DEP_1) | instskip(NEXT) | instid1(VALU_DEP_1)
	v_mul_f32_e32 v28, v126, v28
	v_and_b32_e32 v29, 0x7f800000, v28
	s_delay_alu instid0(VALU_DEP_1)
	v_cmpx_ne_u32_e32 0x7f800000, v29
	s_xor_b32 s41, exec_lo, s41
; %bb.2210:                             ;   in Loop: Header=BB8_2021 Depth=3
	v_bfe_u32 v29, v28, 16, 1
	s_delay_alu instid0(VALU_DEP_1)
	v_add3_u32 v37, v28, v29, 0x7fff
                                        ; implicit-def: $vgpr28
; %bb.2211:                             ;   in Loop: Header=BB8_2021 Depth=3
	s_and_not1_saveexec_b32 s41, s41
; %bb.2212:                             ;   in Loop: Header=BB8_2021 Depth=3
	v_and_b32_e32 v29, 0xffff, v28
	v_or_b32_e32 v37, 0x10000, v28
	s_delay_alu instid0(VALU_DEP_2) | instskip(NEXT) | instid1(VALU_DEP_2)
	v_cmp_eq_u32_e32 vcc_lo, 0, v29
	v_cndmask_b32_e32 v37, v37, v28, vcc_lo
; %bb.2213:                             ;   in Loop: Header=BB8_2021 Depth=3
	s_or_b32 exec_lo, exec_lo, s41
	v_and_b32_e32 v28, 0xffff0000, v39
	s_delay_alu instid0(VALU_DEP_1) | instskip(NEXT) | instid1(VALU_DEP_1)
	v_mul_f32_e32 v28, v126, v28
	v_and_b32_e32 v29, 0x7f800000, v28
	s_delay_alu instid0(VALU_DEP_1) | instskip(SKIP_1) | instid1(SALU_CYCLE_1)
	v_cmp_ne_u32_e32 vcc_lo, 0x7f800000, v29
                                        ; implicit-def: $vgpr29
	s_and_saveexec_b32 s41, vcc_lo
	s_xor_b32 s41, exec_lo, s41
; %bb.2214:                             ;   in Loop: Header=BB8_2021 Depth=3
	v_bfe_u32 v29, v28, 16, 1
	s_delay_alu instid0(VALU_DEP_1)
	v_add3_u32 v29, v28, v29, 0x7fff
                                        ; implicit-def: $vgpr28
; %bb.2215:                             ;   in Loop: Header=BB8_2021 Depth=3
	s_and_not1_saveexec_b32 s41, s41
; %bb.2216:                             ;   in Loop: Header=BB8_2021 Depth=3
	v_and_b32_e32 v29, 0xffff, v28
	v_or_b32_e32 v38, 0x10000, v28
	s_delay_alu instid0(VALU_DEP_2) | instskip(NEXT) | instid1(VALU_DEP_2)
	v_cmp_eq_u32_e32 vcc_lo, 0, v29
	v_cndmask_b32_e32 v29, v38, v28, vcc_lo
; %bb.2217:                             ;   in Loop: Header=BB8_2021 Depth=3
	s_or_b32 exec_lo, exec_lo, s41
	v_and_b32_e32 v5, 0xffff0000, v5
	s_wait_loadcnt 0x1
	v_lshlrev_b32_e32 v28, 16, v24
	s_delay_alu instid0(VALU_DEP_1) | instskip(NEXT) | instid1(VALU_DEP_1)
	v_add_f32_e32 v5, v28, v5
	v_and_b32_e32 v28, 0x7f800000, v5
	s_delay_alu instid0(VALU_DEP_1) | instskip(SKIP_1) | instid1(SALU_CYCLE_1)
	v_cmp_ne_u32_e32 vcc_lo, 0x7f800000, v28
                                        ; implicit-def: $vgpr28
	s_and_saveexec_b32 s41, vcc_lo
	s_xor_b32 s41, exec_lo, s41
; %bb.2218:                             ;   in Loop: Header=BB8_2021 Depth=3
	v_bfe_u32 v28, v5, 16, 1
	s_delay_alu instid0(VALU_DEP_1)
	v_add3_u32 v28, v5, v28, 0x7fff
                                        ; implicit-def: $vgpr5
; %bb.2219:                             ;   in Loop: Header=BB8_2021 Depth=3
	s_and_not1_saveexec_b32 s41, s41
; %bb.2220:                             ;   in Loop: Header=BB8_2021 Depth=3
	v_and_b32_e32 v28, 0xffff, v5
	v_or_b32_e32 v38, 0x10000, v5
	s_delay_alu instid0(VALU_DEP_2) | instskip(NEXT) | instid1(VALU_DEP_2)
	v_cmp_eq_u32_e32 vcc_lo, 0, v28
	v_cndmask_b32_e32 v28, v38, v5, vcc_lo
; %bb.2221:                             ;   in Loop: Header=BB8_2021 Depth=3
	s_or_b32 exec_lo, exec_lo, s41
	v_and_b32_e32 v5, 0xffff0000, v24
	v_and_b32_e32 v24, 0xffff0000, v99
	s_delay_alu instid0(VALU_DEP_1) | instskip(NEXT) | instid1(VALU_DEP_1)
	v_add_f32_e32 v24, v5, v24
	v_and_b32_e32 v5, 0x7f800000, v24
	s_delay_alu instid0(VALU_DEP_1) | instskip(SKIP_1) | instid1(SALU_CYCLE_1)
	v_cmp_ne_u32_e32 vcc_lo, 0x7f800000, v5
                                        ; implicit-def: $vgpr5
	s_and_saveexec_b32 s41, vcc_lo
	s_xor_b32 s41, exec_lo, s41
; %bb.2222:                             ;   in Loop: Header=BB8_2021 Depth=3
	v_bfe_u32 v5, v24, 16, 1
	s_delay_alu instid0(VALU_DEP_1)
	v_add3_u32 v5, v24, v5, 0x7fff
                                        ; implicit-def: $vgpr24
; %bb.2223:                             ;   in Loop: Header=BB8_2021 Depth=3
	s_and_not1_saveexec_b32 s41, s41
; %bb.2224:                             ;   in Loop: Header=BB8_2021 Depth=3
	v_and_b32_e32 v5, 0xffff, v24
	v_or_b32_e32 v38, 0x10000, v24
	s_delay_alu instid0(VALU_DEP_2) | instskip(NEXT) | instid1(VALU_DEP_2)
	v_cmp_eq_u32_e32 vcc_lo, 0, v5
	v_cndmask_b32_e32 v5, v38, v24, vcc_lo
; %bb.2225:                             ;   in Loop: Header=BB8_2021 Depth=3
	s_or_b32 exec_lo, exec_lo, s41
	v_and_b32_e32 v4, 0xffff0000, v4
	v_lshlrev_b32_e32 v24, 16, v25
	s_delay_alu instid0(VALU_DEP_1) | instskip(NEXT) | instid1(VALU_DEP_1)
	v_add_f32_e32 v24, v24, v4
	v_and_b32_e32 v4, 0x7f800000, v24
	s_delay_alu instid0(VALU_DEP_1) | instskip(SKIP_1) | instid1(SALU_CYCLE_1)
	v_cmp_ne_u32_e32 vcc_lo, 0x7f800000, v4
                                        ; implicit-def: $vgpr4
	s_and_saveexec_b32 s41, vcc_lo
	s_xor_b32 s41, exec_lo, s41
; %bb.2226:                             ;   in Loop: Header=BB8_2021 Depth=3
	v_bfe_u32 v4, v24, 16, 1
	s_delay_alu instid0(VALU_DEP_1)
	v_add3_u32 v4, v24, v4, 0x7fff
                                        ; implicit-def: $vgpr24
; %bb.2227:                             ;   in Loop: Header=BB8_2021 Depth=3
	s_and_not1_saveexec_b32 s41, s41
; %bb.2228:                             ;   in Loop: Header=BB8_2021 Depth=3
	v_and_b32_e32 v4, 0xffff, v24
	v_or_b32_e32 v38, 0x10000, v24
	s_delay_alu instid0(VALU_DEP_2) | instskip(NEXT) | instid1(VALU_DEP_2)
	v_cmp_eq_u32_e32 vcc_lo, 0, v4
	v_cndmask_b32_e32 v4, v38, v24, vcc_lo
; %bb.2229:                             ;   in Loop: Header=BB8_2021 Depth=3
	s_or_b32 exec_lo, exec_lo, s41
	v_and_b32_e32 v24, 0xffff0000, v25
	v_and_b32_e32 v25, 0xffff0000, v108
	s_delay_alu instid0(VALU_DEP_1) | instskip(NEXT) | instid1(VALU_DEP_1)
	v_add_f32_e32 v25, v24, v25
	v_and_b32_e32 v24, 0x7f800000, v25
	s_delay_alu instid0(VALU_DEP_1) | instskip(SKIP_1) | instid1(SALU_CYCLE_1)
	v_cmp_ne_u32_e32 vcc_lo, 0x7f800000, v24
                                        ; implicit-def: $vgpr24
	s_and_saveexec_b32 s41, vcc_lo
	s_xor_b32 s41, exec_lo, s41
; %bb.2230:                             ;   in Loop: Header=BB8_2021 Depth=3
	v_bfe_u32 v24, v25, 16, 1
	s_delay_alu instid0(VALU_DEP_1)
	v_add3_u32 v24, v25, v24, 0x7fff
                                        ; implicit-def: $vgpr25
; %bb.2231:                             ;   in Loop: Header=BB8_2021 Depth=3
	s_and_not1_saveexec_b32 s41, s41
; %bb.2232:                             ;   in Loop: Header=BB8_2021 Depth=3
	v_and_b32_e32 v24, 0xffff, v25
	v_or_b32_e32 v38, 0x10000, v25
	s_delay_alu instid0(VALU_DEP_2) | instskip(NEXT) | instid1(VALU_DEP_2)
	v_cmp_eq_u32_e32 vcc_lo, 0, v24
	v_cndmask_b32_e32 v24, v38, v25, vcc_lo
; %bb.2233:                             ;   in Loop: Header=BB8_2021 Depth=3
	s_or_b32 exec_lo, exec_lo, s41
	v_and_b32_e32 v25, 0xffff0000, v98
	v_lshlrev_b32_e32 v38, 16, v26
	s_delay_alu instid0(VALU_DEP_1) | instskip(NEXT) | instid1(VALU_DEP_1)
	v_add_f32_e32 v38, v38, v25
	v_and_b32_e32 v25, 0x7f800000, v38
	s_delay_alu instid0(VALU_DEP_1) | instskip(SKIP_1) | instid1(SALU_CYCLE_1)
	v_cmp_ne_u32_e32 vcc_lo, 0x7f800000, v25
                                        ; implicit-def: $vgpr25
	s_and_saveexec_b32 s41, vcc_lo
	s_xor_b32 s41, exec_lo, s41
; %bb.2234:                             ;   in Loop: Header=BB8_2021 Depth=3
	v_bfe_u32 v25, v38, 16, 1
	s_delay_alu instid0(VALU_DEP_1)
	v_add3_u32 v25, v38, v25, 0x7fff
                                        ; implicit-def: $vgpr38
; %bb.2235:                             ;   in Loop: Header=BB8_2021 Depth=3
	s_and_not1_saveexec_b32 s41, s41
; %bb.2236:                             ;   in Loop: Header=BB8_2021 Depth=3
	v_and_b32_e32 v25, 0xffff, v38
	v_or_b32_e32 v39, 0x10000, v38
	s_delay_alu instid0(VALU_DEP_2) | instskip(NEXT) | instid1(VALU_DEP_2)
	v_cmp_eq_u32_e32 vcc_lo, 0, v25
	v_cndmask_b32_e32 v25, v39, v38, vcc_lo
; %bb.2237:                             ;   in Loop: Header=BB8_2021 Depth=3
	s_or_b32 exec_lo, exec_lo, s41
	v_and_b32_e32 v26, 0xffff0000, v26
	v_and_b32_e32 v38, 0xffff0000, v54
	s_delay_alu instid0(VALU_DEP_1) | instskip(NEXT) | instid1(VALU_DEP_1)
	v_add_f32_e32 v38, v26, v38
	v_and_b32_e32 v26, 0x7f800000, v38
	s_delay_alu instid0(VALU_DEP_1) | instskip(SKIP_1) | instid1(SALU_CYCLE_1)
	v_cmp_ne_u32_e32 vcc_lo, 0x7f800000, v26
                                        ; implicit-def: $vgpr26
	s_and_saveexec_b32 s41, vcc_lo
	s_xor_b32 s41, exec_lo, s41
; %bb.2238:                             ;   in Loop: Header=BB8_2021 Depth=3
	v_bfe_u32 v26, v38, 16, 1
	s_delay_alu instid0(VALU_DEP_1)
	v_add3_u32 v26, v38, v26, 0x7fff
                                        ; implicit-def: $vgpr38
; %bb.2239:                             ;   in Loop: Header=BB8_2021 Depth=3
	s_and_not1_saveexec_b32 s41, s41
; %bb.2240:                             ;   in Loop: Header=BB8_2021 Depth=3
	v_and_b32_e32 v26, 0xffff, v38
	v_or_b32_e32 v39, 0x10000, v38
	s_delay_alu instid0(VALU_DEP_2) | instskip(NEXT) | instid1(VALU_DEP_2)
	v_cmp_eq_u32_e32 vcc_lo, 0, v26
	v_cndmask_b32_e32 v26, v39, v38, vcc_lo
; %bb.2241:                             ;   in Loop: Header=BB8_2021 Depth=3
	s_or_b32 exec_lo, exec_lo, s41
	v_and_b32_e32 v38, 0xffff0000, v55
	v_lshlrev_b32_e32 v39, 16, v27
	s_delay_alu instid0(VALU_DEP_1) | instskip(NEXT) | instid1(VALU_DEP_1)
	v_add_f32_e32 v39, v39, v38
	v_and_b32_e32 v38, 0x7f800000, v39
	s_delay_alu instid0(VALU_DEP_1) | instskip(SKIP_1) | instid1(SALU_CYCLE_1)
	v_cmp_ne_u32_e32 vcc_lo, 0x7f800000, v38
                                        ; implicit-def: $vgpr38
	s_and_saveexec_b32 s41, vcc_lo
	s_xor_b32 s41, exec_lo, s41
; %bb.2242:                             ;   in Loop: Header=BB8_2021 Depth=3
	v_bfe_u32 v38, v39, 16, 1
	s_delay_alu instid0(VALU_DEP_1)
	v_add3_u32 v38, v39, v38, 0x7fff
                                        ; implicit-def: $vgpr39
; %bb.2243:                             ;   in Loop: Header=BB8_2021 Depth=3
	s_and_not1_saveexec_b32 s41, s41
; %bb.2244:                             ;   in Loop: Header=BB8_2021 Depth=3
	v_and_b32_e32 v38, 0xffff, v39
	v_or_b32_e32 v54, 0x10000, v39
	s_delay_alu instid0(VALU_DEP_2) | instskip(NEXT) | instid1(VALU_DEP_2)
	v_cmp_eq_u32_e32 vcc_lo, 0, v38
	v_cndmask_b32_e32 v38, v54, v39, vcc_lo
; %bb.2245:                             ;   in Loop: Header=BB8_2021 Depth=3
	s_or_b32 exec_lo, exec_lo, s41
	v_and_b32_e32 v27, 0xffff0000, v27
	v_and_b32_e32 v39, 0xffff0000, v52
	s_delay_alu instid0(VALU_DEP_1) | instskip(NEXT) | instid1(VALU_DEP_1)
	v_add_f32_e32 v39, v27, v39
	v_and_b32_e32 v27, 0x7f800000, v39
	s_delay_alu instid0(VALU_DEP_1) | instskip(SKIP_1) | instid1(SALU_CYCLE_1)
	v_cmp_ne_u32_e32 vcc_lo, 0x7f800000, v27
                                        ; implicit-def: $vgpr27
	s_and_saveexec_b32 s41, vcc_lo
	s_xor_b32 s41, exec_lo, s41
; %bb.2246:                             ;   in Loop: Header=BB8_2021 Depth=3
	v_bfe_u32 v27, v39, 16, 1
	s_delay_alu instid0(VALU_DEP_1)
	v_add3_u32 v27, v39, v27, 0x7fff
                                        ; implicit-def: $vgpr39
; %bb.2247:                             ;   in Loop: Header=BB8_2021 Depth=3
	s_and_not1_saveexec_b32 s41, s41
; %bb.2248:                             ;   in Loop: Header=BB8_2021 Depth=3
	v_and_b32_e32 v27, 0xffff, v39
	v_or_b32_e32 v52, 0x10000, v39
	s_delay_alu instid0(VALU_DEP_2) | instskip(NEXT) | instid1(VALU_DEP_2)
	v_cmp_eq_u32_e32 vcc_lo, 0, v27
	v_cndmask_b32_e32 v27, v52, v39, vcc_lo
; %bb.2249:                             ;   in Loop: Header=BB8_2021 Depth=3
	s_or_b32 exec_lo, exec_lo, s41
	v_and_b32_e32 v39, 0xffff0000, v53
	s_wait_loadcnt 0x0
	v_lshlrev_b32_e32 v52, 16, v20
	s_delay_alu instid0(VALU_DEP_1) | instskip(NEXT) | instid1(VALU_DEP_1)
	v_add_f32_e32 v52, v52, v39
	v_and_b32_e32 v39, 0x7f800000, v52
	s_delay_alu instid0(VALU_DEP_1) | instskip(SKIP_1) | instid1(SALU_CYCLE_1)
	v_cmp_ne_u32_e32 vcc_lo, 0x7f800000, v39
                                        ; implicit-def: $vgpr39
	s_and_saveexec_b32 s41, vcc_lo
	s_xor_b32 s41, exec_lo, s41
; %bb.2250:                             ;   in Loop: Header=BB8_2021 Depth=3
	v_bfe_u32 v39, v52, 16, 1
	s_delay_alu instid0(VALU_DEP_1)
	v_add3_u32 v39, v52, v39, 0x7fff
                                        ; implicit-def: $vgpr52
; %bb.2251:                             ;   in Loop: Header=BB8_2021 Depth=3
	s_and_not1_saveexec_b32 s41, s41
; %bb.2252:                             ;   in Loop: Header=BB8_2021 Depth=3
	v_and_b32_e32 v39, 0xffff, v52
	v_or_b32_e32 v53, 0x10000, v52
	s_delay_alu instid0(VALU_DEP_2) | instskip(NEXT) | instid1(VALU_DEP_2)
	v_cmp_eq_u32_e32 vcc_lo, 0, v39
	v_cndmask_b32_e32 v39, v53, v52, vcc_lo
; %bb.2253:                             ;   in Loop: Header=BB8_2021 Depth=3
	s_or_b32 exec_lo, exec_lo, s41
	v_and_b32_e32 v20, 0xffff0000, v20
	v_and_b32_e32 v50, 0xffff0000, v50
	s_delay_alu instid0(VALU_DEP_1) | instskip(NEXT) | instid1(VALU_DEP_1)
	v_add_f32_e32 v50, v20, v50
	v_and_b32_e32 v20, 0x7f800000, v50
	s_delay_alu instid0(VALU_DEP_1) | instskip(SKIP_1) | instid1(SALU_CYCLE_1)
	v_cmp_ne_u32_e32 vcc_lo, 0x7f800000, v20
                                        ; implicit-def: $vgpr20
	s_and_saveexec_b32 s41, vcc_lo
	s_xor_b32 s41, exec_lo, s41
; %bb.2254:                             ;   in Loop: Header=BB8_2021 Depth=3
	v_bfe_u32 v20, v50, 16, 1
	s_delay_alu instid0(VALU_DEP_1)
	v_add3_u32 v20, v50, v20, 0x7fff
                                        ; implicit-def: $vgpr50
; %bb.2255:                             ;   in Loop: Header=BB8_2021 Depth=3
	s_and_not1_saveexec_b32 s41, s41
; %bb.2256:                             ;   in Loop: Header=BB8_2021 Depth=3
	v_and_b32_e32 v20, 0xffff, v50
	v_or_b32_e32 v52, 0x10000, v50
	s_delay_alu instid0(VALU_DEP_2) | instskip(NEXT) | instid1(VALU_DEP_2)
	v_cmp_eq_u32_e32 vcc_lo, 0, v20
	v_cndmask_b32_e32 v20, v52, v50, vcc_lo
; %bb.2257:                             ;   in Loop: Header=BB8_2021 Depth=3
	s_or_b32 exec_lo, exec_lo, s41
	v_and_b32_e32 v50, 0xffff0000, v51
	v_lshlrev_b32_e32 v51, 16, v21
	s_delay_alu instid0(VALU_DEP_1) | instskip(NEXT) | instid1(VALU_DEP_1)
	v_add_f32_e32 v51, v51, v50
	v_and_b32_e32 v50, 0x7f800000, v51
	s_delay_alu instid0(VALU_DEP_1) | instskip(SKIP_1) | instid1(SALU_CYCLE_1)
	v_cmp_ne_u32_e32 vcc_lo, 0x7f800000, v50
                                        ; implicit-def: $vgpr50
	s_and_saveexec_b32 s41, vcc_lo
	s_xor_b32 s41, exec_lo, s41
; %bb.2258:                             ;   in Loop: Header=BB8_2021 Depth=3
	v_bfe_u32 v50, v51, 16, 1
	s_delay_alu instid0(VALU_DEP_1)
	v_add3_u32 v50, v51, v50, 0x7fff
                                        ; implicit-def: $vgpr51
; %bb.2259:                             ;   in Loop: Header=BB8_2021 Depth=3
	s_and_not1_saveexec_b32 s41, s41
; %bb.2260:                             ;   in Loop: Header=BB8_2021 Depth=3
	v_and_b32_e32 v50, 0xffff, v51
	v_or_b32_e32 v52, 0x10000, v51
	s_delay_alu instid0(VALU_DEP_2) | instskip(NEXT) | instid1(VALU_DEP_2)
	v_cmp_eq_u32_e32 vcc_lo, 0, v50
	v_cndmask_b32_e32 v50, v52, v51, vcc_lo
; %bb.2261:                             ;   in Loop: Header=BB8_2021 Depth=3
	s_or_b32 exec_lo, exec_lo, s41
	v_and_b32_e32 v21, 0xffff0000, v21
	v_and_b32_e32 v48, 0xffff0000, v48
	s_delay_alu instid0(VALU_DEP_1) | instskip(NEXT) | instid1(VALU_DEP_1)
	v_add_f32_e32 v48, v21, v48
	v_and_b32_e32 v21, 0x7f800000, v48
	s_delay_alu instid0(VALU_DEP_1) | instskip(SKIP_1) | instid1(SALU_CYCLE_1)
	v_cmp_ne_u32_e32 vcc_lo, 0x7f800000, v21
                                        ; implicit-def: $vgpr21
	s_and_saveexec_b32 s41, vcc_lo
	s_xor_b32 s41, exec_lo, s41
; %bb.2262:                             ;   in Loop: Header=BB8_2021 Depth=3
	v_bfe_u32 v21, v48, 16, 1
	s_delay_alu instid0(VALU_DEP_1)
	v_add3_u32 v21, v48, v21, 0x7fff
                                        ; implicit-def: $vgpr48
; %bb.2263:                             ;   in Loop: Header=BB8_2021 Depth=3
	s_and_not1_saveexec_b32 s41, s41
; %bb.2264:                             ;   in Loop: Header=BB8_2021 Depth=3
	v_and_b32_e32 v21, 0xffff, v48
	v_or_b32_e32 v51, 0x10000, v48
	s_delay_alu instid0(VALU_DEP_2) | instskip(NEXT) | instid1(VALU_DEP_2)
	v_cmp_eq_u32_e32 vcc_lo, 0, v21
	v_cndmask_b32_e32 v21, v51, v48, vcc_lo
; %bb.2265:                             ;   in Loop: Header=BB8_2021 Depth=3
	s_or_b32 exec_lo, exec_lo, s41
	v_and_b32_e32 v48, 0xffff0000, v49
	v_lshlrev_b32_e32 v49, 16, v22
	s_delay_alu instid0(VALU_DEP_1) | instskip(NEXT) | instid1(VALU_DEP_1)
	v_add_f32_e32 v49, v49, v48
	v_and_b32_e32 v48, 0x7f800000, v49
	s_delay_alu instid0(VALU_DEP_1) | instskip(SKIP_1) | instid1(SALU_CYCLE_1)
	v_cmp_ne_u32_e32 vcc_lo, 0x7f800000, v48
                                        ; implicit-def: $vgpr48
	s_and_saveexec_b32 s41, vcc_lo
	s_xor_b32 s41, exec_lo, s41
; %bb.2266:                             ;   in Loop: Header=BB8_2021 Depth=3
	v_bfe_u32 v48, v49, 16, 1
	s_delay_alu instid0(VALU_DEP_1)
	v_add3_u32 v48, v49, v48, 0x7fff
                                        ; implicit-def: $vgpr49
; %bb.2267:                             ;   in Loop: Header=BB8_2021 Depth=3
	s_and_not1_saveexec_b32 s41, s41
; %bb.2268:                             ;   in Loop: Header=BB8_2021 Depth=3
	v_and_b32_e32 v48, 0xffff, v49
	v_or_b32_e32 v51, 0x10000, v49
	s_delay_alu instid0(VALU_DEP_2) | instskip(NEXT) | instid1(VALU_DEP_2)
	v_cmp_eq_u32_e32 vcc_lo, 0, v48
	v_cndmask_b32_e32 v48, v51, v49, vcc_lo
; %bb.2269:                             ;   in Loop: Header=BB8_2021 Depth=3
	s_or_b32 exec_lo, exec_lo, s41
	v_and_b32_e32 v22, 0xffff0000, v22
	v_and_b32_e32 v36, 0xffff0000, v36
	s_delay_alu instid0(VALU_DEP_1) | instskip(NEXT) | instid1(VALU_DEP_1)
	v_add_f32_e32 v36, v22, v36
	v_and_b32_e32 v22, 0x7f800000, v36
	s_delay_alu instid0(VALU_DEP_1) | instskip(SKIP_1) | instid1(SALU_CYCLE_1)
	v_cmp_ne_u32_e32 vcc_lo, 0x7f800000, v22
                                        ; implicit-def: $vgpr22
	s_and_saveexec_b32 s41, vcc_lo
	s_xor_b32 s41, exec_lo, s41
; %bb.2270:                             ;   in Loop: Header=BB8_2021 Depth=3
	v_bfe_u32 v22, v36, 16, 1
	s_delay_alu instid0(VALU_DEP_1)
	v_add3_u32 v22, v36, v22, 0x7fff
                                        ; implicit-def: $vgpr36
; %bb.2271:                             ;   in Loop: Header=BB8_2021 Depth=3
	s_and_not1_saveexec_b32 s41, s41
; %bb.2272:                             ;   in Loop: Header=BB8_2021 Depth=3
	v_and_b32_e32 v22, 0xffff, v36
	v_or_b32_e32 v49, 0x10000, v36
	s_delay_alu instid0(VALU_DEP_2) | instskip(NEXT) | instid1(VALU_DEP_2)
	v_cmp_eq_u32_e32 vcc_lo, 0, v22
	v_cndmask_b32_e32 v22, v49, v36, vcc_lo
; %bb.2273:                             ;   in Loop: Header=BB8_2021 Depth=3
	s_or_b32 exec_lo, exec_lo, s41
	v_and_b32_e32 v36, 0xffff0000, v37
	v_lshlrev_b32_e32 v37, 16, v23
	s_delay_alu instid0(VALU_DEP_1) | instskip(NEXT) | instid1(VALU_DEP_1)
	v_add_f32_e32 v37, v37, v36
	v_and_b32_e32 v36, 0x7f800000, v37
	s_delay_alu instid0(VALU_DEP_1) | instskip(SKIP_1) | instid1(SALU_CYCLE_1)
	v_cmp_ne_u32_e32 vcc_lo, 0x7f800000, v36
                                        ; implicit-def: $vgpr36
	s_and_saveexec_b32 s41, vcc_lo
	s_xor_b32 s41, exec_lo, s41
; %bb.2274:                             ;   in Loop: Header=BB8_2021 Depth=3
	v_bfe_u32 v36, v37, 16, 1
	s_delay_alu instid0(VALU_DEP_1)
	v_add3_u32 v36, v37, v36, 0x7fff
                                        ; implicit-def: $vgpr37
; %bb.2275:                             ;   in Loop: Header=BB8_2021 Depth=3
	s_and_not1_saveexec_b32 s41, s41
; %bb.2276:                             ;   in Loop: Header=BB8_2021 Depth=3
	v_and_b32_e32 v36, 0xffff, v37
	v_or_b32_e32 v49, 0x10000, v37
	s_delay_alu instid0(VALU_DEP_2) | instskip(NEXT) | instid1(VALU_DEP_2)
	v_cmp_eq_u32_e32 vcc_lo, 0, v36
	v_cndmask_b32_e32 v36, v49, v37, vcc_lo
; %bb.2277:                             ;   in Loop: Header=BB8_2021 Depth=3
	s_or_b32 exec_lo, exec_lo, s41
	v_and_b32_e32 v23, 0xffff0000, v23
	v_and_b32_e32 v29, 0xffff0000, v29
	s_delay_alu instid0(VALU_DEP_1) | instskip(NEXT) | instid1(VALU_DEP_1)
	v_add_f32_e32 v29, v23, v29
	v_and_b32_e32 v23, 0x7f800000, v29
	s_delay_alu instid0(VALU_DEP_1) | instskip(SKIP_1) | instid1(SALU_CYCLE_1)
	v_cmp_ne_u32_e32 vcc_lo, 0x7f800000, v23
                                        ; implicit-def: $vgpr23
	s_and_saveexec_b32 s41, vcc_lo
	s_xor_b32 s41, exec_lo, s41
; %bb.2278:                             ;   in Loop: Header=BB8_2021 Depth=3
	v_bfe_u32 v23, v29, 16, 1
	s_delay_alu instid0(VALU_DEP_1)
	v_add3_u32 v23, v29, v23, 0x7fff
                                        ; implicit-def: $vgpr29
; %bb.2279:                             ;   in Loop: Header=BB8_2021 Depth=3
	s_and_not1_saveexec_b32 s41, s41
; %bb.2280:                             ;   in Loop: Header=BB8_2021 Depth=3
	v_and_b32_e32 v23, 0xffff, v29
	v_or_b32_e32 v37, 0x10000, v29
	s_delay_alu instid0(VALU_DEP_2) | instskip(NEXT) | instid1(VALU_DEP_2)
	v_cmp_eq_u32_e32 vcc_lo, 0, v23
	v_cndmask_b32_e32 v23, v37, v29, vcc_lo
; %bb.2281:                             ;   in Loop: Header=BB8_2021 Depth=3
	s_or_b32 exec_lo, exec_lo, s41
	v_dual_lshrrev_b32 v4, 16, v4 :: v_dual_lshrrev_b32 v29, 16, v25
	v_lshrrev_b32_e32 v28, 16, v28
	v_lshrrev_b32_e32 v36, 16, v36
	s_delay_alu instid0(VALU_DEP_3) | instskip(SKIP_1) | instid1(VALU_DEP_4)
	v_and_or_b32 v25, 0xffff0000, v24, v4
	v_lshrrev_b32_e32 v4, 16, v38
	v_and_or_b32 v24, 0xffff0000, v5, v28
	v_and_or_b32 v26, 0xffff0000, v26, v29
	v_dual_lshrrev_b32 v5, 16, v50 :: v_dual_lshrrev_b32 v28, 16, v39
	v_lshrrev_b32_e32 v29, 16, v48
	v_and_or_b32 v27, 0xffff0000, v27, v4
	v_and_or_b32 v23, 0xffff0000, v23, v36
	s_delay_alu instid0(VALU_DEP_4)
	v_and_or_b32 v21, 0xffff0000, v21, v5
	v_and_or_b32 v20, 0xffff0000, v20, v28
	;; [unrolled: 1-line block ×3, first 2 shown]
	s_clause 0x1
	global_store_b128 v[94:95], v[24:27], off th:TH_STORE_NT
	global_store_b128 v[94:95], v[20:23], off offset:512 th:TH_STORE_NT
	s_wait_xcnt 0x0
	v_add_nc_u64_e32 v[94:95], 0x400, v[94:95]
	s_clause 0x1
	global_store_b128 v[92:93], v[24:27], off th:TH_STORE_NT
	global_store_b128 v[92:93], v[20:23], off offset:512 th:TH_STORE_NT
	s_wait_xcnt 0x0
	v_add_nc_u64_e32 v[92:93], 0x400, v[92:93]
	s_and_saveexec_b32 s41, s40
	s_cbranch_execz .LBB8_2020
; %bb.2282:                             ;   in Loop: Header=BB8_2021 Depth=3
	v_add_nc_u64_e32 v[94:95], v[94:95], v[114:115]
	s_delay_alu instid0(VALU_DEP_2)
	v_add_nc_u64_e32 v[92:93], v[92:93], v[114:115]
	v_add_nc_u64_e32 v[104:105], v[104:105], v[114:115]
	;; [unrolled: 1-line block ×3, first 2 shown]
	v_sub_nc_u32_e32 v75, v75, v84
	s_branch .LBB8_2020
.LBB8_2283:                             ;   in Loop: Header=BB8_1943 Depth=2
	s_mov_b32 s13, 0
	s_and_saveexec_b32 s14, s2
	s_cbranch_execnz .LBB8_3739
	s_branch .LBB8_3757
.LBB8_2284:                             ;   in Loop: Header=BB8_1943 Depth=2
	s_mov_b32 s76, 0
	v_mov_b32_e32 v21, 0
	s_and_not1_b32 vcc_lo, exec_lo, s13
	s_cbranch_vccz .LBB8_2018
.LBB8_2285:                             ;   in Loop: Header=BB8_1943 Depth=2
	v_dual_mov_b32 v20, v73 :: v_dual_mov_b32 v4, v0
	v_mov_b32_e32 v23, v109
	s_and_saveexec_b32 s15, s76
	s_cbranch_execnz .LBB8_2634
	s_branch .LBB8_2882
.LBB8_2286:                             ;   in Loop: Header=BB8_1943 Depth=2
	s_or_b32 exec_lo, exec_lo, s14
	s_delay_alu instid0(SALU_CYCLE_1)
	s_and_b32 s14, s15, exec_lo
.LBB8_2287:                             ;   in Loop: Header=BB8_1943 Depth=2
	s_or_b32 exec_lo, exec_lo, s13
	s_and_saveexec_b32 s13, s14
	s_cbranch_execz .LBB8_2417
; %bb.2288:                             ;   in Loop: Header=BB8_1943 Depth=2
	s_trap 2
	ds_load_b32 v4, v0
	s_mov_b32 s14, exec_lo
                                        ; implicit-def: $vgpr36
	s_wait_dscnt 0x0
	v_lshlrev_b32_e32 v21, 16, v4
	s_delay_alu instid0(VALU_DEP_1) | instskip(NEXT) | instid1(VALU_DEP_1)
	v_dual_lshlrev_b32 v20, 16, v32 :: v_dual_mov_b32 v4, v21
	v_pk_mul_f32 v[22:23], v[4:5], v[20:21]
	s_delay_alu instid0(VALU_DEP_1) | instskip(NEXT) | instid1(VALU_DEP_1)
	v_and_b32_e32 v4, 0x7f800000, v22
	v_cmpx_ne_u32_e32 0x7f800000, v4
	s_xor_b32 s14, exec_lo, s14
; %bb.2289:                             ;   in Loop: Header=BB8_1943 Depth=2
	v_bfe_u32 v4, v22, 16, 1
	s_delay_alu instid0(VALU_DEP_1)
	v_add3_u32 v36, v22, v4, 0x7fff
                                        ; implicit-def: $vgpr22_vgpr23
; %bb.2290:                             ;   in Loop: Header=BB8_1943 Depth=2
	s_and_not1_saveexec_b32 s14, s14
; %bb.2291:                             ;   in Loop: Header=BB8_1943 Depth=2
	v_and_b32_e32 v4, 0xffff, v22
	v_or_b32_e32 v5, 0x10000, v22
	s_delay_alu instid0(VALU_DEP_2) | instskip(NEXT) | instid1(VALU_DEP_2)
	v_cmp_eq_u32_e32 vcc_lo, 0, v4
	v_cndmask_b32_e32 v36, v5, v22, vcc_lo
; %bb.2292:                             ;   in Loop: Header=BB8_1943 Depth=2
	s_or_b32 exec_lo, exec_lo, s14
	v_and_b32_e32 v4, 0xffff0000, v32
	s_delay_alu instid0(VALU_DEP_1) | instskip(NEXT) | instid1(VALU_DEP_1)
	v_mul_f32_e32 v5, v21, v4
	v_and_b32_e32 v4, 0x7f800000, v5
	s_delay_alu instid0(VALU_DEP_1) | instskip(SKIP_1) | instid1(SALU_CYCLE_1)
	v_cmp_ne_u32_e32 vcc_lo, 0x7f800000, v4
                                        ; implicit-def: $vgpr4
	s_and_saveexec_b32 s14, vcc_lo
	s_xor_b32 s14, exec_lo, s14
; %bb.2293:                             ;   in Loop: Header=BB8_1943 Depth=2
	v_bfe_u32 v4, v5, 16, 1
	s_delay_alu instid0(VALU_DEP_1)
	v_add3_u32 v4, v5, v4, 0x7fff
                                        ; implicit-def: $vgpr5
; %bb.2294:                             ;   in Loop: Header=BB8_1943 Depth=2
	s_and_not1_saveexec_b32 s14, s14
; %bb.2295:                             ;   in Loop: Header=BB8_1943 Depth=2
	v_and_b32_e32 v4, 0xffff, v5
	v_or_b32_e32 v20, 0x10000, v5
	s_delay_alu instid0(VALU_DEP_2) | instskip(NEXT) | instid1(VALU_DEP_2)
	v_cmp_eq_u32_e32 vcc_lo, 0, v4
	v_cndmask_b32_e32 v4, v20, v5, vcc_lo
; %bb.2296:                             ;   in Loop: Header=BB8_1943 Depth=2
	s_or_b32 exec_lo, exec_lo, s14
	v_lshlrev_b32_e32 v5, 16, v33
	s_delay_alu instid0(VALU_DEP_1) | instskip(NEXT) | instid1(VALU_DEP_1)
	v_mul_f32_e32 v20, v21, v5
	v_and_b32_e32 v5, 0x7f800000, v20
	s_delay_alu instid0(VALU_DEP_1) | instskip(SKIP_1) | instid1(SALU_CYCLE_1)
	v_cmp_ne_u32_e32 vcc_lo, 0x7f800000, v5
                                        ; implicit-def: $vgpr5
	s_and_saveexec_b32 s14, vcc_lo
	s_xor_b32 s14, exec_lo, s14
; %bb.2297:                             ;   in Loop: Header=BB8_1943 Depth=2
	v_bfe_u32 v5, v20, 16, 1
	s_delay_alu instid0(VALU_DEP_1)
	v_add3_u32 v5, v20, v5, 0x7fff
                                        ; implicit-def: $vgpr20
; %bb.2298:                             ;   in Loop: Header=BB8_1943 Depth=2
	s_and_not1_saveexec_b32 s14, s14
; %bb.2299:                             ;   in Loop: Header=BB8_1943 Depth=2
	v_and_b32_e32 v5, 0xffff, v20
	v_or_b32_e32 v22, 0x10000, v20
	s_delay_alu instid0(VALU_DEP_2) | instskip(NEXT) | instid1(VALU_DEP_2)
	v_cmp_eq_u32_e32 vcc_lo, 0, v5
	v_cndmask_b32_e32 v5, v22, v20, vcc_lo
; %bb.2300:                             ;   in Loop: Header=BB8_1943 Depth=2
	s_or_b32 exec_lo, exec_lo, s14
	v_and_b32_e32 v20, 0xffff0000, v33
	s_mov_b32 s14, exec_lo
                                        ; implicit-def: $vgpr32
	s_delay_alu instid0(VALU_DEP_1) | instskip(NEXT) | instid1(VALU_DEP_1)
	v_mul_f32_e32 v20, v21, v20
	v_and_b32_e32 v22, 0x7f800000, v20
	s_delay_alu instid0(VALU_DEP_1)
	v_cmpx_ne_u32_e32 0x7f800000, v22
	s_xor_b32 s14, exec_lo, s14
; %bb.2301:                             ;   in Loop: Header=BB8_1943 Depth=2
	v_bfe_u32 v22, v20, 16, 1
	s_delay_alu instid0(VALU_DEP_1)
	v_add3_u32 v32, v20, v22, 0x7fff
                                        ; implicit-def: $vgpr20
; %bb.2302:                             ;   in Loop: Header=BB8_1943 Depth=2
	s_and_not1_saveexec_b32 s14, s14
; %bb.2303:                             ;   in Loop: Header=BB8_1943 Depth=2
	v_and_b32_e32 v22, 0xffff, v20
	v_or_b32_e32 v23, 0x10000, v20
	s_delay_alu instid0(VALU_DEP_2) | instskip(NEXT) | instid1(VALU_DEP_2)
	v_cmp_eq_u32_e32 vcc_lo, 0, v22
	v_cndmask_b32_e32 v32, v23, v20, vcc_lo
; %bb.2304:                             ;   in Loop: Header=BB8_1943 Depth=2
	s_or_b32 exec_lo, exec_lo, s14
	v_lshlrev_b32_e32 v20, 16, v34
	s_mov_b32 s14, exec_lo
                                        ; implicit-def: $vgpr33
	s_delay_alu instid0(VALU_DEP_1) | instskip(NEXT) | instid1(VALU_DEP_1)
	v_mul_f32_e32 v20, v21, v20
	v_and_b32_e32 v22, 0x7f800000, v20
	s_delay_alu instid0(VALU_DEP_1)
	v_cmpx_ne_u32_e32 0x7f800000, v22
	s_xor_b32 s14, exec_lo, s14
; %bb.2305:                             ;   in Loop: Header=BB8_1943 Depth=2
	v_bfe_u32 v22, v20, 16, 1
	s_delay_alu instid0(VALU_DEP_1)
	v_add3_u32 v33, v20, v22, 0x7fff
                                        ; implicit-def: $vgpr20
; %bb.2306:                             ;   in Loop: Header=BB8_1943 Depth=2
	s_and_not1_saveexec_b32 s14, s14
; %bb.2307:                             ;   in Loop: Header=BB8_1943 Depth=2
	v_and_b32_e32 v22, 0xffff, v20
	v_or_b32_e32 v23, 0x10000, v20
	s_delay_alu instid0(VALU_DEP_2) | instskip(NEXT) | instid1(VALU_DEP_2)
	v_cmp_eq_u32_e32 vcc_lo, 0, v22
	v_cndmask_b32_e32 v33, v23, v20, vcc_lo
; %bb.2308:                             ;   in Loop: Header=BB8_1943 Depth=2
	s_or_b32 exec_lo, exec_lo, s14
	v_and_b32_e32 v20, 0xffff0000, v34
	s_mov_b32 s14, exec_lo
                                        ; implicit-def: $vgpr28
	s_delay_alu instid0(VALU_DEP_1) | instskip(NEXT) | instid1(VALU_DEP_1)
	v_mul_f32_e32 v20, v21, v20
	v_and_b32_e32 v22, 0x7f800000, v20
	s_delay_alu instid0(VALU_DEP_1)
	v_cmpx_ne_u32_e32 0x7f800000, v22
	s_xor_b32 s14, exec_lo, s14
; %bb.2309:                             ;   in Loop: Header=BB8_1943 Depth=2
	v_bfe_u32 v22, v20, 16, 1
	s_delay_alu instid0(VALU_DEP_1)
	v_add3_u32 v28, v20, v22, 0x7fff
                                        ; implicit-def: $vgpr20
; %bb.2310:                             ;   in Loop: Header=BB8_1943 Depth=2
	s_and_not1_saveexec_b32 s14, s14
; %bb.2311:                             ;   in Loop: Header=BB8_1943 Depth=2
	v_and_b32_e32 v22, 0xffff, v20
	v_or_b32_e32 v23, 0x10000, v20
	s_delay_alu instid0(VALU_DEP_2) | instskip(NEXT) | instid1(VALU_DEP_2)
	v_cmp_eq_u32_e32 vcc_lo, 0, v22
	v_cndmask_b32_e32 v28, v23, v20, vcc_lo
; %bb.2312:                             ;   in Loop: Header=BB8_1943 Depth=2
	s_or_b32 exec_lo, exec_lo, s14
	v_lshlrev_b32_e32 v20, 16, v35
	s_mov_b32 s14, exec_lo
                                        ; implicit-def: $vgpr29
	s_delay_alu instid0(VALU_DEP_1) | instskip(NEXT) | instid1(VALU_DEP_1)
	v_mul_f32_e32 v20, v21, v20
	v_and_b32_e32 v22, 0x7f800000, v20
	s_delay_alu instid0(VALU_DEP_1)
	v_cmpx_ne_u32_e32 0x7f800000, v22
	s_xor_b32 s14, exec_lo, s14
; %bb.2313:                             ;   in Loop: Header=BB8_1943 Depth=2
	v_bfe_u32 v22, v20, 16, 1
	s_delay_alu instid0(VALU_DEP_1)
	v_add3_u32 v29, v20, v22, 0x7fff
                                        ; implicit-def: $vgpr20
; %bb.2314:                             ;   in Loop: Header=BB8_1943 Depth=2
	s_and_not1_saveexec_b32 s14, s14
; %bb.2315:                             ;   in Loop: Header=BB8_1943 Depth=2
	v_and_b32_e32 v22, 0xffff, v20
	v_or_b32_e32 v23, 0x10000, v20
	s_delay_alu instid0(VALU_DEP_2) | instskip(NEXT) | instid1(VALU_DEP_2)
	v_cmp_eq_u32_e32 vcc_lo, 0, v22
	v_cndmask_b32_e32 v29, v23, v20, vcc_lo
; %bb.2316:                             ;   in Loop: Header=BB8_1943 Depth=2
	s_or_b32 exec_lo, exec_lo, s14
	v_and_b32_e32 v20, 0xffff0000, v35
	s_mov_b32 s14, exec_lo
                                        ; implicit-def: $vgpr26
	s_delay_alu instid0(VALU_DEP_1) | instskip(NEXT) | instid1(VALU_DEP_1)
	v_mul_f32_e32 v20, v21, v20
	v_and_b32_e32 v22, 0x7f800000, v20
	s_delay_alu instid0(VALU_DEP_1)
	v_cmpx_ne_u32_e32 0x7f800000, v22
	s_xor_b32 s14, exec_lo, s14
; %bb.2317:                             ;   in Loop: Header=BB8_1943 Depth=2
	v_bfe_u32 v22, v20, 16, 1
	s_delay_alu instid0(VALU_DEP_1)
	v_add3_u32 v26, v20, v22, 0x7fff
                                        ; implicit-def: $vgpr20
; %bb.2318:                             ;   in Loop: Header=BB8_1943 Depth=2
	s_and_not1_saveexec_b32 s14, s14
; %bb.2319:                             ;   in Loop: Header=BB8_1943 Depth=2
	v_and_b32_e32 v22, 0xffff, v20
	v_or_b32_e32 v23, 0x10000, v20
	s_delay_alu instid0(VALU_DEP_2) | instskip(NEXT) | instid1(VALU_DEP_2)
	v_cmp_eq_u32_e32 vcc_lo, 0, v22
	v_cndmask_b32_e32 v26, v23, v20, vcc_lo
; %bb.2320:                             ;   in Loop: Header=BB8_1943 Depth=2
	s_or_b32 exec_lo, exec_lo, s14
	v_lshlrev_b32_e32 v20, 16, v16
	s_mov_b32 s14, exec_lo
                                        ; implicit-def: $vgpr27
	s_delay_alu instid0(VALU_DEP_1) | instskip(NEXT) | instid1(VALU_DEP_1)
	v_mul_f32_e32 v20, v21, v20
	v_and_b32_e32 v22, 0x7f800000, v20
	s_delay_alu instid0(VALU_DEP_1)
	v_cmpx_ne_u32_e32 0x7f800000, v22
	s_xor_b32 s14, exec_lo, s14
; %bb.2321:                             ;   in Loop: Header=BB8_1943 Depth=2
	v_bfe_u32 v22, v20, 16, 1
	s_delay_alu instid0(VALU_DEP_1)
	v_add3_u32 v27, v20, v22, 0x7fff
                                        ; implicit-def: $vgpr20
; %bb.2322:                             ;   in Loop: Header=BB8_1943 Depth=2
	s_and_not1_saveexec_b32 s14, s14
; %bb.2323:                             ;   in Loop: Header=BB8_1943 Depth=2
	v_and_b32_e32 v22, 0xffff, v20
	v_or_b32_e32 v23, 0x10000, v20
	s_delay_alu instid0(VALU_DEP_2) | instskip(NEXT) | instid1(VALU_DEP_2)
	v_cmp_eq_u32_e32 vcc_lo, 0, v22
	v_cndmask_b32_e32 v27, v23, v20, vcc_lo
; %bb.2324:                             ;   in Loop: Header=BB8_1943 Depth=2
	s_or_b32 exec_lo, exec_lo, s14
	v_and_b32_e32 v16, 0xffff0000, v16
	s_mov_b32 s14, exec_lo
                                        ; implicit-def: $vgpr24
	s_delay_alu instid0(VALU_DEP_1) | instskip(NEXT) | instid1(VALU_DEP_1)
	v_mul_f32_e32 v16, v21, v16
	v_and_b32_e32 v20, 0x7f800000, v16
	s_delay_alu instid0(VALU_DEP_1)
	v_cmpx_ne_u32_e32 0x7f800000, v20
	s_xor_b32 s14, exec_lo, s14
; %bb.2325:                             ;   in Loop: Header=BB8_1943 Depth=2
	v_bfe_u32 v20, v16, 16, 1
	s_delay_alu instid0(VALU_DEP_1)
	v_add3_u32 v24, v16, v20, 0x7fff
                                        ; implicit-def: $vgpr16
; %bb.2326:                             ;   in Loop: Header=BB8_1943 Depth=2
	s_and_not1_saveexec_b32 s14, s14
; %bb.2327:                             ;   in Loop: Header=BB8_1943 Depth=2
	v_and_b32_e32 v20, 0xffff, v16
	v_or_b32_e32 v22, 0x10000, v16
	s_delay_alu instid0(VALU_DEP_2) | instskip(NEXT) | instid1(VALU_DEP_2)
	v_cmp_eq_u32_e32 vcc_lo, 0, v20
	v_cndmask_b32_e32 v24, v22, v16, vcc_lo
; %bb.2328:                             ;   in Loop: Header=BB8_1943 Depth=2
	s_or_b32 exec_lo, exec_lo, s14
	v_lshlrev_b32_e32 v16, 16, v17
	s_mov_b32 s14, exec_lo
                                        ; implicit-def: $vgpr25
	s_delay_alu instid0(VALU_DEP_1) | instskip(NEXT) | instid1(VALU_DEP_1)
	v_mul_f32_e32 v16, v21, v16
	v_and_b32_e32 v20, 0x7f800000, v16
	s_delay_alu instid0(VALU_DEP_1)
	v_cmpx_ne_u32_e32 0x7f800000, v20
	s_xor_b32 s14, exec_lo, s14
; %bb.2329:                             ;   in Loop: Header=BB8_1943 Depth=2
	v_bfe_u32 v20, v16, 16, 1
	s_delay_alu instid0(VALU_DEP_1)
	v_add3_u32 v25, v16, v20, 0x7fff
                                        ; implicit-def: $vgpr16
; %bb.2330:                             ;   in Loop: Header=BB8_1943 Depth=2
	s_and_not1_saveexec_b32 s14, s14
; %bb.2331:                             ;   in Loop: Header=BB8_1943 Depth=2
	v_and_b32_e32 v20, 0xffff, v16
	v_or_b32_e32 v22, 0x10000, v16
	s_delay_alu instid0(VALU_DEP_2) | instskip(NEXT) | instid1(VALU_DEP_2)
	v_cmp_eq_u32_e32 vcc_lo, 0, v20
	v_cndmask_b32_e32 v25, v22, v16, vcc_lo
; %bb.2332:                             ;   in Loop: Header=BB8_1943 Depth=2
	s_or_b32 exec_lo, exec_lo, s14
	v_and_b32_e32 v16, 0xffff0000, v17
	s_mov_b32 s14, exec_lo
                                        ; implicit-def: $vgpr22
	s_delay_alu instid0(VALU_DEP_1) | instskip(NEXT) | instid1(VALU_DEP_1)
	v_mul_f32_e32 v16, v21, v16
	v_and_b32_e32 v17, 0x7f800000, v16
	s_delay_alu instid0(VALU_DEP_1)
	v_cmpx_ne_u32_e32 0x7f800000, v17
	s_xor_b32 s14, exec_lo, s14
; %bb.2333:                             ;   in Loop: Header=BB8_1943 Depth=2
	v_bfe_u32 v17, v16, 16, 1
	s_delay_alu instid0(VALU_DEP_1)
	v_add3_u32 v22, v16, v17, 0x7fff
                                        ; implicit-def: $vgpr16
; %bb.2334:                             ;   in Loop: Header=BB8_1943 Depth=2
	s_and_not1_saveexec_b32 s14, s14
; %bb.2335:                             ;   in Loop: Header=BB8_1943 Depth=2
	v_and_b32_e32 v17, 0xffff, v16
	v_or_b32_e32 v20, 0x10000, v16
	s_delay_alu instid0(VALU_DEP_2) | instskip(NEXT) | instid1(VALU_DEP_2)
	v_cmp_eq_u32_e32 vcc_lo, 0, v17
	v_cndmask_b32_e32 v22, v20, v16, vcc_lo
; %bb.2336:                             ;   in Loop: Header=BB8_1943 Depth=2
	s_or_b32 exec_lo, exec_lo, s14
	v_lshlrev_b32_e32 v16, 16, v18
	s_mov_b32 s14, exec_lo
                                        ; implicit-def: $vgpr23
	s_delay_alu instid0(VALU_DEP_1) | instskip(NEXT) | instid1(VALU_DEP_1)
	v_mul_f32_e32 v16, v21, v16
	v_and_b32_e32 v17, 0x7f800000, v16
	s_delay_alu instid0(VALU_DEP_1)
	v_cmpx_ne_u32_e32 0x7f800000, v17
	s_xor_b32 s14, exec_lo, s14
; %bb.2337:                             ;   in Loop: Header=BB8_1943 Depth=2
	v_bfe_u32 v17, v16, 16, 1
	s_delay_alu instid0(VALU_DEP_1)
	v_add3_u32 v23, v16, v17, 0x7fff
                                        ; implicit-def: $vgpr16
; %bb.2338:                             ;   in Loop: Header=BB8_1943 Depth=2
	s_and_not1_saveexec_b32 s14, s14
; %bb.2339:                             ;   in Loop: Header=BB8_1943 Depth=2
	v_and_b32_e32 v17, 0xffff, v16
	v_or_b32_e32 v20, 0x10000, v16
	s_delay_alu instid0(VALU_DEP_2) | instskip(NEXT) | instid1(VALU_DEP_2)
	v_cmp_eq_u32_e32 vcc_lo, 0, v17
	v_cndmask_b32_e32 v23, v20, v16, vcc_lo
; %bb.2340:                             ;   in Loop: Header=BB8_1943 Depth=2
	s_or_b32 exec_lo, exec_lo, s14
	v_and_b32_e32 v16, 0xffff0000, v18
	s_mov_b32 s14, exec_lo
                                        ; implicit-def: $vgpr18
	s_delay_alu instid0(VALU_DEP_1) | instskip(NEXT) | instid1(VALU_DEP_1)
	v_mul_f32_e32 v16, v21, v16
	v_and_b32_e32 v17, 0x7f800000, v16
	s_delay_alu instid0(VALU_DEP_1)
	v_cmpx_ne_u32_e32 0x7f800000, v17
	s_xor_b32 s14, exec_lo, s14
; %bb.2341:                             ;   in Loop: Header=BB8_1943 Depth=2
	v_bfe_u32 v17, v16, 16, 1
	s_delay_alu instid0(VALU_DEP_1)
	v_add3_u32 v18, v16, v17, 0x7fff
                                        ; implicit-def: $vgpr16
; %bb.2342:                             ;   in Loop: Header=BB8_1943 Depth=2
	s_and_not1_saveexec_b32 s14, s14
; %bb.2343:                             ;   in Loop: Header=BB8_1943 Depth=2
	v_and_b32_e32 v17, 0xffff, v16
	v_or_b32_e32 v18, 0x10000, v16
	s_delay_alu instid0(VALU_DEP_2) | instskip(NEXT) | instid1(VALU_DEP_2)
	v_cmp_eq_u32_e32 vcc_lo, 0, v17
	v_cndmask_b32_e32 v18, v18, v16, vcc_lo
; %bb.2344:                             ;   in Loop: Header=BB8_1943 Depth=2
	s_or_b32 exec_lo, exec_lo, s14
	v_lshlrev_b32_e32 v16, 16, v19
	s_mov_b32 s14, exec_lo
                                        ; implicit-def: $vgpr20
	s_delay_alu instid0(VALU_DEP_1) | instskip(NEXT) | instid1(VALU_DEP_1)
	v_mul_f32_e32 v16, v21, v16
	v_and_b32_e32 v17, 0x7f800000, v16
	s_delay_alu instid0(VALU_DEP_1)
	v_cmpx_ne_u32_e32 0x7f800000, v17
	s_xor_b32 s14, exec_lo, s14
; %bb.2345:                             ;   in Loop: Header=BB8_1943 Depth=2
	v_bfe_u32 v17, v16, 16, 1
	s_delay_alu instid0(VALU_DEP_1)
	v_add3_u32 v20, v16, v17, 0x7fff
                                        ; implicit-def: $vgpr16
; %bb.2346:                             ;   in Loop: Header=BB8_1943 Depth=2
	s_and_not1_saveexec_b32 s14, s14
; %bb.2347:                             ;   in Loop: Header=BB8_1943 Depth=2
	v_and_b32_e32 v17, 0xffff, v16
	v_or_b32_e32 v20, 0x10000, v16
	s_delay_alu instid0(VALU_DEP_2) | instskip(NEXT) | instid1(VALU_DEP_2)
	v_cmp_eq_u32_e32 vcc_lo, 0, v17
	v_cndmask_b32_e32 v20, v20, v16, vcc_lo
; %bb.2348:                             ;   in Loop: Header=BB8_1943 Depth=2
	s_or_b32 exec_lo, exec_lo, s14
	v_and_b32_e32 v16, 0xffff0000, v19
	s_delay_alu instid0(VALU_DEP_1) | instskip(NEXT) | instid1(VALU_DEP_1)
	v_mul_f32_e32 v16, v21, v16
	v_and_b32_e32 v17, 0x7f800000, v16
	s_delay_alu instid0(VALU_DEP_1) | instskip(SKIP_1) | instid1(SALU_CYCLE_1)
	v_cmp_ne_u32_e32 vcc_lo, 0x7f800000, v17
                                        ; implicit-def: $vgpr17
	s_and_saveexec_b32 s14, vcc_lo
	s_xor_b32 s14, exec_lo, s14
; %bb.2349:                             ;   in Loop: Header=BB8_1943 Depth=2
	v_bfe_u32 v17, v16, 16, 1
	s_delay_alu instid0(VALU_DEP_1)
	v_add3_u32 v17, v16, v17, 0x7fff
                                        ; implicit-def: $vgpr16
; %bb.2350:                             ;   in Loop: Header=BB8_1943 Depth=2
	s_and_not1_saveexec_b32 s14, s14
; %bb.2351:                             ;   in Loop: Header=BB8_1943 Depth=2
	v_and_b32_e32 v17, 0xffff, v16
	v_or_b32_e32 v19, 0x10000, v16
	s_delay_alu instid0(VALU_DEP_2) | instskip(NEXT) | instid1(VALU_DEP_2)
	v_cmp_eq_u32_e32 vcc_lo, 0, v17
	v_cndmask_b32_e32 v17, v19, v16, vcc_lo
; %bb.2352:                             ;   in Loop: Header=BB8_1943 Depth=2
	s_or_b32 exec_lo, exec_lo, s14
	v_and_b32_e32 v16, 0xffff0000, v36
	v_lshlrev_b32_e32 v19, 16, v12
	s_delay_alu instid0(VALU_DEP_1) | instskip(NEXT) | instid1(VALU_DEP_1)
	v_add_f32_e32 v19, v19, v16
	v_and_b32_e32 v16, 0x7f800000, v19
	s_delay_alu instid0(VALU_DEP_1) | instskip(SKIP_1) | instid1(SALU_CYCLE_1)
	v_cmp_ne_u32_e32 vcc_lo, 0x7f800000, v16
                                        ; implicit-def: $vgpr16
	s_and_saveexec_b32 s14, vcc_lo
	s_xor_b32 s14, exec_lo, s14
; %bb.2353:                             ;   in Loop: Header=BB8_1943 Depth=2
	v_bfe_u32 v16, v19, 16, 1
	s_delay_alu instid0(VALU_DEP_1)
	v_add3_u32 v16, v19, v16, 0x7fff
                                        ; implicit-def: $vgpr19
; %bb.2354:                             ;   in Loop: Header=BB8_1943 Depth=2
	s_and_not1_saveexec_b32 s14, s14
; %bb.2355:                             ;   in Loop: Header=BB8_1943 Depth=2
	v_and_b32_e32 v16, 0xffff, v19
	v_or_b32_e32 v21, 0x10000, v19
	s_delay_alu instid0(VALU_DEP_2) | instskip(NEXT) | instid1(VALU_DEP_2)
	v_cmp_eq_u32_e32 vcc_lo, 0, v16
	v_cndmask_b32_e32 v16, v21, v19, vcc_lo
; %bb.2356:                             ;   in Loop: Header=BB8_1943 Depth=2
	s_or_b32 exec_lo, exec_lo, s14
	v_and_b32_e32 v12, 0xffff0000, v12
	v_and_b32_e32 v4, 0xffff0000, v4
	s_delay_alu instid0(VALU_DEP_1) | instskip(NEXT) | instid1(VALU_DEP_1)
	v_add_f32_e32 v12, v12, v4
	v_and_b32_e32 v4, 0x7f800000, v12
	s_delay_alu instid0(VALU_DEP_1) | instskip(SKIP_1) | instid1(SALU_CYCLE_1)
	v_cmp_ne_u32_e32 vcc_lo, 0x7f800000, v4
                                        ; implicit-def: $vgpr4
	s_and_saveexec_b32 s14, vcc_lo
	s_xor_b32 s14, exec_lo, s14
; %bb.2357:                             ;   in Loop: Header=BB8_1943 Depth=2
	v_bfe_u32 v4, v12, 16, 1
	s_delay_alu instid0(VALU_DEP_1)
	v_add3_u32 v4, v12, v4, 0x7fff
                                        ; implicit-def: $vgpr12
; %bb.2358:                             ;   in Loop: Header=BB8_1943 Depth=2
	s_and_not1_saveexec_b32 s14, s14
; %bb.2359:                             ;   in Loop: Header=BB8_1943 Depth=2
	v_and_b32_e32 v4, 0xffff, v12
	v_or_b32_e32 v19, 0x10000, v12
	s_delay_alu instid0(VALU_DEP_2) | instskip(NEXT) | instid1(VALU_DEP_2)
	v_cmp_eq_u32_e32 vcc_lo, 0, v4
	v_cndmask_b32_e32 v4, v19, v12, vcc_lo
; %bb.2360:                             ;   in Loop: Header=BB8_1943 Depth=2
	s_or_b32 exec_lo, exec_lo, s14
	v_and_b32_e32 v5, 0xffff0000, v5
	v_lshlrev_b32_e32 v12, 16, v13
	s_delay_alu instid0(VALU_DEP_1) | instskip(NEXT) | instid1(VALU_DEP_1)
	v_add_f32_e32 v12, v12, v5
	v_and_b32_e32 v5, 0x7f800000, v12
	s_delay_alu instid0(VALU_DEP_1) | instskip(SKIP_1) | instid1(SALU_CYCLE_1)
	v_cmp_ne_u32_e32 vcc_lo, 0x7f800000, v5
                                        ; implicit-def: $vgpr5
	s_and_saveexec_b32 s14, vcc_lo
	s_xor_b32 s14, exec_lo, s14
; %bb.2361:                             ;   in Loop: Header=BB8_1943 Depth=2
	v_bfe_u32 v5, v12, 16, 1
	s_delay_alu instid0(VALU_DEP_1)
	v_add3_u32 v5, v12, v5, 0x7fff
                                        ; implicit-def: $vgpr12
; %bb.2362:                             ;   in Loop: Header=BB8_1943 Depth=2
	s_and_not1_saveexec_b32 s14, s14
; %bb.2363:                             ;   in Loop: Header=BB8_1943 Depth=2
	v_and_b32_e32 v5, 0xffff, v12
	v_or_b32_e32 v19, 0x10000, v12
	s_delay_alu instid0(VALU_DEP_2) | instskip(NEXT) | instid1(VALU_DEP_2)
	v_cmp_eq_u32_e32 vcc_lo, 0, v5
	v_cndmask_b32_e32 v5, v19, v12, vcc_lo
; %bb.2364:                             ;   in Loop: Header=BB8_1943 Depth=2
	s_or_b32 exec_lo, exec_lo, s14
	v_and_b32_e32 v12, 0xffff0000, v13
	v_and_b32_e32 v13, 0xffff0000, v32
	s_delay_alu instid0(VALU_DEP_1) | instskip(NEXT) | instid1(VALU_DEP_1)
	v_add_f32_e32 v13, v12, v13
	v_and_b32_e32 v12, 0x7f800000, v13
	s_delay_alu instid0(VALU_DEP_1) | instskip(SKIP_1) | instid1(SALU_CYCLE_1)
	v_cmp_ne_u32_e32 vcc_lo, 0x7f800000, v12
                                        ; implicit-def: $vgpr12
	s_and_saveexec_b32 s14, vcc_lo
	s_xor_b32 s14, exec_lo, s14
; %bb.2365:                             ;   in Loop: Header=BB8_1943 Depth=2
	v_bfe_u32 v12, v13, 16, 1
	s_delay_alu instid0(VALU_DEP_1)
	v_add3_u32 v12, v13, v12, 0x7fff
                                        ; implicit-def: $vgpr13
; %bb.2366:                             ;   in Loop: Header=BB8_1943 Depth=2
	s_and_not1_saveexec_b32 s14, s14
; %bb.2367:                             ;   in Loop: Header=BB8_1943 Depth=2
	v_and_b32_e32 v12, 0xffff, v13
	v_or_b32_e32 v19, 0x10000, v13
	s_delay_alu instid0(VALU_DEP_2) | instskip(NEXT) | instid1(VALU_DEP_2)
	v_cmp_eq_u32_e32 vcc_lo, 0, v12
	v_cndmask_b32_e32 v12, v19, v13, vcc_lo
; %bb.2368:                             ;   in Loop: Header=BB8_1943 Depth=2
	s_or_b32 exec_lo, exec_lo, s14
	v_and_b32_e32 v13, 0xffff0000, v33
	v_lshlrev_b32_e32 v19, 16, v14
	s_delay_alu instid0(VALU_DEP_1) | instskip(NEXT) | instid1(VALU_DEP_1)
	v_add_f32_e32 v19, v19, v13
	v_and_b32_e32 v13, 0x7f800000, v19
	s_delay_alu instid0(VALU_DEP_1) | instskip(SKIP_1) | instid1(SALU_CYCLE_1)
	v_cmp_ne_u32_e32 vcc_lo, 0x7f800000, v13
                                        ; implicit-def: $vgpr13
	s_and_saveexec_b32 s14, vcc_lo
	s_xor_b32 s14, exec_lo, s14
; %bb.2369:                             ;   in Loop: Header=BB8_1943 Depth=2
	v_bfe_u32 v13, v19, 16, 1
	s_delay_alu instid0(VALU_DEP_1)
	v_add3_u32 v13, v19, v13, 0x7fff
                                        ; implicit-def: $vgpr19
; %bb.2370:                             ;   in Loop: Header=BB8_1943 Depth=2
	s_and_not1_saveexec_b32 s14, s14
; %bb.2371:                             ;   in Loop: Header=BB8_1943 Depth=2
	v_and_b32_e32 v13, 0xffff, v19
	v_or_b32_e32 v21, 0x10000, v19
	s_delay_alu instid0(VALU_DEP_2) | instskip(NEXT) | instid1(VALU_DEP_2)
	v_cmp_eq_u32_e32 vcc_lo, 0, v13
	v_cndmask_b32_e32 v13, v21, v19, vcc_lo
; %bb.2372:                             ;   in Loop: Header=BB8_1943 Depth=2
	s_or_b32 exec_lo, exec_lo, s14
	v_and_b32_e32 v14, 0xffff0000, v14
	v_and_b32_e32 v19, 0xffff0000, v28
	s_delay_alu instid0(VALU_DEP_1) | instskip(NEXT) | instid1(VALU_DEP_1)
	v_add_f32_e32 v19, v14, v19
	v_and_b32_e32 v14, 0x7f800000, v19
	s_delay_alu instid0(VALU_DEP_1) | instskip(SKIP_1) | instid1(SALU_CYCLE_1)
	v_cmp_ne_u32_e32 vcc_lo, 0x7f800000, v14
                                        ; implicit-def: $vgpr14
	s_and_saveexec_b32 s14, vcc_lo
	s_xor_b32 s14, exec_lo, s14
; %bb.2373:                             ;   in Loop: Header=BB8_1943 Depth=2
	v_bfe_u32 v14, v19, 16, 1
	s_delay_alu instid0(VALU_DEP_1)
	v_add3_u32 v14, v19, v14, 0x7fff
                                        ; implicit-def: $vgpr19
; %bb.2374:                             ;   in Loop: Header=BB8_1943 Depth=2
	s_and_not1_saveexec_b32 s14, s14
; %bb.2375:                             ;   in Loop: Header=BB8_1943 Depth=2
	v_and_b32_e32 v14, 0xffff, v19
	v_or_b32_e32 v21, 0x10000, v19
	s_delay_alu instid0(VALU_DEP_2) | instskip(NEXT) | instid1(VALU_DEP_2)
	v_cmp_eq_u32_e32 vcc_lo, 0, v14
	v_cndmask_b32_e32 v14, v21, v19, vcc_lo
; %bb.2376:                             ;   in Loop: Header=BB8_1943 Depth=2
	s_or_b32 exec_lo, exec_lo, s14
	v_and_b32_e32 v19, 0xffff0000, v29
	v_lshlrev_b32_e32 v21, 16, v15
	s_delay_alu instid0(VALU_DEP_1) | instskip(NEXT) | instid1(VALU_DEP_1)
	v_add_f32_e32 v21, v21, v19
	v_and_b32_e32 v19, 0x7f800000, v21
	s_delay_alu instid0(VALU_DEP_1) | instskip(SKIP_1) | instid1(SALU_CYCLE_1)
	v_cmp_ne_u32_e32 vcc_lo, 0x7f800000, v19
                                        ; implicit-def: $vgpr19
	s_and_saveexec_b32 s14, vcc_lo
	s_xor_b32 s14, exec_lo, s14
; %bb.2377:                             ;   in Loop: Header=BB8_1943 Depth=2
	v_bfe_u32 v19, v21, 16, 1
	s_delay_alu instid0(VALU_DEP_1)
	v_add3_u32 v19, v21, v19, 0x7fff
                                        ; implicit-def: $vgpr21
; %bb.2378:                             ;   in Loop: Header=BB8_1943 Depth=2
	s_and_not1_saveexec_b32 s14, s14
; %bb.2379:                             ;   in Loop: Header=BB8_1943 Depth=2
	v_and_b32_e32 v19, 0xffff, v21
	v_or_b32_e32 v28, 0x10000, v21
	s_delay_alu instid0(VALU_DEP_2) | instskip(NEXT) | instid1(VALU_DEP_2)
	v_cmp_eq_u32_e32 vcc_lo, 0, v19
	v_cndmask_b32_e32 v19, v28, v21, vcc_lo
; %bb.2380:                             ;   in Loop: Header=BB8_1943 Depth=2
	s_or_b32 exec_lo, exec_lo, s14
	v_and_b32_e32 v15, 0xffff0000, v15
	v_and_b32_e32 v21, 0xffff0000, v26
	s_delay_alu instid0(VALU_DEP_1) | instskip(NEXT) | instid1(VALU_DEP_1)
	v_add_f32_e32 v21, v15, v21
	v_and_b32_e32 v15, 0x7f800000, v21
	s_delay_alu instid0(VALU_DEP_1) | instskip(SKIP_1) | instid1(SALU_CYCLE_1)
	v_cmp_ne_u32_e32 vcc_lo, 0x7f800000, v15
                                        ; implicit-def: $vgpr15
	s_and_saveexec_b32 s14, vcc_lo
	s_xor_b32 s14, exec_lo, s14
; %bb.2381:                             ;   in Loop: Header=BB8_1943 Depth=2
	v_bfe_u32 v15, v21, 16, 1
	s_delay_alu instid0(VALU_DEP_1)
	v_add3_u32 v15, v21, v15, 0x7fff
                                        ; implicit-def: $vgpr21
; %bb.2382:                             ;   in Loop: Header=BB8_1943 Depth=2
	s_and_not1_saveexec_b32 s14, s14
; %bb.2383:                             ;   in Loop: Header=BB8_1943 Depth=2
	v_and_b32_e32 v15, 0xffff, v21
	v_or_b32_e32 v26, 0x10000, v21
	s_delay_alu instid0(VALU_DEP_2) | instskip(NEXT) | instid1(VALU_DEP_2)
	v_cmp_eq_u32_e32 vcc_lo, 0, v15
	v_cndmask_b32_e32 v15, v26, v21, vcc_lo
; %bb.2384:                             ;   in Loop: Header=BB8_1943 Depth=2
	s_or_b32 exec_lo, exec_lo, s14
	v_and_b32_e32 v21, 0xffff0000, v27
	v_lshlrev_b32_e32 v26, 16, v8
	s_delay_alu instid0(VALU_DEP_1) | instskip(NEXT) | instid1(VALU_DEP_1)
	v_add_f32_e32 v26, v26, v21
	v_and_b32_e32 v21, 0x7f800000, v26
	s_delay_alu instid0(VALU_DEP_1) | instskip(SKIP_1) | instid1(SALU_CYCLE_1)
	v_cmp_ne_u32_e32 vcc_lo, 0x7f800000, v21
                                        ; implicit-def: $vgpr21
	s_and_saveexec_b32 s14, vcc_lo
	s_xor_b32 s14, exec_lo, s14
; %bb.2385:                             ;   in Loop: Header=BB8_1943 Depth=2
	v_bfe_u32 v21, v26, 16, 1
	s_delay_alu instid0(VALU_DEP_1)
	v_add3_u32 v21, v26, v21, 0x7fff
                                        ; implicit-def: $vgpr26
; %bb.2386:                             ;   in Loop: Header=BB8_1943 Depth=2
	s_and_not1_saveexec_b32 s14, s14
; %bb.2387:                             ;   in Loop: Header=BB8_1943 Depth=2
	v_and_b32_e32 v21, 0xffff, v26
	v_or_b32_e32 v27, 0x10000, v26
	s_delay_alu instid0(VALU_DEP_2) | instskip(NEXT) | instid1(VALU_DEP_2)
	v_cmp_eq_u32_e32 vcc_lo, 0, v21
	v_cndmask_b32_e32 v21, v27, v26, vcc_lo
; %bb.2388:                             ;   in Loop: Header=BB8_1943 Depth=2
	s_or_b32 exec_lo, exec_lo, s14
	v_and_b32_e32 v8, 0xffff0000, v8
	v_and_b32_e32 v24, 0xffff0000, v24
	s_delay_alu instid0(VALU_DEP_1) | instskip(NEXT) | instid1(VALU_DEP_1)
	v_add_f32_e32 v24, v8, v24
	v_and_b32_e32 v8, 0x7f800000, v24
	s_delay_alu instid0(VALU_DEP_1) | instskip(SKIP_1) | instid1(SALU_CYCLE_1)
	v_cmp_ne_u32_e32 vcc_lo, 0x7f800000, v8
                                        ; implicit-def: $vgpr8
	s_and_saveexec_b32 s14, vcc_lo
	s_xor_b32 s14, exec_lo, s14
; %bb.2389:                             ;   in Loop: Header=BB8_1943 Depth=2
	v_bfe_u32 v8, v24, 16, 1
	s_delay_alu instid0(VALU_DEP_1)
	v_add3_u32 v8, v24, v8, 0x7fff
                                        ; implicit-def: $vgpr24
; %bb.2390:                             ;   in Loop: Header=BB8_1943 Depth=2
	s_and_not1_saveexec_b32 s14, s14
; %bb.2391:                             ;   in Loop: Header=BB8_1943 Depth=2
	v_and_b32_e32 v8, 0xffff, v24
	v_or_b32_e32 v26, 0x10000, v24
	s_delay_alu instid0(VALU_DEP_2) | instskip(NEXT) | instid1(VALU_DEP_2)
	v_cmp_eq_u32_e32 vcc_lo, 0, v8
	v_cndmask_b32_e32 v8, v26, v24, vcc_lo
; %bb.2392:                             ;   in Loop: Header=BB8_1943 Depth=2
	s_or_b32 exec_lo, exec_lo, s14
	v_and_b32_e32 v24, 0xffff0000, v25
	v_lshlrev_b32_e32 v25, 16, v9
	s_delay_alu instid0(VALU_DEP_1) | instskip(NEXT) | instid1(VALU_DEP_1)
	v_add_f32_e32 v25, v25, v24
	v_and_b32_e32 v24, 0x7f800000, v25
	s_delay_alu instid0(VALU_DEP_1) | instskip(SKIP_1) | instid1(SALU_CYCLE_1)
	v_cmp_ne_u32_e32 vcc_lo, 0x7f800000, v24
                                        ; implicit-def: $vgpr24
	s_and_saveexec_b32 s14, vcc_lo
	s_xor_b32 s14, exec_lo, s14
; %bb.2393:                             ;   in Loop: Header=BB8_1943 Depth=2
	v_bfe_u32 v24, v25, 16, 1
	s_delay_alu instid0(VALU_DEP_1)
	v_add3_u32 v24, v25, v24, 0x7fff
                                        ; implicit-def: $vgpr25
; %bb.2394:                             ;   in Loop: Header=BB8_1943 Depth=2
	s_and_not1_saveexec_b32 s14, s14
; %bb.2395:                             ;   in Loop: Header=BB8_1943 Depth=2
	v_and_b32_e32 v24, 0xffff, v25
	v_or_b32_e32 v26, 0x10000, v25
	s_delay_alu instid0(VALU_DEP_2) | instskip(NEXT) | instid1(VALU_DEP_2)
	v_cmp_eq_u32_e32 vcc_lo, 0, v24
	v_cndmask_b32_e32 v24, v26, v25, vcc_lo
; %bb.2396:                             ;   in Loop: Header=BB8_1943 Depth=2
	s_or_b32 exec_lo, exec_lo, s14
	v_and_b32_e32 v9, 0xffff0000, v9
	v_and_b32_e32 v22, 0xffff0000, v22
	s_delay_alu instid0(VALU_DEP_1) | instskip(NEXT) | instid1(VALU_DEP_1)
	v_add_f32_e32 v22, v9, v22
	v_and_b32_e32 v9, 0x7f800000, v22
	s_delay_alu instid0(VALU_DEP_1) | instskip(SKIP_1) | instid1(SALU_CYCLE_1)
	v_cmp_ne_u32_e32 vcc_lo, 0x7f800000, v9
                                        ; implicit-def: $vgpr9
	s_and_saveexec_b32 s14, vcc_lo
	s_xor_b32 s14, exec_lo, s14
; %bb.2397:                             ;   in Loop: Header=BB8_1943 Depth=2
	v_bfe_u32 v9, v22, 16, 1
	s_delay_alu instid0(VALU_DEP_1)
	v_add3_u32 v9, v22, v9, 0x7fff
                                        ; implicit-def: $vgpr22
; %bb.2398:                             ;   in Loop: Header=BB8_1943 Depth=2
	s_and_not1_saveexec_b32 s14, s14
; %bb.2399:                             ;   in Loop: Header=BB8_1943 Depth=2
	v_and_b32_e32 v9, 0xffff, v22
	v_or_b32_e32 v25, 0x10000, v22
	s_delay_alu instid0(VALU_DEP_2) | instskip(NEXT) | instid1(VALU_DEP_2)
	v_cmp_eq_u32_e32 vcc_lo, 0, v9
	v_cndmask_b32_e32 v9, v25, v22, vcc_lo
; %bb.2400:                             ;   in Loop: Header=BB8_1943 Depth=2
	s_or_b32 exec_lo, exec_lo, s14
	v_and_b32_e32 v22, 0xffff0000, v23
	v_lshlrev_b32_e32 v23, 16, v10
	s_delay_alu instid0(VALU_DEP_1) | instskip(NEXT) | instid1(VALU_DEP_1)
	v_add_f32_e32 v23, v23, v22
	v_and_b32_e32 v22, 0x7f800000, v23
	s_delay_alu instid0(VALU_DEP_1) | instskip(SKIP_1) | instid1(SALU_CYCLE_1)
	v_cmp_ne_u32_e32 vcc_lo, 0x7f800000, v22
                                        ; implicit-def: $vgpr22
	s_and_saveexec_b32 s14, vcc_lo
	s_xor_b32 s14, exec_lo, s14
; %bb.2401:                             ;   in Loop: Header=BB8_1943 Depth=2
	v_bfe_u32 v22, v23, 16, 1
	s_delay_alu instid0(VALU_DEP_1)
	v_add3_u32 v22, v23, v22, 0x7fff
                                        ; implicit-def: $vgpr23
; %bb.2402:                             ;   in Loop: Header=BB8_1943 Depth=2
	s_and_not1_saveexec_b32 s14, s14
; %bb.2403:                             ;   in Loop: Header=BB8_1943 Depth=2
	v_and_b32_e32 v22, 0xffff, v23
	v_or_b32_e32 v25, 0x10000, v23
	s_delay_alu instid0(VALU_DEP_2) | instskip(NEXT) | instid1(VALU_DEP_2)
	v_cmp_eq_u32_e32 vcc_lo, 0, v22
	v_cndmask_b32_e32 v22, v25, v23, vcc_lo
; %bb.2404:                             ;   in Loop: Header=BB8_1943 Depth=2
	s_or_b32 exec_lo, exec_lo, s14
	v_and_b32_e32 v10, 0xffff0000, v10
	v_and_b32_e32 v18, 0xffff0000, v18
	s_delay_alu instid0(VALU_DEP_1) | instskip(NEXT) | instid1(VALU_DEP_1)
	v_add_f32_e32 v18, v10, v18
	v_and_b32_e32 v10, 0x7f800000, v18
	s_delay_alu instid0(VALU_DEP_1) | instskip(SKIP_1) | instid1(SALU_CYCLE_1)
	v_cmp_ne_u32_e32 vcc_lo, 0x7f800000, v10
                                        ; implicit-def: $vgpr10
	s_and_saveexec_b32 s14, vcc_lo
	s_xor_b32 s14, exec_lo, s14
; %bb.2405:                             ;   in Loop: Header=BB8_1943 Depth=2
	v_bfe_u32 v10, v18, 16, 1
	s_delay_alu instid0(VALU_DEP_1)
	v_add3_u32 v10, v18, v10, 0x7fff
                                        ; implicit-def: $vgpr18
; %bb.2406:                             ;   in Loop: Header=BB8_1943 Depth=2
	s_and_not1_saveexec_b32 s14, s14
; %bb.2407:                             ;   in Loop: Header=BB8_1943 Depth=2
	v_and_b32_e32 v10, 0xffff, v18
	v_or_b32_e32 v23, 0x10000, v18
	s_delay_alu instid0(VALU_DEP_2) | instskip(NEXT) | instid1(VALU_DEP_2)
	v_cmp_eq_u32_e32 vcc_lo, 0, v10
	v_cndmask_b32_e32 v10, v23, v18, vcc_lo
; %bb.2408:                             ;   in Loop: Header=BB8_1943 Depth=2
	s_or_b32 exec_lo, exec_lo, s14
	v_and_b32_e32 v18, 0xffff0000, v20
	v_lshlrev_b32_e32 v20, 16, v11
	s_delay_alu instid0(VALU_DEP_1) | instskip(NEXT) | instid1(VALU_DEP_1)
	v_add_f32_e32 v20, v20, v18
	v_and_b32_e32 v18, 0x7f800000, v20
	s_delay_alu instid0(VALU_DEP_1) | instskip(SKIP_1) | instid1(SALU_CYCLE_1)
	v_cmp_ne_u32_e32 vcc_lo, 0x7f800000, v18
                                        ; implicit-def: $vgpr18
	s_and_saveexec_b32 s14, vcc_lo
	s_xor_b32 s14, exec_lo, s14
; %bb.2409:                             ;   in Loop: Header=BB8_1943 Depth=2
	v_bfe_u32 v18, v20, 16, 1
	s_delay_alu instid0(VALU_DEP_1)
	v_add3_u32 v18, v20, v18, 0x7fff
                                        ; implicit-def: $vgpr20
; %bb.2410:                             ;   in Loop: Header=BB8_1943 Depth=2
	s_and_not1_saveexec_b32 s14, s14
; %bb.2411:                             ;   in Loop: Header=BB8_1943 Depth=2
	v_and_b32_e32 v18, 0xffff, v20
	v_or_b32_e32 v23, 0x10000, v20
	s_delay_alu instid0(VALU_DEP_2) | instskip(NEXT) | instid1(VALU_DEP_2)
	v_cmp_eq_u32_e32 vcc_lo, 0, v18
	v_cndmask_b32_e32 v18, v23, v20, vcc_lo
; %bb.2412:                             ;   in Loop: Header=BB8_1943 Depth=2
	s_or_b32 exec_lo, exec_lo, s14
	v_and_b32_e32 v11, 0xffff0000, v11
	v_and_b32_e32 v17, 0xffff0000, v17
	s_delay_alu instid0(VALU_DEP_1) | instskip(NEXT) | instid1(VALU_DEP_1)
	v_add_f32_e32 v17, v11, v17
	v_and_b32_e32 v11, 0x7f800000, v17
	s_delay_alu instid0(VALU_DEP_1) | instskip(SKIP_1) | instid1(SALU_CYCLE_1)
	v_cmp_ne_u32_e32 vcc_lo, 0x7f800000, v11
                                        ; implicit-def: $vgpr11
	s_and_saveexec_b32 s14, vcc_lo
	s_xor_b32 s14, exec_lo, s14
; %bb.2413:                             ;   in Loop: Header=BB8_1943 Depth=2
	v_bfe_u32 v11, v17, 16, 1
	s_delay_alu instid0(VALU_DEP_1)
	v_add3_u32 v11, v17, v11, 0x7fff
                                        ; implicit-def: $vgpr17
; %bb.2414:                             ;   in Loop: Header=BB8_1943 Depth=2
	s_and_not1_saveexec_b32 s14, s14
; %bb.2415:                             ;   in Loop: Header=BB8_1943 Depth=2
	v_and_b32_e32 v11, 0xffff, v17
	v_or_b32_e32 v20, 0x10000, v17
	s_delay_alu instid0(VALU_DEP_2) | instskip(NEXT) | instid1(VALU_DEP_2)
	v_cmp_eq_u32_e32 vcc_lo, 0, v11
	v_cndmask_b32_e32 v11, v20, v17, vcc_lo
; %bb.2416:                             ;   in Loop: Header=BB8_1943 Depth=2
	s_or_b32 exec_lo, exec_lo, s14
	v_dual_lshrrev_b32 v5, 16, v5 :: v_dual_lshrrev_b32 v16, 16, v16
	v_dual_lshrrev_b32 v17, 16, v13 :: v_dual_lshrrev_b32 v18, 16, v18
	s_delay_alu instid0(VALU_DEP_2) | instskip(NEXT) | instid1(VALU_DEP_3)
	v_and_or_b32 v13, 0xffff0000, v12, v5
	v_and_or_b32 v12, 0xffff0000, v4, v16
	v_lshrrev_b32_e32 v4, 16, v19
	s_delay_alu instid0(VALU_DEP_4) | instskip(SKIP_2) | instid1(VALU_DEP_4)
	v_and_or_b32 v14, 0xffff0000, v14, v17
	v_dual_lshrrev_b32 v5, 16, v24 :: v_dual_lshrrev_b32 v16, 16, v21
	v_lshrrev_b32_e32 v17, 16, v22
	v_and_or_b32 v15, 0xffff0000, v15, v4
	v_and_or_b32 v11, 0xffff0000, v11, v18
	s_delay_alu instid0(VALU_DEP_4)
	v_and_or_b32 v9, 0xffff0000, v9, v5
	v_and_or_b32 v8, 0xffff0000, v8, v16
	;; [unrolled: 1-line block ×3, first 2 shown]
	s_clause 0x1
	global_store_b128 v[94:95], v[12:15], off th:TH_STORE_NT
	global_store_b128 v[94:95], v[8:11], off offset:512 th:TH_STORE_NT
	s_clause 0x1
	global_store_b128 v[92:93], v[12:15], off th:TH_STORE_NT
	global_store_b128 v[92:93], v[8:11], off offset:512 th:TH_STORE_NT
.LBB8_2417:                             ;   in Loop: Header=BB8_1943 Depth=2
	s_wait_xcnt 0x0
	s_or_b32 exec_lo, exec_lo, s13
	v_lshlrev_b32_e32 v22, 10, v125
	s_mov_b32 s77, exec_lo
                                        ; implicit-def: $vgpr20
                                        ; implicit-def: $vgpr21
                                        ; implicit-def: $vgpr4
                                        ; implicit-def: $vgpr23
	s_delay_alu instid0(VALU_DEP_1)
	v_cmpx_ne_u32_e64 v73, v22
	s_cbranch_execz .LBB8_2633
; %bb.2418:                             ;   in Loop: Header=BB8_1943 Depth=2
	v_dual_lshlrev_b32 v4, 5, v75 :: v_dual_sub_nc_u32 v10, v73, v22
	s_mov_b32 s14, 0
	s_mov_b32 s78, exec_lo
	s_delay_alu instid0(VALU_DEP_1) | instskip(NEXT) | instid1(VALU_DEP_1)
	v_dual_sub_nc_u32 v4, v109, v4 :: v_dual_ashrrev_i32 v9, 31, v10
	v_ashrrev_i32_e32 v5, 31, v4
	s_delay_alu instid0(VALU_DEP_1) | instskip(NEXT) | instid1(VALU_DEP_1)
	v_lshrrev_b32_e32 v5, 27, v5
	v_add_nc_u32_e32 v5, v4, v5
	s_delay_alu instid0(VALU_DEP_1) | instskip(NEXT) | instid1(VALU_DEP_1)
	v_and_b32_e32 v8, 0xffffffe0, v5
	v_dual_sub_nc_u32 v24, v4, v8 :: v_dual_lshrrev_b32 v4, 23, v9
	s_delay_alu instid0(VALU_DEP_1) | instskip(NEXT) | instid1(VALU_DEP_1)
	v_dual_ashrrev_i32 v5, 5, v5 :: v_dual_add_nc_u32 v4, v10, v4
	v_and_b32_e32 v25, 0xfffffe00, v4
	s_delay_alu instid0(VALU_DEP_1) | instskip(NEXT) | instid1(VALU_DEP_1)
	v_dual_lshlrev_b32 v8, 4, v24 :: v_dual_sub_nc_u32 v26, v10, v25
	v_lshl_add_u32 v11, v5, 9, v8
	s_delay_alu instid0(VALU_DEP_2) | instskip(NEXT) | instid1(VALU_DEP_2)
	v_cmp_lt_i32_e64 s13, 15, v26
	v_dual_add_nc_u32 v8, v11, v22 :: v_dual_ashrrev_i32 v4, 9, v4
	v_sub_nc_u32_e32 v23, v10, v11
	s_delay_alu instid0(VALU_DEP_2) | instskip(NEXT) | instid1(VALU_DEP_1)
	v_add_co_ci_u32_e64 v4, null, 0, v4, s13
	v_dual_ashrrev_i32 v9, 31, v8 :: v_dual_sub_nc_u32 v27, v4, v5
	s_delay_alu instid0(VALU_DEP_1)
	v_add_nc_u64_e32 v[12:13], v[8:9], v[88:89]
	v_add_nc_u64_e32 v[14:15], v[8:9], v[90:91]
	v_cmpx_lt_i32_e32 15, v23
	s_cbranch_execz .LBB8_2563
; %bb.2419:                             ;   in Loop: Header=BB8_1943 Depth=2
	s_trap 2
	ds_load_b64 v[4:5], v0
	ds_load_b32 v10, v0
	v_add_nc_u64_e32 v[16:17], v[8:9], v[78:79]
	s_mov_b32 s89, 0
	s_mov_b32 s79, 0
                                        ; implicit-def: $sgpr88
	s_wait_dscnt 0x1
	v_add_nc_u64_e32 v[18:19], v[4:5], v[8:9]
	s_wait_dscnt 0x0
	v_lshlrev_b32_e32 v32, 16, v10
	s_branch .LBB8_2421
.LBB8_2420:                             ;   in Loop: Header=BB8_2421 Depth=3
	s_or_b32 exec_lo, exec_lo, s14
	s_delay_alu instid0(VALU_DEP_2) | instskip(SKIP_3) | instid1(SALU_CYCLE_1)
	v_cmp_gt_i32_e32 vcc_lo, 16, v23
	s_or_b32 s79, vcc_lo, s79
	s_and_not1_b32 s14, s88, exec_lo
	s_and_b32 s15, s89, exec_lo
	s_or_b32 s88, s14, s15
	s_and_not1_b32 exec_lo, exec_lo, s79
	s_cbranch_execz .LBB8_2562
.LBB8_2421:                             ;   Parent Loop BB8_47 Depth=1
                                        ;     Parent Loop BB8_1943 Depth=2
                                        ; =>    This Loop Header: Depth=3
                                        ;         Child Loop BB8_2422 Depth 4
                                        ;         Child Loop BB8_2489 Depth 4
	;; [unrolled: 1-line block ×4, first 2 shown]
	s_add_co_i32 s14, s33, 0xc0
	s_mov_b64 s[40:41], 0
	s_mov_b32 s90, s14
	s_mov_b32 s91, -1
.LBB8_2422:                             ;   Parent Loop BB8_47 Depth=1
                                        ;     Parent Loop BB8_1943 Depth=2
                                        ;       Parent Loop BB8_2421 Depth=3
                                        ; =>      This Inner Loop Header: Depth=4
	s_cmp_eq_u32 s40, 1
	s_cselect_b32 vcc_lo, -1, 0
	s_cmp_eq_u32 s40, 0
	v_dual_cndmask_b32 v5, v17, v19 :: v_dual_cndmask_b32 v4, v16, v18
	s_cselect_b32 s14, -1, 0
	s_and_b32 s15, exec_lo, s91
	s_mov_b64 s[40:41], 1
	s_mov_b32 s91, 0
	global_load_b128 v[8:11], v[4:5], off th:TH_LOAD_NT
	s_wait_xcnt 0x0
	v_add_nc_u64_e32 v[4:5], 0x200, v[4:5]
	s_delay_alu instid0(VALU_DEP_1)
	v_dual_cndmask_b32 v17, v17, v5, s14 :: v_dual_cndmask_b32 v16, v16, v4, s14
	v_dual_cndmask_b32 v19, v19, v5 :: v_dual_cndmask_b32 v18, v18, v4
	s_mov_b32 vcc_lo, s15
	s_wait_loadcnt 0x0
	scratch_store_b128 off, v[8:11], s90
	s_wait_xcnt 0x0
	s_mov_b32 s90, s58
	s_cbranch_vccnz .LBB8_2422
; %bb.2423:                             ;   in Loop: Header=BB8_2421 Depth=3
	s_and_saveexec_b32 s90, s89
	s_cbranch_execz .LBB8_2491
; %bb.2424:                             ;   in Loop: Header=BB8_2421 Depth=3
	scratch_load_b128 v[8:11], off, s33 offset:224
	s_wait_loadcnt 0x0
	v_lshlrev_b32_e32 v4, 16, v8
	s_delay_alu instid0(VALU_DEP_1) | instskip(NEXT) | instid1(VALU_DEP_1)
	v_mul_f32_e32 v4, v32, v4
	v_and_b32_e32 v5, 0x7f800000, v4
	s_delay_alu instid0(VALU_DEP_1) | instskip(SKIP_2) | instid1(SALU_CYCLE_1)
	v_cmp_ne_u32_e32 vcc_lo, 0x7f800000, v5
                                        ; implicit-def: $vgpr5
	s_wait_xcnt 0x0
	s_and_saveexec_b32 s14, vcc_lo
	s_xor_b32 s14, exec_lo, s14
; %bb.2425:                             ;   in Loop: Header=BB8_2421 Depth=3
	v_bfe_u32 v5, v4, 16, 1
	s_delay_alu instid0(VALU_DEP_1)
	v_add3_u32 v5, v4, v5, 0x7fff
                                        ; implicit-def: $vgpr4
; %bb.2426:                             ;   in Loop: Header=BB8_2421 Depth=3
	s_and_not1_saveexec_b32 s14, s14
; %bb.2427:                             ;   in Loop: Header=BB8_2421 Depth=3
	v_and_b32_e32 v5, 0xffff, v4
	v_or_b32_e32 v20, 0x10000, v4
	s_delay_alu instid0(VALU_DEP_2) | instskip(NEXT) | instid1(VALU_DEP_2)
	v_cmp_eq_u32_e32 vcc_lo, 0, v5
	v_cndmask_b32_e32 v5, v20, v4, vcc_lo
; %bb.2428:                             ;   in Loop: Header=BB8_2421 Depth=3
	s_or_b32 exec_lo, exec_lo, s14
	v_and_b32_e32 v4, 0xffff0000, v8
	s_mov_b32 s14, exec_lo
                                        ; implicit-def: $vgpr20
	s_delay_alu instid0(VALU_DEP_1) | instskip(NEXT) | instid1(VALU_DEP_1)
	v_mul_f32_e32 v4, v32, v4
	v_and_b32_e32 v8, 0x7f800000, v4
	s_delay_alu instid0(VALU_DEP_1)
	v_cmpx_ne_u32_e32 0x7f800000, v8
	s_xor_b32 s14, exec_lo, s14
; %bb.2429:                             ;   in Loop: Header=BB8_2421 Depth=3
	v_bfe_u32 v8, v4, 16, 1
	s_delay_alu instid0(VALU_DEP_1)
	v_add3_u32 v20, v4, v8, 0x7fff
                                        ; implicit-def: $vgpr4
; %bb.2430:                             ;   in Loop: Header=BB8_2421 Depth=3
	s_and_not1_saveexec_b32 s14, s14
; %bb.2431:                             ;   in Loop: Header=BB8_2421 Depth=3
	v_and_b32_e32 v8, 0xffff, v4
	v_or_b32_e32 v20, 0x10000, v4
	s_delay_alu instid0(VALU_DEP_2) | instskip(NEXT) | instid1(VALU_DEP_2)
	v_cmp_eq_u32_e32 vcc_lo, 0, v8
	v_cndmask_b32_e32 v20, v20, v4, vcc_lo
; %bb.2432:                             ;   in Loop: Header=BB8_2421 Depth=3
	s_or_b32 exec_lo, exec_lo, s14
	v_lshlrev_b32_e32 v4, 16, v9
	s_mov_b32 s14, exec_lo
                                        ; implicit-def: $vgpr35
	s_delay_alu instid0(VALU_DEP_1) | instskip(NEXT) | instid1(VALU_DEP_1)
	v_mul_f32_e32 v4, v32, v4
	v_and_b32_e32 v8, 0x7f800000, v4
	s_delay_alu instid0(VALU_DEP_1)
	v_cmpx_ne_u32_e32 0x7f800000, v8
	s_xor_b32 s14, exec_lo, s14
; %bb.2433:                             ;   in Loop: Header=BB8_2421 Depth=3
	v_bfe_u32 v8, v4, 16, 1
	s_delay_alu instid0(VALU_DEP_1)
	v_add3_u32 v35, v4, v8, 0x7fff
                                        ; implicit-def: $vgpr4
; %bb.2434:                             ;   in Loop: Header=BB8_2421 Depth=3
	s_and_not1_saveexec_b32 s14, s14
; %bb.2435:                             ;   in Loop: Header=BB8_2421 Depth=3
	v_and_b32_e32 v8, 0xffff, v4
	v_or_b32_e32 v21, 0x10000, v4
	s_delay_alu instid0(VALU_DEP_2) | instskip(NEXT) | instid1(VALU_DEP_2)
	v_cmp_eq_u32_e32 vcc_lo, 0, v8
	v_cndmask_b32_e32 v35, v21, v4, vcc_lo
; %bb.2436:                             ;   in Loop: Header=BB8_2421 Depth=3
	s_or_b32 exec_lo, exec_lo, s14
	v_and_b32_e32 v4, 0xffff0000, v9
	s_mov_b32 s14, exec_lo
                                        ; implicit-def: $vgpr33
	s_delay_alu instid0(VALU_DEP_1) | instskip(NEXT) | instid1(VALU_DEP_1)
	v_mul_f32_e32 v4, v32, v4
	v_and_b32_e32 v8, 0x7f800000, v4
	s_delay_alu instid0(VALU_DEP_1)
	v_cmpx_ne_u32_e32 0x7f800000, v8
	s_xor_b32 s14, exec_lo, s14
; %bb.2437:                             ;   in Loop: Header=BB8_2421 Depth=3
	v_bfe_u32 v8, v4, 16, 1
	s_delay_alu instid0(VALU_DEP_1)
	v_add3_u32 v33, v4, v8, 0x7fff
                                        ; implicit-def: $vgpr4
; %bb.2438:                             ;   in Loop: Header=BB8_2421 Depth=3
	s_and_not1_saveexec_b32 s14, s14
; %bb.2439:                             ;   in Loop: Header=BB8_2421 Depth=3
	v_and_b32_e32 v8, 0xffff, v4
	v_or_b32_e32 v9, 0x10000, v4
	s_delay_alu instid0(VALU_DEP_2) | instskip(NEXT) | instid1(VALU_DEP_2)
	v_cmp_eq_u32_e32 vcc_lo, 0, v8
	v_cndmask_b32_e32 v33, v9, v4, vcc_lo
; %bb.2440:                             ;   in Loop: Header=BB8_2421 Depth=3
	s_or_b32 exec_lo, exec_lo, s14
	v_lshlrev_b32_e32 v4, 16, v10
	s_mov_b32 s14, exec_lo
                                        ; implicit-def: $vgpr34
	s_delay_alu instid0(VALU_DEP_1) | instskip(NEXT) | instid1(VALU_DEP_1)
	v_mul_f32_e32 v4, v32, v4
	v_and_b32_e32 v8, 0x7f800000, v4
	s_delay_alu instid0(VALU_DEP_1)
	v_cmpx_ne_u32_e32 0x7f800000, v8
	s_xor_b32 s14, exec_lo, s14
; %bb.2441:                             ;   in Loop: Header=BB8_2421 Depth=3
	v_bfe_u32 v8, v4, 16, 1
	s_delay_alu instid0(VALU_DEP_1)
	v_add3_u32 v34, v4, v8, 0x7fff
                                        ; implicit-def: $vgpr4
; %bb.2442:                             ;   in Loop: Header=BB8_2421 Depth=3
	s_and_not1_saveexec_b32 s14, s14
; %bb.2443:                             ;   in Loop: Header=BB8_2421 Depth=3
	v_and_b32_e32 v8, 0xffff, v4
	v_or_b32_e32 v9, 0x10000, v4
	s_delay_alu instid0(VALU_DEP_2) | instskip(NEXT) | instid1(VALU_DEP_2)
	v_cmp_eq_u32_e32 vcc_lo, 0, v8
	v_cndmask_b32_e32 v34, v9, v4, vcc_lo
; %bb.2444:                             ;   in Loop: Header=BB8_2421 Depth=3
	s_or_b32 exec_lo, exec_lo, s14
	v_and_b32_e32 v4, 0xffff0000, v10
	s_mov_b32 s14, exec_lo
                                        ; implicit-def: $vgpr28
	s_delay_alu instid0(VALU_DEP_1) | instskip(NEXT) | instid1(VALU_DEP_1)
	v_mul_f32_e32 v4, v32, v4
	v_and_b32_e32 v8, 0x7f800000, v4
	s_delay_alu instid0(VALU_DEP_1)
	v_cmpx_ne_u32_e32 0x7f800000, v8
	s_xor_b32 s14, exec_lo, s14
; %bb.2445:                             ;   in Loop: Header=BB8_2421 Depth=3
	v_bfe_u32 v8, v4, 16, 1
	s_delay_alu instid0(VALU_DEP_1)
	v_add3_u32 v28, v4, v8, 0x7fff
                                        ; implicit-def: $vgpr4
; %bb.2446:                             ;   in Loop: Header=BB8_2421 Depth=3
	s_and_not1_saveexec_b32 s14, s14
; %bb.2447:                             ;   in Loop: Header=BB8_2421 Depth=3
	v_and_b32_e32 v8, 0xffff, v4
	v_or_b32_e32 v9, 0x10000, v4
	s_delay_alu instid0(VALU_DEP_2) | instskip(NEXT) | instid1(VALU_DEP_2)
	v_cmp_eq_u32_e32 vcc_lo, 0, v8
	v_cndmask_b32_e32 v28, v9, v4, vcc_lo
; %bb.2448:                             ;   in Loop: Header=BB8_2421 Depth=3
	s_or_b32 exec_lo, exec_lo, s14
	v_lshlrev_b32_e32 v4, 16, v11
	s_mov_b32 s14, exec_lo
                                        ; implicit-def: $vgpr29
	s_delay_alu instid0(VALU_DEP_1) | instskip(NEXT) | instid1(VALU_DEP_1)
	v_mul_f32_e32 v4, v32, v4
	v_and_b32_e32 v8, 0x7f800000, v4
	s_delay_alu instid0(VALU_DEP_1)
	v_cmpx_ne_u32_e32 0x7f800000, v8
	s_xor_b32 s14, exec_lo, s14
; %bb.2449:                             ;   in Loop: Header=BB8_2421 Depth=3
	v_bfe_u32 v8, v4, 16, 1
	s_delay_alu instid0(VALU_DEP_1)
	v_add3_u32 v29, v4, v8, 0x7fff
                                        ; implicit-def: $vgpr4
; %bb.2450:                             ;   in Loop: Header=BB8_2421 Depth=3
	s_and_not1_saveexec_b32 s14, s14
; %bb.2451:                             ;   in Loop: Header=BB8_2421 Depth=3
	v_and_b32_e32 v8, 0xffff, v4
	v_or_b32_e32 v9, 0x10000, v4
	s_delay_alu instid0(VALU_DEP_2) | instskip(NEXT) | instid1(VALU_DEP_2)
	v_cmp_eq_u32_e32 vcc_lo, 0, v8
	v_cndmask_b32_e32 v29, v9, v4, vcc_lo
; %bb.2452:                             ;   in Loop: Header=BB8_2421 Depth=3
	s_or_b32 exec_lo, exec_lo, s14
	v_and_b32_e32 v4, 0xffff0000, v11
	s_delay_alu instid0(VALU_DEP_1) | instskip(NEXT) | instid1(VALU_DEP_1)
	v_mul_f32_e32 v8, v32, v4
	v_and_b32_e32 v4, 0x7f800000, v8
	s_delay_alu instid0(VALU_DEP_1) | instskip(SKIP_1) | instid1(SALU_CYCLE_1)
	v_cmp_ne_u32_e32 vcc_lo, 0x7f800000, v4
                                        ; implicit-def: $vgpr4
	s_and_saveexec_b32 s14, vcc_lo
	s_xor_b32 s14, exec_lo, s14
; %bb.2453:                             ;   in Loop: Header=BB8_2421 Depth=3
	v_bfe_u32 v4, v8, 16, 1
	s_delay_alu instid0(VALU_DEP_1)
	v_add3_u32 v4, v8, v4, 0x7fff
                                        ; implicit-def: $vgpr8
; %bb.2454:                             ;   in Loop: Header=BB8_2421 Depth=3
	s_and_not1_saveexec_b32 s14, s14
; %bb.2455:                             ;   in Loop: Header=BB8_2421 Depth=3
	v_and_b32_e32 v4, 0xffff, v8
	v_or_b32_e32 v9, 0x10000, v8
	s_delay_alu instid0(VALU_DEP_2) | instskip(NEXT) | instid1(VALU_DEP_2)
	v_cmp_eq_u32_e32 vcc_lo, 0, v4
	v_cndmask_b32_e32 v4, v9, v8, vcc_lo
; %bb.2456:                             ;   in Loop: Header=BB8_2421 Depth=3
	s_or_b32 exec_lo, exec_lo, s14
	scratch_load_b128 v[8:11], off, s33 offset:240
	v_and_b32_e32 v5, 0xffff0000, v5
	s_wait_loadcnt 0x0
	v_lshlrev_b32_e32 v21, 16, v8
	s_delay_alu instid0(VALU_DEP_1) | instskip(NEXT) | instid1(VALU_DEP_1)
	v_add_f32_e32 v21, v5, v21
	v_and_b32_e32 v5, 0x7f800000, v21
	s_delay_alu instid0(VALU_DEP_1) | instskip(SKIP_2) | instid1(SALU_CYCLE_1)
	v_cmp_ne_u32_e32 vcc_lo, 0x7f800000, v5
                                        ; implicit-def: $vgpr5
	s_wait_xcnt 0x0
	s_and_saveexec_b32 s14, vcc_lo
	s_xor_b32 s14, exec_lo, s14
; %bb.2457:                             ;   in Loop: Header=BB8_2421 Depth=3
	v_bfe_u32 v5, v21, 16, 1
	s_delay_alu instid0(VALU_DEP_1)
	v_add3_u32 v5, v21, v5, 0x7fff
                                        ; implicit-def: $vgpr21
; %bb.2458:                             ;   in Loop: Header=BB8_2421 Depth=3
	s_and_not1_saveexec_b32 s14, s14
; %bb.2459:                             ;   in Loop: Header=BB8_2421 Depth=3
	v_and_b32_e32 v5, 0xffff, v21
	v_or_b32_e32 v36, 0x10000, v21
	s_delay_alu instid0(VALU_DEP_2) | instskip(NEXT) | instid1(VALU_DEP_2)
	v_cmp_eq_u32_e32 vcc_lo, 0, v5
	v_cndmask_b32_e32 v5, v36, v21, vcc_lo
; %bb.2460:                             ;   in Loop: Header=BB8_2421 Depth=3
	s_or_b32 exec_lo, exec_lo, s14
	v_and_b32_e32 v21, 0xffff0000, v8
	v_and_b32_e32 v20, 0xffff0000, v20
	s_delay_alu instid0(VALU_DEP_2) | instskip(NEXT) | instid1(VALU_DEP_1)
	v_mov_b32_e32 v8, v21
	v_pk_add_f32 v[20:21], v[8:9], v[20:21]
	s_delay_alu instid0(VALU_DEP_1) | instskip(NEXT) | instid1(VALU_DEP_1)
	v_and_b32_e32 v8, 0x7f800000, v20
	v_cmp_ne_u32_e32 vcc_lo, 0x7f800000, v8
                                        ; implicit-def: $vgpr8
	s_and_saveexec_b32 s14, vcc_lo
	s_delay_alu instid0(SALU_CYCLE_1)
	s_xor_b32 s14, exec_lo, s14
; %bb.2461:                             ;   in Loop: Header=BB8_2421 Depth=3
	v_bfe_u32 v8, v20, 16, 1
	s_delay_alu instid0(VALU_DEP_1)
	v_add3_u32 v8, v20, v8, 0x7fff
                                        ; implicit-def: $vgpr20_vgpr21
; %bb.2462:                             ;   in Loop: Header=BB8_2421 Depth=3
	s_and_not1_saveexec_b32 s14, s14
; %bb.2463:                             ;   in Loop: Header=BB8_2421 Depth=3
	v_and_b32_e32 v8, 0xffff, v20
	v_or_b32_e32 v21, 0x10000, v20
	s_delay_alu instid0(VALU_DEP_2) | instskip(NEXT) | instid1(VALU_DEP_2)
	v_cmp_eq_u32_e32 vcc_lo, 0, v8
	v_cndmask_b32_e32 v8, v21, v20, vcc_lo
; %bb.2464:                             ;   in Loop: Header=BB8_2421 Depth=3
	s_or_b32 exec_lo, exec_lo, s14
	v_and_b32_e32 v20, 0xffff0000, v35
	v_lshlrev_b32_e32 v21, 16, v9
	s_delay_alu instid0(VALU_DEP_1) | instskip(NEXT) | instid1(VALU_DEP_1)
	v_add_f32_e32 v21, v20, v21
	v_and_b32_e32 v20, 0x7f800000, v21
	s_delay_alu instid0(VALU_DEP_1) | instskip(SKIP_1) | instid1(SALU_CYCLE_1)
	v_cmp_ne_u32_e32 vcc_lo, 0x7f800000, v20
                                        ; implicit-def: $vgpr20
	s_and_saveexec_b32 s14, vcc_lo
	s_xor_b32 s14, exec_lo, s14
; %bb.2465:                             ;   in Loop: Header=BB8_2421 Depth=3
	v_bfe_u32 v20, v21, 16, 1
	s_delay_alu instid0(VALU_DEP_1)
	v_add3_u32 v20, v21, v20, 0x7fff
                                        ; implicit-def: $vgpr21
; %bb.2466:                             ;   in Loop: Header=BB8_2421 Depth=3
	s_and_not1_saveexec_b32 s14, s14
; %bb.2467:                             ;   in Loop: Header=BB8_2421 Depth=3
	v_and_b32_e32 v20, 0xffff, v21
	v_or_b32_e32 v35, 0x10000, v21
	s_delay_alu instid0(VALU_DEP_2) | instskip(NEXT) | instid1(VALU_DEP_2)
	v_cmp_eq_u32_e32 vcc_lo, 0, v20
	v_cndmask_b32_e32 v20, v35, v21, vcc_lo
; %bb.2468:                             ;   in Loop: Header=BB8_2421 Depth=3
	s_or_b32 exec_lo, exec_lo, s14
	v_and_b32_e32 v9, 0xffff0000, v9
	v_and_b32_e32 v21, 0xffff0000, v33
	s_delay_alu instid0(VALU_DEP_1) | instskip(NEXT) | instid1(VALU_DEP_1)
	v_add_f32_e32 v21, v21, v9
	v_and_b32_e32 v9, 0x7f800000, v21
	s_delay_alu instid0(VALU_DEP_1) | instskip(SKIP_1) | instid1(SALU_CYCLE_1)
	v_cmp_ne_u32_e32 vcc_lo, 0x7f800000, v9
                                        ; implicit-def: $vgpr9
	s_and_saveexec_b32 s14, vcc_lo
	s_xor_b32 s14, exec_lo, s14
; %bb.2469:                             ;   in Loop: Header=BB8_2421 Depth=3
	v_bfe_u32 v9, v21, 16, 1
	s_delay_alu instid0(VALU_DEP_1)
	v_add3_u32 v9, v21, v9, 0x7fff
                                        ; implicit-def: $vgpr21
; %bb.2470:                             ;   in Loop: Header=BB8_2421 Depth=3
	s_and_not1_saveexec_b32 s14, s14
; %bb.2471:                             ;   in Loop: Header=BB8_2421 Depth=3
	v_and_b32_e32 v9, 0xffff, v21
	v_or_b32_e32 v33, 0x10000, v21
	s_delay_alu instid0(VALU_DEP_2) | instskip(NEXT) | instid1(VALU_DEP_2)
	v_cmp_eq_u32_e32 vcc_lo, 0, v9
	v_cndmask_b32_e32 v9, v33, v21, vcc_lo
; %bb.2472:                             ;   in Loop: Header=BB8_2421 Depth=3
	s_or_b32 exec_lo, exec_lo, s14
	v_and_b32_e32 v21, 0xffff0000, v34
	v_lshlrev_b32_e32 v33, 16, v10
	s_delay_alu instid0(VALU_DEP_1) | instskip(NEXT) | instid1(VALU_DEP_1)
	v_add_f32_e32 v33, v21, v33
	v_and_b32_e32 v21, 0x7f800000, v33
	s_delay_alu instid0(VALU_DEP_1) | instskip(SKIP_1) | instid1(SALU_CYCLE_1)
	v_cmp_ne_u32_e32 vcc_lo, 0x7f800000, v21
                                        ; implicit-def: $vgpr21
	s_and_saveexec_b32 s14, vcc_lo
	s_xor_b32 s14, exec_lo, s14
; %bb.2473:                             ;   in Loop: Header=BB8_2421 Depth=3
	v_bfe_u32 v21, v33, 16, 1
	s_delay_alu instid0(VALU_DEP_1)
	v_add3_u32 v21, v33, v21, 0x7fff
                                        ; implicit-def: $vgpr33
; %bb.2474:                             ;   in Loop: Header=BB8_2421 Depth=3
	s_and_not1_saveexec_b32 s14, s14
; %bb.2475:                             ;   in Loop: Header=BB8_2421 Depth=3
	v_and_b32_e32 v21, 0xffff, v33
	v_or_b32_e32 v34, 0x10000, v33
	s_delay_alu instid0(VALU_DEP_2) | instskip(NEXT) | instid1(VALU_DEP_2)
	v_cmp_eq_u32_e32 vcc_lo, 0, v21
	v_cndmask_b32_e32 v21, v34, v33, vcc_lo
; %bb.2476:                             ;   in Loop: Header=BB8_2421 Depth=3
	s_or_b32 exec_lo, exec_lo, s14
	v_and_b32_e32 v10, 0xffff0000, v10
	v_and_b32_e32 v28, 0xffff0000, v28
	s_delay_alu instid0(VALU_DEP_1) | instskip(NEXT) | instid1(VALU_DEP_1)
	v_add_f32_e32 v28, v28, v10
	v_and_b32_e32 v10, 0x7f800000, v28
	s_delay_alu instid0(VALU_DEP_1) | instskip(SKIP_1) | instid1(SALU_CYCLE_1)
	v_cmp_ne_u32_e32 vcc_lo, 0x7f800000, v10
                                        ; implicit-def: $vgpr10
	s_and_saveexec_b32 s14, vcc_lo
	s_xor_b32 s14, exec_lo, s14
; %bb.2477:                             ;   in Loop: Header=BB8_2421 Depth=3
	v_bfe_u32 v10, v28, 16, 1
	s_delay_alu instid0(VALU_DEP_1)
	v_add3_u32 v10, v28, v10, 0x7fff
                                        ; implicit-def: $vgpr28
; %bb.2478:                             ;   in Loop: Header=BB8_2421 Depth=3
	s_and_not1_saveexec_b32 s14, s14
; %bb.2479:                             ;   in Loop: Header=BB8_2421 Depth=3
	v_and_b32_e32 v10, 0xffff, v28
	v_or_b32_e32 v33, 0x10000, v28
	s_delay_alu instid0(VALU_DEP_2) | instskip(NEXT) | instid1(VALU_DEP_2)
	v_cmp_eq_u32_e32 vcc_lo, 0, v10
	v_cndmask_b32_e32 v10, v33, v28, vcc_lo
; %bb.2480:                             ;   in Loop: Header=BB8_2421 Depth=3
	s_or_b32 exec_lo, exec_lo, s14
	v_and_b32_e32 v28, 0xffff0000, v29
	v_lshlrev_b32_e32 v29, 16, v11
	s_delay_alu instid0(VALU_DEP_1) | instskip(NEXT) | instid1(VALU_DEP_1)
	v_add_f32_e32 v29, v28, v29
	v_and_b32_e32 v28, 0x7f800000, v29
	s_delay_alu instid0(VALU_DEP_1) | instskip(SKIP_1) | instid1(SALU_CYCLE_1)
	v_cmp_ne_u32_e32 vcc_lo, 0x7f800000, v28
                                        ; implicit-def: $vgpr28
	s_and_saveexec_b32 s14, vcc_lo
	s_xor_b32 s14, exec_lo, s14
; %bb.2481:                             ;   in Loop: Header=BB8_2421 Depth=3
	v_bfe_u32 v28, v29, 16, 1
	s_delay_alu instid0(VALU_DEP_1)
	v_add3_u32 v28, v29, v28, 0x7fff
                                        ; implicit-def: $vgpr29
; %bb.2482:                             ;   in Loop: Header=BB8_2421 Depth=3
	s_and_not1_saveexec_b32 s14, s14
; %bb.2483:                             ;   in Loop: Header=BB8_2421 Depth=3
	v_and_b32_e32 v28, 0xffff, v29
	v_or_b32_e32 v33, 0x10000, v29
	s_delay_alu instid0(VALU_DEP_2) | instskip(NEXT) | instid1(VALU_DEP_2)
	v_cmp_eq_u32_e32 vcc_lo, 0, v28
	v_cndmask_b32_e32 v28, v33, v29, vcc_lo
; %bb.2484:                             ;   in Loop: Header=BB8_2421 Depth=3
	s_or_b32 exec_lo, exec_lo, s14
	v_and_b32_e32 v11, 0xffff0000, v11
	v_and_b32_e32 v4, 0xffff0000, v4
	s_delay_alu instid0(VALU_DEP_1) | instskip(NEXT) | instid1(VALU_DEP_1)
	v_add_f32_e32 v11, v4, v11
	v_and_b32_e32 v4, 0x7f800000, v11
	s_delay_alu instid0(VALU_DEP_1) | instskip(SKIP_1) | instid1(SALU_CYCLE_1)
	v_cmp_ne_u32_e32 vcc_lo, 0x7f800000, v4
                                        ; implicit-def: $vgpr4
	s_and_saveexec_b32 s14, vcc_lo
	s_xor_b32 s14, exec_lo, s14
; %bb.2485:                             ;   in Loop: Header=BB8_2421 Depth=3
	v_bfe_u32 v4, v11, 16, 1
	s_delay_alu instid0(VALU_DEP_1)
	v_add3_u32 v4, v11, v4, 0x7fff
                                        ; implicit-def: $vgpr11
; %bb.2486:                             ;   in Loop: Header=BB8_2421 Depth=3
	s_and_not1_saveexec_b32 s14, s14
; %bb.2487:                             ;   in Loop: Header=BB8_2421 Depth=3
	v_and_b32_e32 v4, 0xffff, v11
	v_or_b32_e32 v29, 0x10000, v11
	s_delay_alu instid0(VALU_DEP_2) | instskip(NEXT) | instid1(VALU_DEP_2)
	v_cmp_eq_u32_e32 vcc_lo, 0, v4
	v_cndmask_b32_e32 v4, v29, v11, vcc_lo
; %bb.2488:                             ;   in Loop: Header=BB8_2421 Depth=3
	s_or_b32 exec_lo, exec_lo, s14
	v_dual_lshrrev_b32 v11, 16, v20 :: v_dual_lshrrev_b32 v5, 16, v5
	v_dual_lshrrev_b32 v20, 16, v21 :: v_dual_lshrrev_b32 v21, 16, v28
	s_mov_b64 s[40:41], 0
	s_delay_alu instid0(VALU_DEP_2) | instskip(NEXT) | instid1(VALU_DEP_3)
	v_and_or_b32 v9, 0xffff0000, v9, v11
	v_and_or_b32 v8, 0xffff0000, v8, v5
	s_delay_alu instid0(VALU_DEP_3)
	v_and_or_b32 v10, 0xffff0000, v10, v20
	v_and_or_b32 v11, 0xffff0000, v4, v21
	s_mov_b32 s89, -1
	scratch_store_b128 off, v[8:11], s33 offset:224
.LBB8_2489:                             ;   Parent Loop BB8_47 Depth=1
                                        ;     Parent Loop BB8_1943 Depth=2
                                        ;       Parent Loop BB8_2421 Depth=3
                                        ; =>      This Inner Loop Header: Depth=4
	s_cmp_eq_u32 s40, 1
	s_cselect_b32 vcc_lo, -1, 0
	s_cmp_eq_u32 s40, 0
	s_wait_xcnt 0x0
	v_dual_cndmask_b32 v5, v13, v15 :: v_dual_cndmask_b32 v4, v12, v14
	s_cselect_b32 s14, -1, 0
	s_and_b32 s15, exec_lo, s89
	s_mov_b64 s[40:41], 1
	s_mov_b32 s89, 0
	v_add_nc_u64_e32 v[20:21], 0x200, v[4:5]
	global_store_b128 v[4:5], v[8:11], off th:TH_STORE_NT
	v_dual_cndmask_b32 v15, v15, v21 :: v_dual_cndmask_b32 v14, v14, v20
	v_dual_cndmask_b32 v13, v13, v21, s14 :: v_dual_cndmask_b32 v12, v12, v20, s14
	s_mov_b32 vcc_lo, s15
	s_cbranch_vccnz .LBB8_2489
; %bb.2490:                             ;   in Loop: Header=BB8_2421 Depth=3
	s_delay_alu instid0(VALU_DEP_1)
	v_add_nc_u64_e32 v[12:13], v[12:13], v[116:117]
	v_add_nc_u64_e32 v[14:15], v[14:15], v[116:117]
.LBB8_2491:                             ;   in Loop: Header=BB8_2421 Depth=3
	s_wait_xcnt 0x0
	s_or_b32 exec_lo, exec_lo, s90
	v_sub_nc_u32_e32 v23, v23, v122
	v_add_nc_u64_e32 v[16:17], v[16:17], v[116:117]
	v_add_nc_u64_e32 v[18:19], v[18:19], v[116:117]
	s_delay_alu instid0(VALU_DEP_3)
	v_cmp_lt_i32_e64 s89, 15, v23
	s_and_saveexec_b32 s90, s89
	s_cbranch_execz .LBB8_2494
; %bb.2492:                             ;   in Loop: Header=BB8_2421 Depth=3
	s_add_co_i32 s14, s33, 0xe0
	s_mov_b64 s[40:41], 0
	s_mov_b32 s91, s14
	s_mov_b32 s92, -1
.LBB8_2493:                             ;   Parent Loop BB8_47 Depth=1
                                        ;     Parent Loop BB8_1943 Depth=2
                                        ;       Parent Loop BB8_2421 Depth=3
                                        ; =>      This Inner Loop Header: Depth=4
	s_cmp_eq_u32 s40, 1
	s_cselect_b32 vcc_lo, -1, 0
	s_cmp_eq_u32 s40, 0
	v_dual_cndmask_b32 v5, v17, v19 :: v_dual_cndmask_b32 v4, v16, v18
	s_cselect_b32 s14, -1, 0
	s_and_b32 s15, exec_lo, s92
	s_mov_b64 s[40:41], 1
	s_mov_b32 s92, 0
	global_load_b128 v[8:11], v[4:5], off th:TH_LOAD_NT
	s_wait_xcnt 0x0
	v_add_nc_u64_e32 v[4:5], 0x200, v[4:5]
	s_delay_alu instid0(VALU_DEP_1)
	v_dual_cndmask_b32 v17, v17, v5, s14 :: v_dual_cndmask_b32 v16, v16, v4, s14
	v_dual_cndmask_b32 v19, v19, v5 :: v_dual_cndmask_b32 v18, v18, v4
	s_mov_b32 vcc_lo, s15
	s_wait_loadcnt 0x0
	scratch_store_b128 off, v[8:11], s91
	s_wait_xcnt 0x0
	s_mov_b32 s91, s57
	s_cbranch_vccnz .LBB8_2493
.LBB8_2494:                             ;   in Loop: Header=BB8_2421 Depth=3
	s_or_b32 exec_lo, exec_lo, s90
	scratch_load_b128 v[8:11], off, s33 offset:192
	s_wait_loadcnt 0x0
	v_lshlrev_b32_e32 v4, 16, v8
	s_delay_alu instid0(VALU_DEP_1) | instskip(NEXT) | instid1(VALU_DEP_1)
	v_mul_f32_e32 v4, v32, v4
	v_and_b32_e32 v5, 0x7f800000, v4
	s_delay_alu instid0(VALU_DEP_1) | instskip(SKIP_2) | instid1(SALU_CYCLE_1)
	v_cmp_ne_u32_e32 vcc_lo, 0x7f800000, v5
                                        ; implicit-def: $vgpr5
	s_wait_xcnt 0x0
	s_and_saveexec_b32 s14, vcc_lo
	s_xor_b32 s14, exec_lo, s14
; %bb.2495:                             ;   in Loop: Header=BB8_2421 Depth=3
	v_bfe_u32 v5, v4, 16, 1
	s_delay_alu instid0(VALU_DEP_1)
	v_add3_u32 v5, v4, v5, 0x7fff
                                        ; implicit-def: $vgpr4
; %bb.2496:                             ;   in Loop: Header=BB8_2421 Depth=3
	s_and_not1_saveexec_b32 s14, s14
; %bb.2497:                             ;   in Loop: Header=BB8_2421 Depth=3
	v_and_b32_e32 v5, 0xffff, v4
	v_or_b32_e32 v20, 0x10000, v4
	s_delay_alu instid0(VALU_DEP_2) | instskip(NEXT) | instid1(VALU_DEP_2)
	v_cmp_eq_u32_e32 vcc_lo, 0, v5
	v_cndmask_b32_e32 v5, v20, v4, vcc_lo
; %bb.2498:                             ;   in Loop: Header=BB8_2421 Depth=3
	s_or_b32 exec_lo, exec_lo, s14
	v_and_b32_e32 v4, 0xffff0000, v8
	s_mov_b32 s14, exec_lo
                                        ; implicit-def: $vgpr20
	s_delay_alu instid0(VALU_DEP_1) | instskip(NEXT) | instid1(VALU_DEP_1)
	v_mul_f32_e32 v4, v32, v4
	v_and_b32_e32 v8, 0x7f800000, v4
	s_delay_alu instid0(VALU_DEP_1)
	v_cmpx_ne_u32_e32 0x7f800000, v8
	s_xor_b32 s14, exec_lo, s14
; %bb.2499:                             ;   in Loop: Header=BB8_2421 Depth=3
	v_bfe_u32 v8, v4, 16, 1
	s_delay_alu instid0(VALU_DEP_1)
	v_add3_u32 v20, v4, v8, 0x7fff
                                        ; implicit-def: $vgpr4
; %bb.2500:                             ;   in Loop: Header=BB8_2421 Depth=3
	s_and_not1_saveexec_b32 s14, s14
; %bb.2501:                             ;   in Loop: Header=BB8_2421 Depth=3
	v_and_b32_e32 v8, 0xffff, v4
	v_or_b32_e32 v20, 0x10000, v4
	s_delay_alu instid0(VALU_DEP_2) | instskip(NEXT) | instid1(VALU_DEP_2)
	v_cmp_eq_u32_e32 vcc_lo, 0, v8
	v_cndmask_b32_e32 v20, v20, v4, vcc_lo
; %bb.2502:                             ;   in Loop: Header=BB8_2421 Depth=3
	s_or_b32 exec_lo, exec_lo, s14
	v_lshlrev_b32_e32 v4, 16, v9
	s_mov_b32 s14, exec_lo
                                        ; implicit-def: $vgpr35
	s_delay_alu instid0(VALU_DEP_1) | instskip(NEXT) | instid1(VALU_DEP_1)
	v_mul_f32_e32 v4, v32, v4
	v_and_b32_e32 v8, 0x7f800000, v4
	s_delay_alu instid0(VALU_DEP_1)
	v_cmpx_ne_u32_e32 0x7f800000, v8
	s_xor_b32 s14, exec_lo, s14
; %bb.2503:                             ;   in Loop: Header=BB8_2421 Depth=3
	v_bfe_u32 v8, v4, 16, 1
	s_delay_alu instid0(VALU_DEP_1)
	v_add3_u32 v35, v4, v8, 0x7fff
                                        ; implicit-def: $vgpr4
; %bb.2504:                             ;   in Loop: Header=BB8_2421 Depth=3
	s_and_not1_saveexec_b32 s14, s14
; %bb.2505:                             ;   in Loop: Header=BB8_2421 Depth=3
	v_and_b32_e32 v8, 0xffff, v4
	v_or_b32_e32 v21, 0x10000, v4
	s_delay_alu instid0(VALU_DEP_2) | instskip(NEXT) | instid1(VALU_DEP_2)
	v_cmp_eq_u32_e32 vcc_lo, 0, v8
	v_cndmask_b32_e32 v35, v21, v4, vcc_lo
; %bb.2506:                             ;   in Loop: Header=BB8_2421 Depth=3
	s_or_b32 exec_lo, exec_lo, s14
	v_and_b32_e32 v4, 0xffff0000, v9
	s_mov_b32 s14, exec_lo
                                        ; implicit-def: $vgpr33
	s_delay_alu instid0(VALU_DEP_1) | instskip(NEXT) | instid1(VALU_DEP_1)
	v_mul_f32_e32 v4, v32, v4
	v_and_b32_e32 v8, 0x7f800000, v4
	s_delay_alu instid0(VALU_DEP_1)
	v_cmpx_ne_u32_e32 0x7f800000, v8
	s_xor_b32 s14, exec_lo, s14
; %bb.2507:                             ;   in Loop: Header=BB8_2421 Depth=3
	v_bfe_u32 v8, v4, 16, 1
	s_delay_alu instid0(VALU_DEP_1)
	v_add3_u32 v33, v4, v8, 0x7fff
                                        ; implicit-def: $vgpr4
; %bb.2508:                             ;   in Loop: Header=BB8_2421 Depth=3
	s_and_not1_saveexec_b32 s14, s14
; %bb.2509:                             ;   in Loop: Header=BB8_2421 Depth=3
	v_and_b32_e32 v8, 0xffff, v4
	v_or_b32_e32 v9, 0x10000, v4
	s_delay_alu instid0(VALU_DEP_2) | instskip(NEXT) | instid1(VALU_DEP_2)
	v_cmp_eq_u32_e32 vcc_lo, 0, v8
	v_cndmask_b32_e32 v33, v9, v4, vcc_lo
; %bb.2510:                             ;   in Loop: Header=BB8_2421 Depth=3
	s_or_b32 exec_lo, exec_lo, s14
	v_lshlrev_b32_e32 v4, 16, v10
	s_mov_b32 s14, exec_lo
                                        ; implicit-def: $vgpr34
	s_delay_alu instid0(VALU_DEP_1) | instskip(NEXT) | instid1(VALU_DEP_1)
	v_mul_f32_e32 v4, v32, v4
	v_and_b32_e32 v8, 0x7f800000, v4
	s_delay_alu instid0(VALU_DEP_1)
	v_cmpx_ne_u32_e32 0x7f800000, v8
	s_xor_b32 s14, exec_lo, s14
; %bb.2511:                             ;   in Loop: Header=BB8_2421 Depth=3
	v_bfe_u32 v8, v4, 16, 1
	s_delay_alu instid0(VALU_DEP_1)
	v_add3_u32 v34, v4, v8, 0x7fff
                                        ; implicit-def: $vgpr4
; %bb.2512:                             ;   in Loop: Header=BB8_2421 Depth=3
	s_and_not1_saveexec_b32 s14, s14
; %bb.2513:                             ;   in Loop: Header=BB8_2421 Depth=3
	v_and_b32_e32 v8, 0xffff, v4
	v_or_b32_e32 v9, 0x10000, v4
	s_delay_alu instid0(VALU_DEP_2) | instskip(NEXT) | instid1(VALU_DEP_2)
	v_cmp_eq_u32_e32 vcc_lo, 0, v8
	v_cndmask_b32_e32 v34, v9, v4, vcc_lo
; %bb.2514:                             ;   in Loop: Header=BB8_2421 Depth=3
	s_or_b32 exec_lo, exec_lo, s14
	v_and_b32_e32 v4, 0xffff0000, v10
	s_mov_b32 s14, exec_lo
                                        ; implicit-def: $vgpr28
	s_delay_alu instid0(VALU_DEP_1) | instskip(NEXT) | instid1(VALU_DEP_1)
	v_mul_f32_e32 v4, v32, v4
	v_and_b32_e32 v8, 0x7f800000, v4
	s_delay_alu instid0(VALU_DEP_1)
	v_cmpx_ne_u32_e32 0x7f800000, v8
	s_xor_b32 s14, exec_lo, s14
; %bb.2515:                             ;   in Loop: Header=BB8_2421 Depth=3
	v_bfe_u32 v8, v4, 16, 1
	s_delay_alu instid0(VALU_DEP_1)
	v_add3_u32 v28, v4, v8, 0x7fff
                                        ; implicit-def: $vgpr4
; %bb.2516:                             ;   in Loop: Header=BB8_2421 Depth=3
	s_and_not1_saveexec_b32 s14, s14
; %bb.2517:                             ;   in Loop: Header=BB8_2421 Depth=3
	v_and_b32_e32 v8, 0xffff, v4
	v_or_b32_e32 v9, 0x10000, v4
	s_delay_alu instid0(VALU_DEP_2) | instskip(NEXT) | instid1(VALU_DEP_2)
	v_cmp_eq_u32_e32 vcc_lo, 0, v8
	v_cndmask_b32_e32 v28, v9, v4, vcc_lo
; %bb.2518:                             ;   in Loop: Header=BB8_2421 Depth=3
	s_or_b32 exec_lo, exec_lo, s14
	v_lshlrev_b32_e32 v4, 16, v11
	s_mov_b32 s14, exec_lo
                                        ; implicit-def: $vgpr29
	s_delay_alu instid0(VALU_DEP_1) | instskip(NEXT) | instid1(VALU_DEP_1)
	v_mul_f32_e32 v4, v32, v4
	v_and_b32_e32 v8, 0x7f800000, v4
	s_delay_alu instid0(VALU_DEP_1)
	v_cmpx_ne_u32_e32 0x7f800000, v8
	s_xor_b32 s14, exec_lo, s14
; %bb.2519:                             ;   in Loop: Header=BB8_2421 Depth=3
	v_bfe_u32 v8, v4, 16, 1
	s_delay_alu instid0(VALU_DEP_1)
	v_add3_u32 v29, v4, v8, 0x7fff
                                        ; implicit-def: $vgpr4
; %bb.2520:                             ;   in Loop: Header=BB8_2421 Depth=3
	s_and_not1_saveexec_b32 s14, s14
; %bb.2521:                             ;   in Loop: Header=BB8_2421 Depth=3
	v_and_b32_e32 v8, 0xffff, v4
	v_or_b32_e32 v9, 0x10000, v4
	s_delay_alu instid0(VALU_DEP_2) | instskip(NEXT) | instid1(VALU_DEP_2)
	v_cmp_eq_u32_e32 vcc_lo, 0, v8
	v_cndmask_b32_e32 v29, v9, v4, vcc_lo
; %bb.2522:                             ;   in Loop: Header=BB8_2421 Depth=3
	s_or_b32 exec_lo, exec_lo, s14
	v_and_b32_e32 v4, 0xffff0000, v11
	s_delay_alu instid0(VALU_DEP_1) | instskip(NEXT) | instid1(VALU_DEP_1)
	v_mul_f32_e32 v8, v32, v4
	v_and_b32_e32 v4, 0x7f800000, v8
	s_delay_alu instid0(VALU_DEP_1) | instskip(SKIP_1) | instid1(SALU_CYCLE_1)
	v_cmp_ne_u32_e32 vcc_lo, 0x7f800000, v4
                                        ; implicit-def: $vgpr4
	s_and_saveexec_b32 s14, vcc_lo
	s_xor_b32 s14, exec_lo, s14
; %bb.2523:                             ;   in Loop: Header=BB8_2421 Depth=3
	v_bfe_u32 v4, v8, 16, 1
	s_delay_alu instid0(VALU_DEP_1)
	v_add3_u32 v4, v8, v4, 0x7fff
                                        ; implicit-def: $vgpr8
; %bb.2524:                             ;   in Loop: Header=BB8_2421 Depth=3
	s_and_not1_saveexec_b32 s14, s14
; %bb.2525:                             ;   in Loop: Header=BB8_2421 Depth=3
	v_and_b32_e32 v4, 0xffff, v8
	v_or_b32_e32 v9, 0x10000, v8
	s_delay_alu instid0(VALU_DEP_2) | instskip(NEXT) | instid1(VALU_DEP_2)
	v_cmp_eq_u32_e32 vcc_lo, 0, v4
	v_cndmask_b32_e32 v4, v9, v8, vcc_lo
; %bb.2526:                             ;   in Loop: Header=BB8_2421 Depth=3
	s_or_b32 exec_lo, exec_lo, s14
	scratch_load_b128 v[8:11], off, s33 offset:208
	v_and_b32_e32 v5, 0xffff0000, v5
	s_wait_loadcnt 0x0
	v_lshlrev_b32_e32 v21, 16, v8
	s_delay_alu instid0(VALU_DEP_1) | instskip(NEXT) | instid1(VALU_DEP_1)
	v_add_f32_e32 v21, v5, v21
	v_and_b32_e32 v5, 0x7f800000, v21
	s_delay_alu instid0(VALU_DEP_1) | instskip(SKIP_2) | instid1(SALU_CYCLE_1)
	v_cmp_ne_u32_e32 vcc_lo, 0x7f800000, v5
                                        ; implicit-def: $vgpr5
	s_wait_xcnt 0x0
	s_and_saveexec_b32 s14, vcc_lo
	s_xor_b32 s14, exec_lo, s14
; %bb.2527:                             ;   in Loop: Header=BB8_2421 Depth=3
	v_bfe_u32 v5, v21, 16, 1
	s_delay_alu instid0(VALU_DEP_1)
	v_add3_u32 v5, v21, v5, 0x7fff
                                        ; implicit-def: $vgpr21
; %bb.2528:                             ;   in Loop: Header=BB8_2421 Depth=3
	s_and_not1_saveexec_b32 s14, s14
; %bb.2529:                             ;   in Loop: Header=BB8_2421 Depth=3
	v_and_b32_e32 v5, 0xffff, v21
	v_or_b32_e32 v36, 0x10000, v21
	s_delay_alu instid0(VALU_DEP_2) | instskip(NEXT) | instid1(VALU_DEP_2)
	v_cmp_eq_u32_e32 vcc_lo, 0, v5
	v_cndmask_b32_e32 v5, v36, v21, vcc_lo
; %bb.2530:                             ;   in Loop: Header=BB8_2421 Depth=3
	s_or_b32 exec_lo, exec_lo, s14
	v_and_b32_e32 v21, 0xffff0000, v8
	v_and_b32_e32 v20, 0xffff0000, v20
	s_delay_alu instid0(VALU_DEP_2) | instskip(NEXT) | instid1(VALU_DEP_1)
	v_mov_b32_e32 v8, v21
	v_pk_add_f32 v[20:21], v[8:9], v[20:21]
	s_delay_alu instid0(VALU_DEP_1) | instskip(NEXT) | instid1(VALU_DEP_1)
	v_and_b32_e32 v8, 0x7f800000, v20
	v_cmp_ne_u32_e32 vcc_lo, 0x7f800000, v8
                                        ; implicit-def: $vgpr8
	s_and_saveexec_b32 s14, vcc_lo
	s_delay_alu instid0(SALU_CYCLE_1)
	s_xor_b32 s14, exec_lo, s14
; %bb.2531:                             ;   in Loop: Header=BB8_2421 Depth=3
	v_bfe_u32 v8, v20, 16, 1
	s_delay_alu instid0(VALU_DEP_1)
	v_add3_u32 v8, v20, v8, 0x7fff
                                        ; implicit-def: $vgpr20_vgpr21
; %bb.2532:                             ;   in Loop: Header=BB8_2421 Depth=3
	s_and_not1_saveexec_b32 s14, s14
; %bb.2533:                             ;   in Loop: Header=BB8_2421 Depth=3
	v_and_b32_e32 v8, 0xffff, v20
	v_or_b32_e32 v21, 0x10000, v20
	s_delay_alu instid0(VALU_DEP_2) | instskip(NEXT) | instid1(VALU_DEP_2)
	v_cmp_eq_u32_e32 vcc_lo, 0, v8
	v_cndmask_b32_e32 v8, v21, v20, vcc_lo
; %bb.2534:                             ;   in Loop: Header=BB8_2421 Depth=3
	s_or_b32 exec_lo, exec_lo, s14
	v_and_b32_e32 v20, 0xffff0000, v35
	v_lshlrev_b32_e32 v21, 16, v9
	s_delay_alu instid0(VALU_DEP_1) | instskip(NEXT) | instid1(VALU_DEP_1)
	v_add_f32_e32 v21, v20, v21
	v_and_b32_e32 v20, 0x7f800000, v21
	s_delay_alu instid0(VALU_DEP_1) | instskip(SKIP_1) | instid1(SALU_CYCLE_1)
	v_cmp_ne_u32_e32 vcc_lo, 0x7f800000, v20
                                        ; implicit-def: $vgpr20
	s_and_saveexec_b32 s14, vcc_lo
	s_xor_b32 s14, exec_lo, s14
; %bb.2535:                             ;   in Loop: Header=BB8_2421 Depth=3
	v_bfe_u32 v20, v21, 16, 1
	s_delay_alu instid0(VALU_DEP_1)
	v_add3_u32 v20, v21, v20, 0x7fff
                                        ; implicit-def: $vgpr21
; %bb.2536:                             ;   in Loop: Header=BB8_2421 Depth=3
	s_and_not1_saveexec_b32 s14, s14
; %bb.2537:                             ;   in Loop: Header=BB8_2421 Depth=3
	v_and_b32_e32 v20, 0xffff, v21
	v_or_b32_e32 v35, 0x10000, v21
	s_delay_alu instid0(VALU_DEP_2) | instskip(NEXT) | instid1(VALU_DEP_2)
	v_cmp_eq_u32_e32 vcc_lo, 0, v20
	v_cndmask_b32_e32 v20, v35, v21, vcc_lo
; %bb.2538:                             ;   in Loop: Header=BB8_2421 Depth=3
	s_or_b32 exec_lo, exec_lo, s14
	v_and_b32_e32 v9, 0xffff0000, v9
	v_and_b32_e32 v21, 0xffff0000, v33
	s_delay_alu instid0(VALU_DEP_1) | instskip(NEXT) | instid1(VALU_DEP_1)
	v_add_f32_e32 v21, v21, v9
	v_and_b32_e32 v9, 0x7f800000, v21
	s_delay_alu instid0(VALU_DEP_1) | instskip(SKIP_1) | instid1(SALU_CYCLE_1)
	v_cmp_ne_u32_e32 vcc_lo, 0x7f800000, v9
                                        ; implicit-def: $vgpr9
	s_and_saveexec_b32 s14, vcc_lo
	s_xor_b32 s14, exec_lo, s14
; %bb.2539:                             ;   in Loop: Header=BB8_2421 Depth=3
	v_bfe_u32 v9, v21, 16, 1
	s_delay_alu instid0(VALU_DEP_1)
	v_add3_u32 v9, v21, v9, 0x7fff
                                        ; implicit-def: $vgpr21
; %bb.2540:                             ;   in Loop: Header=BB8_2421 Depth=3
	s_and_not1_saveexec_b32 s14, s14
; %bb.2541:                             ;   in Loop: Header=BB8_2421 Depth=3
	v_and_b32_e32 v9, 0xffff, v21
	v_or_b32_e32 v33, 0x10000, v21
	s_delay_alu instid0(VALU_DEP_2) | instskip(NEXT) | instid1(VALU_DEP_2)
	v_cmp_eq_u32_e32 vcc_lo, 0, v9
	v_cndmask_b32_e32 v9, v33, v21, vcc_lo
; %bb.2542:                             ;   in Loop: Header=BB8_2421 Depth=3
	s_or_b32 exec_lo, exec_lo, s14
	v_and_b32_e32 v21, 0xffff0000, v34
	v_lshlrev_b32_e32 v33, 16, v10
	s_delay_alu instid0(VALU_DEP_1) | instskip(NEXT) | instid1(VALU_DEP_1)
	v_add_f32_e32 v33, v21, v33
	v_and_b32_e32 v21, 0x7f800000, v33
	s_delay_alu instid0(VALU_DEP_1) | instskip(SKIP_1) | instid1(SALU_CYCLE_1)
	v_cmp_ne_u32_e32 vcc_lo, 0x7f800000, v21
                                        ; implicit-def: $vgpr21
	s_and_saveexec_b32 s14, vcc_lo
	s_xor_b32 s14, exec_lo, s14
; %bb.2543:                             ;   in Loop: Header=BB8_2421 Depth=3
	v_bfe_u32 v21, v33, 16, 1
	s_delay_alu instid0(VALU_DEP_1)
	v_add3_u32 v21, v33, v21, 0x7fff
                                        ; implicit-def: $vgpr33
; %bb.2544:                             ;   in Loop: Header=BB8_2421 Depth=3
	s_and_not1_saveexec_b32 s14, s14
; %bb.2545:                             ;   in Loop: Header=BB8_2421 Depth=3
	v_and_b32_e32 v21, 0xffff, v33
	v_or_b32_e32 v34, 0x10000, v33
	s_delay_alu instid0(VALU_DEP_2) | instskip(NEXT) | instid1(VALU_DEP_2)
	v_cmp_eq_u32_e32 vcc_lo, 0, v21
	v_cndmask_b32_e32 v21, v34, v33, vcc_lo
; %bb.2546:                             ;   in Loop: Header=BB8_2421 Depth=3
	s_or_b32 exec_lo, exec_lo, s14
	v_and_b32_e32 v10, 0xffff0000, v10
	v_and_b32_e32 v28, 0xffff0000, v28
	s_delay_alu instid0(VALU_DEP_1) | instskip(NEXT) | instid1(VALU_DEP_1)
	v_add_f32_e32 v28, v28, v10
	v_and_b32_e32 v10, 0x7f800000, v28
	s_delay_alu instid0(VALU_DEP_1) | instskip(SKIP_1) | instid1(SALU_CYCLE_1)
	v_cmp_ne_u32_e32 vcc_lo, 0x7f800000, v10
                                        ; implicit-def: $vgpr10
	s_and_saveexec_b32 s14, vcc_lo
	s_xor_b32 s14, exec_lo, s14
; %bb.2547:                             ;   in Loop: Header=BB8_2421 Depth=3
	v_bfe_u32 v10, v28, 16, 1
	s_delay_alu instid0(VALU_DEP_1)
	v_add3_u32 v10, v28, v10, 0x7fff
                                        ; implicit-def: $vgpr28
; %bb.2548:                             ;   in Loop: Header=BB8_2421 Depth=3
	s_and_not1_saveexec_b32 s14, s14
; %bb.2549:                             ;   in Loop: Header=BB8_2421 Depth=3
	v_and_b32_e32 v10, 0xffff, v28
	v_or_b32_e32 v33, 0x10000, v28
	s_delay_alu instid0(VALU_DEP_2) | instskip(NEXT) | instid1(VALU_DEP_2)
	v_cmp_eq_u32_e32 vcc_lo, 0, v10
	v_cndmask_b32_e32 v10, v33, v28, vcc_lo
; %bb.2550:                             ;   in Loop: Header=BB8_2421 Depth=3
	s_or_b32 exec_lo, exec_lo, s14
	v_and_b32_e32 v28, 0xffff0000, v29
	v_lshlrev_b32_e32 v29, 16, v11
	s_delay_alu instid0(VALU_DEP_1) | instskip(NEXT) | instid1(VALU_DEP_1)
	v_add_f32_e32 v29, v28, v29
	v_and_b32_e32 v28, 0x7f800000, v29
	s_delay_alu instid0(VALU_DEP_1) | instskip(SKIP_1) | instid1(SALU_CYCLE_1)
	v_cmp_ne_u32_e32 vcc_lo, 0x7f800000, v28
                                        ; implicit-def: $vgpr28
	s_and_saveexec_b32 s14, vcc_lo
	s_xor_b32 s14, exec_lo, s14
; %bb.2551:                             ;   in Loop: Header=BB8_2421 Depth=3
	v_bfe_u32 v28, v29, 16, 1
	s_delay_alu instid0(VALU_DEP_1)
	v_add3_u32 v28, v29, v28, 0x7fff
                                        ; implicit-def: $vgpr29
; %bb.2552:                             ;   in Loop: Header=BB8_2421 Depth=3
	s_and_not1_saveexec_b32 s14, s14
; %bb.2553:                             ;   in Loop: Header=BB8_2421 Depth=3
	v_and_b32_e32 v28, 0xffff, v29
	v_or_b32_e32 v33, 0x10000, v29
	s_delay_alu instid0(VALU_DEP_2) | instskip(NEXT) | instid1(VALU_DEP_2)
	v_cmp_eq_u32_e32 vcc_lo, 0, v28
	v_cndmask_b32_e32 v28, v33, v29, vcc_lo
; %bb.2554:                             ;   in Loop: Header=BB8_2421 Depth=3
	s_or_b32 exec_lo, exec_lo, s14
	v_and_b32_e32 v11, 0xffff0000, v11
	v_and_b32_e32 v4, 0xffff0000, v4
	s_delay_alu instid0(VALU_DEP_1) | instskip(NEXT) | instid1(VALU_DEP_1)
	v_add_f32_e32 v11, v4, v11
	v_and_b32_e32 v4, 0x7f800000, v11
	s_delay_alu instid0(VALU_DEP_1) | instskip(SKIP_1) | instid1(SALU_CYCLE_1)
	v_cmp_ne_u32_e32 vcc_lo, 0x7f800000, v4
                                        ; implicit-def: $vgpr4
	s_and_saveexec_b32 s14, vcc_lo
	s_xor_b32 s14, exec_lo, s14
; %bb.2555:                             ;   in Loop: Header=BB8_2421 Depth=3
	v_bfe_u32 v4, v11, 16, 1
	s_delay_alu instid0(VALU_DEP_1)
	v_add3_u32 v4, v11, v4, 0x7fff
                                        ; implicit-def: $vgpr11
; %bb.2556:                             ;   in Loop: Header=BB8_2421 Depth=3
	s_and_not1_saveexec_b32 s14, s14
; %bb.2557:                             ;   in Loop: Header=BB8_2421 Depth=3
	v_and_b32_e32 v4, 0xffff, v11
	v_or_b32_e32 v29, 0x10000, v11
	s_delay_alu instid0(VALU_DEP_2) | instskip(NEXT) | instid1(VALU_DEP_2)
	v_cmp_eq_u32_e32 vcc_lo, 0, v4
	v_cndmask_b32_e32 v4, v29, v11, vcc_lo
; %bb.2558:                             ;   in Loop: Header=BB8_2421 Depth=3
	s_or_b32 exec_lo, exec_lo, s14
	v_dual_lshrrev_b32 v11, 16, v20 :: v_dual_lshrrev_b32 v5, 16, v5
	v_dual_lshrrev_b32 v20, 16, v21 :: v_dual_lshrrev_b32 v21, 16, v28
	s_mov_b64 s[40:41], 0
	s_delay_alu instid0(VALU_DEP_2) | instskip(NEXT) | instid1(VALU_DEP_3)
	v_and_or_b32 v9, 0xffff0000, v9, v11
	v_and_or_b32 v8, 0xffff0000, v8, v5
	s_delay_alu instid0(VALU_DEP_3)
	v_and_or_b32 v10, 0xffff0000, v10, v20
	v_and_or_b32 v11, 0xffff0000, v4, v21
	s_mov_b32 s90, -1
	scratch_store_b128 off, v[8:11], s33 offset:192
.LBB8_2559:                             ;   Parent Loop BB8_47 Depth=1
                                        ;     Parent Loop BB8_1943 Depth=2
                                        ;       Parent Loop BB8_2421 Depth=3
                                        ; =>      This Inner Loop Header: Depth=4
	s_cmp_eq_u32 s40, 1
	s_cselect_b32 vcc_lo, -1, 0
	s_cmp_eq_u32 s40, 0
	s_wait_xcnt 0x0
	v_dual_cndmask_b32 v5, v13, v15 :: v_dual_cndmask_b32 v4, v12, v14
	s_cselect_b32 s14, -1, 0
	s_and_b32 s15, exec_lo, s90
	s_mov_b64 s[40:41], 1
	s_mov_b32 s90, 0
	v_add_nc_u64_e32 v[20:21], 0x200, v[4:5]
	global_store_b128 v[4:5], v[8:11], off th:TH_STORE_NT
	v_dual_cndmask_b32 v15, v15, v21 :: v_dual_cndmask_b32 v14, v14, v20
	v_dual_cndmask_b32 v13, v13, v21, s14 :: v_dual_cndmask_b32 v12, v12, v20, s14
	s_mov_b32 vcc_lo, s15
	s_cbranch_vccnz .LBB8_2559
; %bb.2560:                             ;   in Loop: Header=BB8_2421 Depth=3
	v_sub_nc_u32_e32 v27, v27, v84
	s_wait_xcnt 0x0
	s_and_saveexec_b32 s14, s89
	s_cbranch_execz .LBB8_2420
; %bb.2561:                             ;   in Loop: Header=BB8_2421 Depth=3
	v_add_nc_u64_e32 v[12:13], v[12:13], v[116:117]
	v_add_nc_u64_e32 v[14:15], v[14:15], v[116:117]
	;; [unrolled: 1-line block ×4, first 2 shown]
	v_sub_nc_u32_e32 v23, v23, v122
	v_sub_nc_u32_e32 v27, v27, v84
	s_branch .LBB8_2420
.LBB8_2562:                             ;   in Loop: Header=BB8_1943 Depth=2
	s_or_b32 exec_lo, exec_lo, s79
	s_delay_alu instid0(SALU_CYCLE_1)
	s_and_b32 s14, s88, exec_lo
.LBB8_2563:                             ;   in Loop: Header=BB8_1943 Depth=2
	s_or_b32 exec_lo, exec_lo, s78
	s_and_saveexec_b32 s78, s14
	s_cbranch_execz .LBB8_2630
; %bb.2564:                             ;   in Loop: Header=BB8_1943 Depth=2
	s_trap 2
	scratch_load_b128 v[8:11], off, s33 offset:224
	ds_load_b32 v4, v0
	s_wait_dscnt 0x0
	v_lshlrev_b32_e32 v4, 16, v4
	s_wait_loadcnt 0x0
	v_lshlrev_b32_e32 v5, 16, v8
	s_delay_alu instid0(VALU_DEP_1) | instskip(NEXT) | instid1(VALU_DEP_1)
	v_mul_f32_e32 v16, v4, v5
	v_and_b32_e32 v5, 0x7f800000, v16
	s_delay_alu instid0(VALU_DEP_1) | instskip(SKIP_2) | instid1(SALU_CYCLE_1)
	v_cmp_ne_u32_e32 vcc_lo, 0x7f800000, v5
                                        ; implicit-def: $vgpr5
	s_wait_xcnt 0x0
	s_and_saveexec_b32 s14, vcc_lo
	s_xor_b32 s14, exec_lo, s14
; %bb.2565:                             ;   in Loop: Header=BB8_1943 Depth=2
	v_bfe_u32 v5, v16, 16, 1
	s_delay_alu instid0(VALU_DEP_1)
	v_add3_u32 v5, v16, v5, 0x7fff
                                        ; implicit-def: $vgpr16
; %bb.2566:                             ;   in Loop: Header=BB8_1943 Depth=2
	s_and_not1_saveexec_b32 s14, s14
; %bb.2567:                             ;   in Loop: Header=BB8_1943 Depth=2
	v_and_b32_e32 v5, 0xffff, v16
	v_or_b32_e32 v17, 0x10000, v16
	s_delay_alu instid0(VALU_DEP_2) | instskip(NEXT) | instid1(VALU_DEP_2)
	v_cmp_eq_u32_e32 vcc_lo, 0, v5
	v_cndmask_b32_e32 v5, v17, v16, vcc_lo
; %bb.2568:                             ;   in Loop: Header=BB8_1943 Depth=2
	s_or_b32 exec_lo, exec_lo, s14
	v_and_b32_e32 v8, 0xffff0000, v8
	s_delay_alu instid0(VALU_DEP_1) | instskip(NEXT) | instid1(VALU_DEP_1)
	v_mul_f32_e32 v8, v4, v8
	v_and_b32_e32 v16, 0x7f800000, v8
	s_delay_alu instid0(VALU_DEP_1) | instskip(SKIP_1) | instid1(SALU_CYCLE_1)
	v_cmp_ne_u32_e32 vcc_lo, 0x7f800000, v16
                                        ; implicit-def: $vgpr16
	s_and_saveexec_b32 s14, vcc_lo
	s_xor_b32 s14, exec_lo, s14
; %bb.2569:                             ;   in Loop: Header=BB8_1943 Depth=2
	v_bfe_u32 v16, v8, 16, 1
	s_delay_alu instid0(VALU_DEP_1)
	v_add3_u32 v16, v8, v16, 0x7fff
                                        ; implicit-def: $vgpr8
; %bb.2570:                             ;   in Loop: Header=BB8_1943 Depth=2
	s_and_not1_saveexec_b32 s14, s14
; %bb.2571:                             ;   in Loop: Header=BB8_1943 Depth=2
	v_and_b32_e32 v16, 0xffff, v8
	v_or_b32_e32 v17, 0x10000, v8
	s_delay_alu instid0(VALU_DEP_2) | instskip(NEXT) | instid1(VALU_DEP_2)
	v_cmp_eq_u32_e32 vcc_lo, 0, v16
	v_cndmask_b32_e32 v16, v17, v8, vcc_lo
; %bb.2572:                             ;   in Loop: Header=BB8_1943 Depth=2
	s_or_b32 exec_lo, exec_lo, s14
	v_lshlrev_b32_e32 v8, 16, v9
	s_mov_b32 s14, exec_lo
                                        ; implicit-def: $vgpr23
	s_delay_alu instid0(VALU_DEP_1) | instskip(NEXT) | instid1(VALU_DEP_1)
	v_mul_f32_e32 v8, v4, v8
	v_and_b32_e32 v17, 0x7f800000, v8
	s_delay_alu instid0(VALU_DEP_1)
	v_cmpx_ne_u32_e32 0x7f800000, v17
	s_xor_b32 s14, exec_lo, s14
; %bb.2573:                             ;   in Loop: Header=BB8_1943 Depth=2
	v_bfe_u32 v17, v8, 16, 1
	s_delay_alu instid0(VALU_DEP_1)
	v_add3_u32 v23, v8, v17, 0x7fff
                                        ; implicit-def: $vgpr8
; %bb.2574:                             ;   in Loop: Header=BB8_1943 Depth=2
	s_and_not1_saveexec_b32 s14, s14
; %bb.2575:                             ;   in Loop: Header=BB8_1943 Depth=2
	v_and_b32_e32 v17, 0xffff, v8
	v_or_b32_e32 v18, 0x10000, v8
	s_delay_alu instid0(VALU_DEP_2) | instskip(NEXT) | instid1(VALU_DEP_2)
	v_cmp_eq_u32_e32 vcc_lo, 0, v17
	v_cndmask_b32_e32 v23, v18, v8, vcc_lo
; %bb.2576:                             ;   in Loop: Header=BB8_1943 Depth=2
	s_or_b32 exec_lo, exec_lo, s14
	v_and_b32_e32 v8, 0xffff0000, v9
	s_mov_b32 s14, exec_lo
                                        ; implicit-def: $vgpr20
	s_delay_alu instid0(VALU_DEP_1) | instskip(NEXT) | instid1(VALU_DEP_1)
	v_mul_f32_e32 v8, v4, v8
	v_and_b32_e32 v9, 0x7f800000, v8
	s_delay_alu instid0(VALU_DEP_1)
	v_cmpx_ne_u32_e32 0x7f800000, v9
	s_xor_b32 s14, exec_lo, s14
; %bb.2577:                             ;   in Loop: Header=BB8_1943 Depth=2
	v_bfe_u32 v9, v8, 16, 1
	s_delay_alu instid0(VALU_DEP_1)
	v_add3_u32 v20, v8, v9, 0x7fff
                                        ; implicit-def: $vgpr8
; %bb.2578:                             ;   in Loop: Header=BB8_1943 Depth=2
	s_and_not1_saveexec_b32 s14, s14
; %bb.2579:                             ;   in Loop: Header=BB8_1943 Depth=2
	v_and_b32_e32 v9, 0xffff, v8
	v_or_b32_e32 v17, 0x10000, v8
	s_delay_alu instid0(VALU_DEP_2) | instskip(NEXT) | instid1(VALU_DEP_2)
	v_cmp_eq_u32_e32 vcc_lo, 0, v9
	v_cndmask_b32_e32 v20, v17, v8, vcc_lo
; %bb.2580:                             ;   in Loop: Header=BB8_1943 Depth=2
	s_or_b32 exec_lo, exec_lo, s14
	v_lshlrev_b32_e32 v8, 16, v10
	s_mov_b32 s14, exec_lo
                                        ; implicit-def: $vgpr21
	s_delay_alu instid0(VALU_DEP_1) | instskip(NEXT) | instid1(VALU_DEP_1)
	v_mul_f32_e32 v8, v4, v8
	v_and_b32_e32 v9, 0x7f800000, v8
	s_delay_alu instid0(VALU_DEP_1)
	v_cmpx_ne_u32_e32 0x7f800000, v9
	s_xor_b32 s14, exec_lo, s14
; %bb.2581:                             ;   in Loop: Header=BB8_1943 Depth=2
	v_bfe_u32 v9, v8, 16, 1
	s_delay_alu instid0(VALU_DEP_1)
	v_add3_u32 v21, v8, v9, 0x7fff
                                        ; implicit-def: $vgpr8
; %bb.2582:                             ;   in Loop: Header=BB8_1943 Depth=2
	s_and_not1_saveexec_b32 s14, s14
; %bb.2583:                             ;   in Loop: Header=BB8_1943 Depth=2
	v_and_b32_e32 v9, 0xffff, v8
	v_or_b32_e32 v17, 0x10000, v8
	s_delay_alu instid0(VALU_DEP_2) | instskip(NEXT) | instid1(VALU_DEP_2)
	v_cmp_eq_u32_e32 vcc_lo, 0, v9
	v_cndmask_b32_e32 v21, v17, v8, vcc_lo
; %bb.2584:                             ;   in Loop: Header=BB8_1943 Depth=2
	s_or_b32 exec_lo, exec_lo, s14
	v_and_b32_e32 v8, 0xffff0000, v10
	s_mov_b32 s14, exec_lo
                                        ; implicit-def: $vgpr18
	s_delay_alu instid0(VALU_DEP_1) | instskip(NEXT) | instid1(VALU_DEP_1)
	v_mul_f32_e32 v8, v4, v8
	v_and_b32_e32 v9, 0x7f800000, v8
	s_delay_alu instid0(VALU_DEP_1)
	v_cmpx_ne_u32_e32 0x7f800000, v9
	s_xor_b32 s14, exec_lo, s14
; %bb.2585:                             ;   in Loop: Header=BB8_1943 Depth=2
	v_bfe_u32 v9, v8, 16, 1
	s_delay_alu instid0(VALU_DEP_1)
	v_add3_u32 v18, v8, v9, 0x7fff
                                        ; implicit-def: $vgpr8
; %bb.2586:                             ;   in Loop: Header=BB8_1943 Depth=2
	s_and_not1_saveexec_b32 s14, s14
; %bb.2587:                             ;   in Loop: Header=BB8_1943 Depth=2
	v_and_b32_e32 v9, 0xffff, v8
	v_or_b32_e32 v10, 0x10000, v8
	s_delay_alu instid0(VALU_DEP_2) | instskip(NEXT) | instid1(VALU_DEP_2)
	v_cmp_eq_u32_e32 vcc_lo, 0, v9
	v_cndmask_b32_e32 v18, v10, v8, vcc_lo
; %bb.2588:                             ;   in Loop: Header=BB8_1943 Depth=2
	s_or_b32 exec_lo, exec_lo, s14
	v_lshlrev_b32_e32 v8, 16, v11
	s_mov_b32 s14, exec_lo
                                        ; implicit-def: $vgpr19
	s_delay_alu instid0(VALU_DEP_1) | instskip(NEXT) | instid1(VALU_DEP_1)
	v_mul_f32_e32 v8, v4, v8
	v_and_b32_e32 v9, 0x7f800000, v8
	s_delay_alu instid0(VALU_DEP_1)
	v_cmpx_ne_u32_e32 0x7f800000, v9
	s_xor_b32 s14, exec_lo, s14
; %bb.2589:                             ;   in Loop: Header=BB8_1943 Depth=2
	v_bfe_u32 v9, v8, 16, 1
	s_delay_alu instid0(VALU_DEP_1)
	v_add3_u32 v19, v8, v9, 0x7fff
                                        ; implicit-def: $vgpr8
; %bb.2590:                             ;   in Loop: Header=BB8_1943 Depth=2
	s_and_not1_saveexec_b32 s14, s14
; %bb.2591:                             ;   in Loop: Header=BB8_1943 Depth=2
	v_and_b32_e32 v9, 0xffff, v8
	v_or_b32_e32 v10, 0x10000, v8
	s_delay_alu instid0(VALU_DEP_2) | instskip(NEXT) | instid1(VALU_DEP_2)
	v_cmp_eq_u32_e32 vcc_lo, 0, v9
	v_cndmask_b32_e32 v19, v10, v8, vcc_lo
; %bb.2592:                             ;   in Loop: Header=BB8_1943 Depth=2
	s_or_b32 exec_lo, exec_lo, s14
	v_and_b32_e32 v8, 0xffff0000, v11
	s_delay_alu instid0(VALU_DEP_1) | instskip(NEXT) | instid1(VALU_DEP_1)
	v_mul_f32_e32 v8, v4, v8
	v_and_b32_e32 v4, 0x7f800000, v8
	s_delay_alu instid0(VALU_DEP_1) | instskip(SKIP_1) | instid1(SALU_CYCLE_1)
	v_cmp_ne_u32_e32 vcc_lo, 0x7f800000, v4
                                        ; implicit-def: $vgpr4
	s_and_saveexec_b32 s14, vcc_lo
	s_xor_b32 s14, exec_lo, s14
; %bb.2593:                             ;   in Loop: Header=BB8_1943 Depth=2
	v_bfe_u32 v4, v8, 16, 1
	s_delay_alu instid0(VALU_DEP_1)
	v_add3_u32 v4, v8, v4, 0x7fff
                                        ; implicit-def: $vgpr8
; %bb.2594:                             ;   in Loop: Header=BB8_1943 Depth=2
	s_and_not1_saveexec_b32 s14, s14
; %bb.2595:                             ;   in Loop: Header=BB8_1943 Depth=2
	v_and_b32_e32 v4, 0xffff, v8
	v_or_b32_e32 v9, 0x10000, v8
	s_delay_alu instid0(VALU_DEP_2) | instskip(NEXT) | instid1(VALU_DEP_2)
	v_cmp_eq_u32_e32 vcc_lo, 0, v4
	v_cndmask_b32_e32 v4, v9, v8, vcc_lo
; %bb.2596:                             ;   in Loop: Header=BB8_1943 Depth=2
	s_or_b32 exec_lo, exec_lo, s14
	scratch_load_b128 v[8:11], off, s33 offset:240
	v_and_b32_e32 v5, 0xffff0000, v5
	s_wait_loadcnt 0x0
	v_lshlrev_b32_e32 v17, 16, v8
	s_delay_alu instid0(VALU_DEP_1) | instskip(NEXT) | instid1(VALU_DEP_1)
	v_add_f32_e32 v17, v5, v17
	v_and_b32_e32 v5, 0x7f800000, v17
	s_delay_alu instid0(VALU_DEP_1) | instskip(SKIP_2) | instid1(SALU_CYCLE_1)
	v_cmp_ne_u32_e32 vcc_lo, 0x7f800000, v5
                                        ; implicit-def: $vgpr5
	s_wait_xcnt 0x0
	s_and_saveexec_b32 s14, vcc_lo
	s_xor_b32 s14, exec_lo, s14
; %bb.2597:                             ;   in Loop: Header=BB8_1943 Depth=2
	v_bfe_u32 v5, v17, 16, 1
	s_delay_alu instid0(VALU_DEP_1)
	v_add3_u32 v5, v17, v5, 0x7fff
                                        ; implicit-def: $vgpr17
; %bb.2598:                             ;   in Loop: Header=BB8_1943 Depth=2
	s_and_not1_saveexec_b32 s14, s14
; %bb.2599:                             ;   in Loop: Header=BB8_1943 Depth=2
	v_and_b32_e32 v5, 0xffff, v17
	v_or_b32_e32 v28, 0x10000, v17
	s_delay_alu instid0(VALU_DEP_2) | instskip(NEXT) | instid1(VALU_DEP_2)
	v_cmp_eq_u32_e32 vcc_lo, 0, v5
	v_cndmask_b32_e32 v5, v28, v17, vcc_lo
; %bb.2600:                             ;   in Loop: Header=BB8_1943 Depth=2
	s_or_b32 exec_lo, exec_lo, s14
	v_and_b32_e32 v17, 0xffff0000, v8
	v_and_b32_e32 v16, 0xffff0000, v16
	s_delay_alu instid0(VALU_DEP_2) | instskip(NEXT) | instid1(VALU_DEP_1)
	v_mov_b32_e32 v8, v17
	v_pk_add_f32 v[16:17], v[8:9], v[16:17]
	s_delay_alu instid0(VALU_DEP_1) | instskip(NEXT) | instid1(VALU_DEP_1)
	v_and_b32_e32 v8, 0x7f800000, v16
	v_cmp_ne_u32_e32 vcc_lo, 0x7f800000, v8
                                        ; implicit-def: $vgpr8
	s_and_saveexec_b32 s14, vcc_lo
	s_delay_alu instid0(SALU_CYCLE_1)
	s_xor_b32 s14, exec_lo, s14
; %bb.2601:                             ;   in Loop: Header=BB8_1943 Depth=2
	v_bfe_u32 v8, v16, 16, 1
	s_delay_alu instid0(VALU_DEP_1)
	v_add3_u32 v8, v16, v8, 0x7fff
                                        ; implicit-def: $vgpr16_vgpr17
; %bb.2602:                             ;   in Loop: Header=BB8_1943 Depth=2
	s_and_not1_saveexec_b32 s14, s14
; %bb.2603:                             ;   in Loop: Header=BB8_1943 Depth=2
	v_and_b32_e32 v8, 0xffff, v16
	v_or_b32_e32 v17, 0x10000, v16
	s_delay_alu instid0(VALU_DEP_2) | instskip(NEXT) | instid1(VALU_DEP_2)
	v_cmp_eq_u32_e32 vcc_lo, 0, v8
	v_cndmask_b32_e32 v8, v17, v16, vcc_lo
; %bb.2604:                             ;   in Loop: Header=BB8_1943 Depth=2
	s_or_b32 exec_lo, exec_lo, s14
	v_and_b32_e32 v16, 0xffff0000, v23
	v_lshlrev_b32_e32 v17, 16, v9
	s_delay_alu instid0(VALU_DEP_1) | instskip(NEXT) | instid1(VALU_DEP_1)
	v_add_f32_e32 v17, v16, v17
	v_and_b32_e32 v16, 0x7f800000, v17
	s_delay_alu instid0(VALU_DEP_1) | instskip(SKIP_1) | instid1(SALU_CYCLE_1)
	v_cmp_ne_u32_e32 vcc_lo, 0x7f800000, v16
                                        ; implicit-def: $vgpr16
	s_and_saveexec_b32 s14, vcc_lo
	s_xor_b32 s14, exec_lo, s14
; %bb.2605:                             ;   in Loop: Header=BB8_1943 Depth=2
	v_bfe_u32 v16, v17, 16, 1
	s_delay_alu instid0(VALU_DEP_1)
	v_add3_u32 v16, v17, v16, 0x7fff
                                        ; implicit-def: $vgpr17
; %bb.2606:                             ;   in Loop: Header=BB8_1943 Depth=2
	s_and_not1_saveexec_b32 s14, s14
; %bb.2607:                             ;   in Loop: Header=BB8_1943 Depth=2
	v_and_b32_e32 v16, 0xffff, v17
	v_or_b32_e32 v23, 0x10000, v17
	s_delay_alu instid0(VALU_DEP_2) | instskip(NEXT) | instid1(VALU_DEP_2)
	v_cmp_eq_u32_e32 vcc_lo, 0, v16
	v_cndmask_b32_e32 v16, v23, v17, vcc_lo
; %bb.2608:                             ;   in Loop: Header=BB8_1943 Depth=2
	s_or_b32 exec_lo, exec_lo, s14
	v_and_b32_e32 v9, 0xffff0000, v9
	v_and_b32_e32 v17, 0xffff0000, v20
	s_delay_alu instid0(VALU_DEP_1) | instskip(NEXT) | instid1(VALU_DEP_1)
	v_add_f32_e32 v17, v17, v9
	v_and_b32_e32 v9, 0x7f800000, v17
	s_delay_alu instid0(VALU_DEP_1) | instskip(SKIP_1) | instid1(SALU_CYCLE_1)
	v_cmp_ne_u32_e32 vcc_lo, 0x7f800000, v9
                                        ; implicit-def: $vgpr9
	s_and_saveexec_b32 s14, vcc_lo
	s_xor_b32 s14, exec_lo, s14
; %bb.2609:                             ;   in Loop: Header=BB8_1943 Depth=2
	v_bfe_u32 v9, v17, 16, 1
	s_delay_alu instid0(VALU_DEP_1)
	v_add3_u32 v9, v17, v9, 0x7fff
                                        ; implicit-def: $vgpr17
; %bb.2610:                             ;   in Loop: Header=BB8_1943 Depth=2
	s_and_not1_saveexec_b32 s14, s14
; %bb.2611:                             ;   in Loop: Header=BB8_1943 Depth=2
	v_and_b32_e32 v9, 0xffff, v17
	v_or_b32_e32 v20, 0x10000, v17
	s_delay_alu instid0(VALU_DEP_2) | instskip(NEXT) | instid1(VALU_DEP_2)
	v_cmp_eq_u32_e32 vcc_lo, 0, v9
	v_cndmask_b32_e32 v9, v20, v17, vcc_lo
; %bb.2612:                             ;   in Loop: Header=BB8_1943 Depth=2
	s_or_b32 exec_lo, exec_lo, s14
	v_and_b32_e32 v17, 0xffff0000, v21
	v_lshlrev_b32_e32 v20, 16, v10
	s_delay_alu instid0(VALU_DEP_1) | instskip(NEXT) | instid1(VALU_DEP_1)
	v_add_f32_e32 v20, v17, v20
	v_and_b32_e32 v17, 0x7f800000, v20
	s_delay_alu instid0(VALU_DEP_1) | instskip(SKIP_1) | instid1(SALU_CYCLE_1)
	v_cmp_ne_u32_e32 vcc_lo, 0x7f800000, v17
                                        ; implicit-def: $vgpr17
	s_and_saveexec_b32 s14, vcc_lo
	s_xor_b32 s14, exec_lo, s14
; %bb.2613:                             ;   in Loop: Header=BB8_1943 Depth=2
	v_bfe_u32 v17, v20, 16, 1
	s_delay_alu instid0(VALU_DEP_1)
	v_add3_u32 v17, v20, v17, 0x7fff
                                        ; implicit-def: $vgpr20
; %bb.2614:                             ;   in Loop: Header=BB8_1943 Depth=2
	s_and_not1_saveexec_b32 s14, s14
; %bb.2615:                             ;   in Loop: Header=BB8_1943 Depth=2
	v_and_b32_e32 v17, 0xffff, v20
	v_or_b32_e32 v21, 0x10000, v20
	s_delay_alu instid0(VALU_DEP_2) | instskip(NEXT) | instid1(VALU_DEP_2)
	v_cmp_eq_u32_e32 vcc_lo, 0, v17
	v_cndmask_b32_e32 v17, v21, v20, vcc_lo
; %bb.2616:                             ;   in Loop: Header=BB8_1943 Depth=2
	s_or_b32 exec_lo, exec_lo, s14
	v_and_b32_e32 v10, 0xffff0000, v10
	v_and_b32_e32 v18, 0xffff0000, v18
	s_delay_alu instid0(VALU_DEP_1) | instskip(NEXT) | instid1(VALU_DEP_1)
	v_add_f32_e32 v18, v18, v10
	v_and_b32_e32 v10, 0x7f800000, v18
	s_delay_alu instid0(VALU_DEP_1) | instskip(SKIP_1) | instid1(SALU_CYCLE_1)
	v_cmp_ne_u32_e32 vcc_lo, 0x7f800000, v10
                                        ; implicit-def: $vgpr10
	s_and_saveexec_b32 s14, vcc_lo
	s_xor_b32 s14, exec_lo, s14
; %bb.2617:                             ;   in Loop: Header=BB8_1943 Depth=2
	v_bfe_u32 v10, v18, 16, 1
	s_delay_alu instid0(VALU_DEP_1)
	v_add3_u32 v10, v18, v10, 0x7fff
                                        ; implicit-def: $vgpr18
; %bb.2618:                             ;   in Loop: Header=BB8_1943 Depth=2
	s_and_not1_saveexec_b32 s14, s14
; %bb.2619:                             ;   in Loop: Header=BB8_1943 Depth=2
	v_and_b32_e32 v10, 0xffff, v18
	v_or_b32_e32 v20, 0x10000, v18
	s_delay_alu instid0(VALU_DEP_2) | instskip(NEXT) | instid1(VALU_DEP_2)
	v_cmp_eq_u32_e32 vcc_lo, 0, v10
	v_cndmask_b32_e32 v10, v20, v18, vcc_lo
; %bb.2620:                             ;   in Loop: Header=BB8_1943 Depth=2
	s_or_b32 exec_lo, exec_lo, s14
	v_and_b32_e32 v18, 0xffff0000, v19
	v_lshlrev_b32_e32 v19, 16, v11
	s_delay_alu instid0(VALU_DEP_1) | instskip(NEXT) | instid1(VALU_DEP_1)
	v_add_f32_e32 v19, v18, v19
	v_and_b32_e32 v18, 0x7f800000, v19
	s_delay_alu instid0(VALU_DEP_1) | instskip(SKIP_1) | instid1(SALU_CYCLE_1)
	v_cmp_ne_u32_e32 vcc_lo, 0x7f800000, v18
                                        ; implicit-def: $vgpr18
	s_and_saveexec_b32 s14, vcc_lo
	s_xor_b32 s14, exec_lo, s14
; %bb.2621:                             ;   in Loop: Header=BB8_1943 Depth=2
	v_bfe_u32 v18, v19, 16, 1
	s_delay_alu instid0(VALU_DEP_1)
	v_add3_u32 v18, v19, v18, 0x7fff
                                        ; implicit-def: $vgpr19
; %bb.2622:                             ;   in Loop: Header=BB8_1943 Depth=2
	s_and_not1_saveexec_b32 s14, s14
; %bb.2623:                             ;   in Loop: Header=BB8_1943 Depth=2
	v_and_b32_e32 v18, 0xffff, v19
	v_or_b32_e32 v20, 0x10000, v19
	s_delay_alu instid0(VALU_DEP_2) | instskip(NEXT) | instid1(VALU_DEP_2)
	v_cmp_eq_u32_e32 vcc_lo, 0, v18
	v_cndmask_b32_e32 v18, v20, v19, vcc_lo
; %bb.2624:                             ;   in Loop: Header=BB8_1943 Depth=2
	s_or_b32 exec_lo, exec_lo, s14
	v_and_b32_e32 v11, 0xffff0000, v11
	v_and_b32_e32 v4, 0xffff0000, v4
	s_delay_alu instid0(VALU_DEP_1) | instskip(NEXT) | instid1(VALU_DEP_1)
	v_add_f32_e32 v11, v4, v11
	v_and_b32_e32 v4, 0x7f800000, v11
	s_delay_alu instid0(VALU_DEP_1) | instskip(SKIP_1) | instid1(SALU_CYCLE_1)
	v_cmp_ne_u32_e32 vcc_lo, 0x7f800000, v4
                                        ; implicit-def: $vgpr4
	s_and_saveexec_b32 s14, vcc_lo
	s_xor_b32 s14, exec_lo, s14
; %bb.2625:                             ;   in Loop: Header=BB8_1943 Depth=2
	v_bfe_u32 v4, v11, 16, 1
	s_delay_alu instid0(VALU_DEP_1)
	v_add3_u32 v4, v11, v4, 0x7fff
                                        ; implicit-def: $vgpr11
; %bb.2626:                             ;   in Loop: Header=BB8_1943 Depth=2
	s_and_not1_saveexec_b32 s14, s14
; %bb.2627:                             ;   in Loop: Header=BB8_1943 Depth=2
	v_and_b32_e32 v4, 0xffff, v11
	v_or_b32_e32 v19, 0x10000, v11
	s_delay_alu instid0(VALU_DEP_2) | instskip(NEXT) | instid1(VALU_DEP_2)
	v_cmp_eq_u32_e32 vcc_lo, 0, v4
	v_cndmask_b32_e32 v4, v19, v11, vcc_lo
; %bb.2628:                             ;   in Loop: Header=BB8_1943 Depth=2
	s_or_b32 exec_lo, exec_lo, s14
	v_dual_lshrrev_b32 v11, 16, v16 :: v_dual_lshrrev_b32 v5, 16, v5
	v_dual_lshrrev_b32 v16, 16, v17 :: v_dual_lshrrev_b32 v17, 16, v18
	s_mov_b64 s[40:41], 0
	s_delay_alu instid0(VALU_DEP_2) | instskip(NEXT) | instid1(VALU_DEP_3)
	v_and_or_b32 v9, 0xffff0000, v9, v11
	v_and_or_b32 v8, 0xffff0000, v8, v5
	s_delay_alu instid0(VALU_DEP_3)
	v_and_or_b32 v10, 0xffff0000, v10, v16
	v_and_or_b32 v11, 0xffff0000, v4, v17
	s_mov_b32 s79, -1
.LBB8_2629:                             ;   Parent Loop BB8_47 Depth=1
                                        ;     Parent Loop BB8_1943 Depth=2
                                        ; =>    This Inner Loop Header: Depth=3
	s_cmp_eq_u32 s40, 1
	s_cselect_b32 vcc_lo, -1, 0
	s_cmp_eq_u32 s40, 0
	s_wait_xcnt 0x0
	v_dual_cndmask_b32 v5, v13, v15 :: v_dual_cndmask_b32 v4, v12, v14
	s_cselect_b32 s14, -1, 0
	s_and_b32 s15, exec_lo, s79
	s_mov_b64 s[40:41], 1
	s_mov_b32 s79, 0
	v_add_nc_u64_e32 v[16:17], 0x200, v[4:5]
	global_store_b128 v[4:5], v[8:11], off th:TH_STORE_NT
	v_dual_cndmask_b32 v15, v15, v17 :: v_dual_cndmask_b32 v14, v14, v16
	v_dual_cndmask_b32 v13, v13, v17, s14 :: v_dual_cndmask_b32 v12, v12, v16, s14
	s_mov_b32 vcc_lo, s15
	s_cbranch_vccnz .LBB8_2629
.LBB8_2630:                             ;   in Loop: Header=BB8_1943 Depth=2
	s_wait_xcnt 0x0
	s_or_b32 exec_lo, exec_lo, s78
	v_and_b32_e32 v5, 14, v73
	s_mov_b32 s15, s76
	s_mov_b32 s14, exec_lo
                                        ; implicit-def: $vgpr21
                                        ; implicit-def: $vgpr4
                                        ; implicit-def: $vgpr23
	s_delay_alu instid0(VALU_DEP_1) | instskip(NEXT) | instid1(VALU_DEP_1)
	v_cndmask_b32_e64 v20, v26, v5, s13
	v_cmpx_ne_u32_e32 0, v20
	s_cbranch_execz .LBB8_2632
; %bb.2631:                             ;   in Loop: Header=BB8_1943 Depth=2
	v_cmp_lt_i32_e32 vcc_lo, 0, v27
	s_or_b32 s15, s76, exec_lo
	v_dual_cndmask_b32 v4, 0, v84 :: v_dual_sub_nc_u32 v5, v26, v5
	s_delay_alu instid0(VALU_DEP_1) | instskip(NEXT) | instid1(VALU_DEP_1)
	v_dual_cndmask_b32 v5, 0, v5, s13 :: v_dual_sub_nc_u32 v4, v4, v27
	v_add3_u32 v21, v25, v22, v5
	s_delay_alu instid0(VALU_DEP_2) | instskip(NEXT) | instid1(VALU_DEP_1)
	v_lshl_add_u32 v4, v4, 5, v24
	v_ashrrev_i32_e32 v8, 31, v4
	s_delay_alu instid0(VALU_DEP_1) | instskip(NEXT) | instid1(VALU_DEP_1)
	v_lshrrev_b32_e32 v8, 27, v8
	v_add_nc_u32_e32 v8, v4, v8
	s_delay_alu instid0(VALU_DEP_1) | instskip(NEXT) | instid1(VALU_DEP_1)
	v_and_b32_e32 v8, 0xffffffe0, v8
	v_sub_nc_u32_e32 v23, v4, v8
.LBB8_2632:                             ;   in Loop: Header=BB8_1943 Depth=2
	s_or_b32 exec_lo, exec_lo, s14
	s_delay_alu instid0(SALU_CYCLE_1) | instskip(SKIP_1) | instid1(SALU_CYCLE_1)
	s_and_not1_b32 s13, s76, exec_lo
	s_and_b32 s14, s15, exec_lo
	s_or_b32 s76, s13, s14
.LBB8_2633:                             ;   in Loop: Header=BB8_1943 Depth=2
	s_or_b32 exec_lo, exec_lo, s77
	s_and_saveexec_b32 s15, s76
	s_cbranch_execz .LBB8_2882
.LBB8_2634:                             ;   in Loop: Header=BB8_1943 Depth=2
	v_dual_ashrrev_i32 v5, 31, v4 :: v_dual_mov_b32 v51, 0
	v_dual_mov_b32 v37, 0 :: v_dual_mov_b32 v29, 0
	v_dual_mov_b32 v19, 0 :: v_dual_mov_b32 v18, 0
	s_delay_alu instid0(VALU_DEP_3) | instskip(SKIP_1) | instid1(VALU_DEP_2)
	v_dual_lshrrev_b32 v5, 27, v5 :: v_dual_ashrrev_i32 v8, 31, v20
	v_dual_mov_b32 v17, 0 :: v_dual_mov_b32 v16, 0
	v_dual_mov_b32 v49, 0 :: v_dual_add_nc_u32 v4, v4, v5
	s_delay_alu instid0(VALU_DEP_3) | instskip(SKIP_1) | instid1(VALU_DEP_3)
	v_dual_lshlrev_b32 v5, 1, v23 :: v_dual_lshrrev_b32 v8, 23, v8
	v_dual_mov_b32 v39, 0 :: v_dual_mov_b32 v48, 0
	v_dual_mov_b32 v13, 0 :: v_dual_ashrrev_i32 v4, 5, v4
	s_delay_alu instid0(VALU_DEP_3) | instskip(SKIP_1) | instid1(VALU_DEP_2)
	v_add_nc_u32_e32 v8, v20, v8
	s_mov_b32 s14, 0
	v_dual_mov_b32 v38, 0 :: v_dual_lshlrev_b32 v9, 9, v4
	s_delay_alu instid0(VALU_DEP_2) | instskip(SKIP_2) | instid1(VALU_DEP_3)
	v_dual_mov_b32 v28, 0 :: v_dual_ashrrev_i32 v24, 9, v8
	s_mov_b32 s13, exec_lo
	v_mov_b32_e32 v12, 0
	v_add3_u32 v14, v21, v5, v9
	s_delay_alu instid0(VALU_DEP_3) | instskip(NEXT) | instid1(VALU_DEP_2)
	v_dual_mov_b32 v5, 0 :: v_dual_sub_nc_u32 v22, v24, v4
	v_dual_mov_b32 v4, 0 :: v_dual_ashrrev_i32 v15, 31, v14
	s_delay_alu instid0(VALU_DEP_1) | instskip(SKIP_1) | instid1(VALU_DEP_4)
	v_add_nc_u64_e32 v[10:11], v[88:89], v[14:15]
	v_add_nc_u64_e32 v[8:9], v[90:91], v[14:15]
	v_cmpx_lt_i32_e32 0, v22
	s_cbranch_execz .LBB8_2772
; %bb.2635:                             ;   in Loop: Header=BB8_1943 Depth=2
	s_trap 2
	ds_load_b64 v[4:5], v0
	v_add_nc_u64_e32 v[12:13], v[14:15], v[78:79]
	s_mov_b32 s41, 0
	s_mov_b32 s40, 0
                                        ; implicit-def: $sgpr14
                                        ; implicit-def: $vgpr53
                                        ; implicit-def: $vgpr126
                                        ; implicit-def: $vgpr107
                                        ; implicit-def: $vgpr105
                                        ; implicit-def: $vgpr95
                                        ; implicit-def: $vgpr93
                                        ; implicit-def: $vgpr75
                                        ; implicit-def: $vgpr50
                                        ; implicit-def: $vgpr25
                                        ; implicit-def: $vgpr26
                                        ; implicit-def: $vgpr27
                                        ; implicit-def: $vgpr32
                                        ; implicit-def: $vgpr33
                                        ; implicit-def: $vgpr34
                                        ; implicit-def: $vgpr35
                                        ; implicit-def: $vgpr36
	s_wait_dscnt 0x0
	v_add_nc_u64_e32 v[14:15], v[4:5], v[14:15]
	s_branch .LBB8_2637
.LBB8_2636:                             ;   in Loop: Header=BB8_2637 Depth=3
	s_or_b32 exec_lo, exec_lo, s76
	s_delay_alu instid0(VALU_DEP_1) | instskip(SKIP_3) | instid1(SALU_CYCLE_1)
	v_cmp_gt_i32_e32 vcc_lo, 1, v22
	s_or_b32 s40, vcc_lo, s40
	s_and_not1_b32 s14, s14, exec_lo
	s_and_b32 s76, s41, exec_lo
	s_or_b32 s14, s14, s76
	s_and_not1_b32 exec_lo, exec_lo, s40
	s_cbranch_execz .LBB8_2771
.LBB8_2637:                             ;   Parent Loop BB8_47 Depth=1
                                        ;     Parent Loop BB8_1943 Depth=2
                                        ; =>    This Inner Loop Header: Depth=3
	s_clause 0x7
	flat_load_u16 v28, v[12:13] th:TH_LOAD_NT
	flat_load_u16 v55, v[12:13] offset:64 th:TH_LOAD_NT
	flat_load_u16 v54, v[12:13] offset:128 th:TH_LOAD_NT
	;; [unrolled: 1-line block ×7, first 2 shown]
	s_clause 0x7
	flat_load_u16 v94, v[14:15] th:TH_LOAD_NT
	flat_load_u16 v92, v[14:15] offset:64 th:TH_LOAD_NT
	flat_load_u16 v51, v[14:15] offset:128 th:TH_LOAD_NT
	;; [unrolled: 1-line block ×7, first 2 shown]
	s_wait_xcnt 0x0
	s_and_saveexec_b32 s76, s41
	s_cbranch_execz .LBB8_2703
; %bb.2638:                             ;   in Loop: Header=BB8_2637 Depth=3
	s_trap 2
	ds_load_b32 v4, v0
	s_wait_dscnt 0x0
	v_dual_lshlrev_b32 v16, 16, v53 :: v_dual_lshlrev_b32 v17, 16, v4
	s_delay_alu instid0(VALU_DEP_1) | instskip(NEXT) | instid1(VALU_DEP_1)
	v_mov_b32_e32 v4, v17
	v_pk_mul_f32 v[18:19], v[4:5], v[16:17]
	s_delay_alu instid0(VALU_DEP_1) | instskip(NEXT) | instid1(VALU_DEP_1)
	v_and_b32_e32 v4, 0x7f800000, v18
	v_cmp_ne_u32_e32 vcc_lo, 0x7f800000, v4
                                        ; implicit-def: $vgpr4
	s_and_saveexec_b32 s41, vcc_lo
	s_delay_alu instid0(SALU_CYCLE_1)
	s_xor_b32 s41, exec_lo, s41
; %bb.2639:                             ;   in Loop: Header=BB8_2637 Depth=3
	v_bfe_u32 v4, v18, 16, 1
	s_delay_alu instid0(VALU_DEP_1)
	v_add3_u32 v4, v18, v4, 0x7fff
                                        ; implicit-def: $vgpr18_vgpr19
; %bb.2640:                             ;   in Loop: Header=BB8_2637 Depth=3
	s_and_not1_saveexec_b32 s41, s41
; %bb.2641:                             ;   in Loop: Header=BB8_2637 Depth=3
	v_and_b32_e32 v4, 0xffff, v18
	v_or_b32_e32 v5, 0x10000, v18
	s_delay_alu instid0(VALU_DEP_2) | instskip(NEXT) | instid1(VALU_DEP_2)
	v_cmp_eq_u32_e32 vcc_lo, 0, v4
	v_cndmask_b32_e32 v4, v5, v18, vcc_lo
; %bb.2642:                             ;   in Loop: Header=BB8_2637 Depth=3
	s_or_b32 exec_lo, exec_lo, s41
	v_lshlrev_b32_e32 v5, 16, v126
	s_mov_b32 s41, exec_lo
                                        ; implicit-def: $vgpr98
	s_delay_alu instid0(VALU_DEP_1) | instskip(NEXT) | instid1(VALU_DEP_1)
	v_mul_f32_e32 v5, v17, v5
	v_and_b32_e32 v16, 0x7f800000, v5
	s_delay_alu instid0(VALU_DEP_1)
	v_cmpx_ne_u32_e32 0x7f800000, v16
	s_xor_b32 s41, exec_lo, s41
; %bb.2643:                             ;   in Loop: Header=BB8_2637 Depth=3
	v_bfe_u32 v16, v5, 16, 1
	s_delay_alu instid0(VALU_DEP_1)
	v_add3_u32 v98, v5, v16, 0x7fff
                                        ; implicit-def: $vgpr5
; %bb.2644:                             ;   in Loop: Header=BB8_2637 Depth=3
	s_and_not1_saveexec_b32 s41, s41
; %bb.2645:                             ;   in Loop: Header=BB8_2637 Depth=3
	v_and_b32_e32 v16, 0xffff, v5
	v_or_b32_e32 v18, 0x10000, v5
	s_delay_alu instid0(VALU_DEP_2) | instskip(NEXT) | instid1(VALU_DEP_2)
	v_cmp_eq_u32_e32 vcc_lo, 0, v16
	v_cndmask_b32_e32 v98, v18, v5, vcc_lo
; %bb.2646:                             ;   in Loop: Header=BB8_2637 Depth=3
	s_or_b32 exec_lo, exec_lo, s41
	v_lshlrev_b32_e32 v5, 16, v107
	s_mov_b32 s41, exec_lo
                                        ; implicit-def: $vgpr53
	s_delay_alu instid0(VALU_DEP_1) | instskip(NEXT) | instid1(VALU_DEP_1)
	v_mul_f32_e32 v5, v17, v5
	v_and_b32_e32 v16, 0x7f800000, v5
	s_delay_alu instid0(VALU_DEP_1)
	v_cmpx_ne_u32_e32 0x7f800000, v16
	s_xor_b32 s41, exec_lo, s41
; %bb.2647:                             ;   in Loop: Header=BB8_2637 Depth=3
	v_bfe_u32 v16, v5, 16, 1
	s_delay_alu instid0(VALU_DEP_1)
	v_add3_u32 v53, v5, v16, 0x7fff
                                        ; implicit-def: $vgpr5
; %bb.2648:                             ;   in Loop: Header=BB8_2637 Depth=3
	s_and_not1_saveexec_b32 s41, s41
; %bb.2649:                             ;   in Loop: Header=BB8_2637 Depth=3
	v_and_b32_e32 v16, 0xffff, v5
	v_or_b32_e32 v18, 0x10000, v5
	s_delay_alu instid0(VALU_DEP_2) | instskip(NEXT) | instid1(VALU_DEP_2)
	v_cmp_eq_u32_e32 vcc_lo, 0, v16
	v_cndmask_b32_e32 v53, v18, v5, vcc_lo
; %bb.2650:                             ;   in Loop: Header=BB8_2637 Depth=3
	s_or_b32 exec_lo, exec_lo, s41
	v_lshlrev_b32_e32 v5, 16, v105
	s_mov_b32 s41, exec_lo
                                        ; implicit-def: $vgpr29
	s_delay_alu instid0(VALU_DEP_1) | instskip(NEXT) | instid1(VALU_DEP_1)
	v_mul_f32_e32 v5, v17, v5
	v_and_b32_e32 v16, 0x7f800000, v5
	s_delay_alu instid0(VALU_DEP_1)
	v_cmpx_ne_u32_e32 0x7f800000, v16
	s_xor_b32 s41, exec_lo, s41
; %bb.2651:                             ;   in Loop: Header=BB8_2637 Depth=3
	v_bfe_u32 v16, v5, 16, 1
	s_delay_alu instid0(VALU_DEP_1)
	v_add3_u32 v29, v5, v16, 0x7fff
                                        ; implicit-def: $vgpr5
; %bb.2652:                             ;   in Loop: Header=BB8_2637 Depth=3
	s_and_not1_saveexec_b32 s41, s41
; %bb.2653:                             ;   in Loop: Header=BB8_2637 Depth=3
	v_and_b32_e32 v16, 0xffff, v5
	v_or_b32_e32 v18, 0x10000, v5
	s_delay_alu instid0(VALU_DEP_2) | instskip(NEXT) | instid1(VALU_DEP_2)
	v_cmp_eq_u32_e32 vcc_lo, 0, v16
	v_cndmask_b32_e32 v29, v18, v5, vcc_lo
; %bb.2654:                             ;   in Loop: Header=BB8_2637 Depth=3
	s_or_b32 exec_lo, exec_lo, s41
	v_lshlrev_b32_e32 v5, 16, v95
	s_mov_b32 s41, exec_lo
                                        ; implicit-def: $vgpr19
	s_delay_alu instid0(VALU_DEP_1) | instskip(NEXT) | instid1(VALU_DEP_1)
	v_mul_f32_e32 v5, v17, v5
	v_and_b32_e32 v16, 0x7f800000, v5
	s_delay_alu instid0(VALU_DEP_1)
	v_cmpx_ne_u32_e32 0x7f800000, v16
	s_xor_b32 s41, exec_lo, s41
; %bb.2655:                             ;   in Loop: Header=BB8_2637 Depth=3
	v_bfe_u32 v16, v5, 16, 1
	s_delay_alu instid0(VALU_DEP_1)
	v_add3_u32 v19, v5, v16, 0x7fff
                                        ; implicit-def: $vgpr5
; %bb.2656:                             ;   in Loop: Header=BB8_2637 Depth=3
	s_and_not1_saveexec_b32 s41, s41
; %bb.2657:                             ;   in Loop: Header=BB8_2637 Depth=3
	v_and_b32_e32 v16, 0xffff, v5
	v_or_b32_e32 v18, 0x10000, v5
	s_delay_alu instid0(VALU_DEP_2) | instskip(NEXT) | instid1(VALU_DEP_2)
	v_cmp_eq_u32_e32 vcc_lo, 0, v16
	v_cndmask_b32_e32 v19, v18, v5, vcc_lo
; %bb.2658:                             ;   in Loop: Header=BB8_2637 Depth=3
	s_or_b32 exec_lo, exec_lo, s41
	v_lshlrev_b32_e32 v5, 16, v93
	s_mov_b32 s41, exec_lo
                                        ; implicit-def: $vgpr18
	s_delay_alu instid0(VALU_DEP_1) | instskip(NEXT) | instid1(VALU_DEP_1)
	v_mul_f32_e32 v5, v17, v5
	v_and_b32_e32 v16, 0x7f800000, v5
	s_delay_alu instid0(VALU_DEP_1)
	v_cmpx_ne_u32_e32 0x7f800000, v16
	s_xor_b32 s41, exec_lo, s41
; %bb.2659:                             ;   in Loop: Header=BB8_2637 Depth=3
	v_bfe_u32 v16, v5, 16, 1
	s_delay_alu instid0(VALU_DEP_1)
	v_add3_u32 v18, v5, v16, 0x7fff
                                        ; implicit-def: $vgpr5
; %bb.2660:                             ;   in Loop: Header=BB8_2637 Depth=3
	s_and_not1_saveexec_b32 s41, s41
; %bb.2661:                             ;   in Loop: Header=BB8_2637 Depth=3
	v_and_b32_e32 v16, 0xffff, v5
	v_or_b32_e32 v18, 0x10000, v5
	s_delay_alu instid0(VALU_DEP_2) | instskip(NEXT) | instid1(VALU_DEP_2)
	v_cmp_eq_u32_e32 vcc_lo, 0, v16
	v_cndmask_b32_e32 v18, v18, v5, vcc_lo
; %bb.2662:                             ;   in Loop: Header=BB8_2637 Depth=3
	s_or_b32 exec_lo, exec_lo, s41
	v_lshlrev_b32_e32 v5, 16, v75
	s_delay_alu instid0(VALU_DEP_1) | instskip(NEXT) | instid1(VALU_DEP_1)
	v_mul_f32_e32 v5, v17, v5
	v_and_b32_e32 v16, 0x7f800000, v5
	s_delay_alu instid0(VALU_DEP_1) | instskip(SKIP_1) | instid1(SALU_CYCLE_1)
	v_cmp_ne_u32_e32 vcc_lo, 0x7f800000, v16
                                        ; implicit-def: $vgpr16
	s_and_saveexec_b32 s41, vcc_lo
	s_xor_b32 s41, exec_lo, s41
; %bb.2663:                             ;   in Loop: Header=BB8_2637 Depth=3
	v_bfe_u32 v16, v5, 16, 1
	s_delay_alu instid0(VALU_DEP_1)
	v_add3_u32 v16, v5, v16, 0x7fff
                                        ; implicit-def: $vgpr5
; %bb.2664:                             ;   in Loop: Header=BB8_2637 Depth=3
	s_and_not1_saveexec_b32 s41, s41
; %bb.2665:                             ;   in Loop: Header=BB8_2637 Depth=3
	v_and_b32_e32 v16, 0xffff, v5
	v_or_b32_e32 v96, 0x10000, v5
	s_delay_alu instid0(VALU_DEP_2) | instskip(NEXT) | instid1(VALU_DEP_2)
	v_cmp_eq_u32_e32 vcc_lo, 0, v16
	v_cndmask_b32_e32 v16, v96, v5, vcc_lo
; %bb.2666:                             ;   in Loop: Header=BB8_2637 Depth=3
	s_or_b32 exec_lo, exec_lo, s41
	v_lshlrev_b32_e32 v5, 16, v50
	s_delay_alu instid0(VALU_DEP_1) | instskip(NEXT) | instid1(VALU_DEP_1)
	v_mul_f32_e32 v17, v17, v5
	v_and_b32_e32 v5, 0x7f800000, v17
	s_delay_alu instid0(VALU_DEP_1) | instskip(SKIP_1) | instid1(SALU_CYCLE_1)
	v_cmp_ne_u32_e32 vcc_lo, 0x7f800000, v5
                                        ; implicit-def: $vgpr5
	s_and_saveexec_b32 s41, vcc_lo
	s_xor_b32 s41, exec_lo, s41
; %bb.2667:                             ;   in Loop: Header=BB8_2637 Depth=3
	v_bfe_u32 v5, v17, 16, 1
	s_delay_alu instid0(VALU_DEP_1)
	v_add3_u32 v5, v17, v5, 0x7fff
                                        ; implicit-def: $vgpr17
; %bb.2668:                             ;   in Loop: Header=BB8_2637 Depth=3
	s_and_not1_saveexec_b32 s41, s41
; %bb.2669:                             ;   in Loop: Header=BB8_2637 Depth=3
	v_and_b32_e32 v5, 0xffff, v17
	v_or_b32_e32 v50, 0x10000, v17
	s_delay_alu instid0(VALU_DEP_2) | instskip(NEXT) | instid1(VALU_DEP_2)
	v_cmp_eq_u32_e32 vcc_lo, 0, v5
	v_cndmask_b32_e32 v5, v50, v17, vcc_lo
; %bb.2670:                             ;   in Loop: Header=BB8_2637 Depth=3
	s_or_b32 exec_lo, exec_lo, s41
	v_and_b32_e32 v4, 0xffff0000, v4
	v_lshlrev_b32_e32 v17, 16, v25
	s_delay_alu instid0(VALU_DEP_1) | instskip(NEXT) | instid1(VALU_DEP_1)
	v_add_f32_e32 v17, v17, v4
	v_and_b32_e32 v4, 0x7f800000, v17
	s_delay_alu instid0(VALU_DEP_1) | instskip(SKIP_1) | instid1(SALU_CYCLE_1)
	v_cmp_ne_u32_e32 vcc_lo, 0x7f800000, v4
                                        ; implicit-def: $vgpr4
	s_and_saveexec_b32 s41, vcc_lo
	s_xor_b32 s41, exec_lo, s41
; %bb.2671:                             ;   in Loop: Header=BB8_2637 Depth=3
	v_bfe_u32 v4, v17, 16, 1
	s_delay_alu instid0(VALU_DEP_1)
	v_add3_u32 v4, v17, v4, 0x7fff
                                        ; implicit-def: $vgpr17
; %bb.2672:                             ;   in Loop: Header=BB8_2637 Depth=3
	s_and_not1_saveexec_b32 s41, s41
; %bb.2673:                             ;   in Loop: Header=BB8_2637 Depth=3
	v_and_b32_e32 v4, 0xffff, v17
	v_or_b32_e32 v50, 0x10000, v17
	s_delay_alu instid0(VALU_DEP_2) | instskip(NEXT) | instid1(VALU_DEP_2)
	v_cmp_eq_u32_e32 vcc_lo, 0, v4
	v_cndmask_b32_e32 v4, v50, v17, vcc_lo
; %bb.2674:                             ;   in Loop: Header=BB8_2637 Depth=3
	s_or_b32 exec_lo, exec_lo, s41
	v_and_b32_e32 v17, 0xffff0000, v98
	v_lshlrev_b32_e32 v50, 16, v26
	s_delay_alu instid0(VALU_DEP_1) | instskip(NEXT) | instid1(VALU_DEP_1)
	v_add_f32_e32 v50, v50, v17
	v_and_b32_e32 v17, 0x7f800000, v50
	s_delay_alu instid0(VALU_DEP_1) | instskip(SKIP_1) | instid1(SALU_CYCLE_1)
	v_cmp_ne_u32_e32 vcc_lo, 0x7f800000, v17
                                        ; implicit-def: $vgpr17
	s_and_saveexec_b32 s41, vcc_lo
	s_xor_b32 s41, exec_lo, s41
; %bb.2675:                             ;   in Loop: Header=BB8_2637 Depth=3
	v_bfe_u32 v17, v50, 16, 1
	s_delay_alu instid0(VALU_DEP_1)
	v_add3_u32 v17, v50, v17, 0x7fff
                                        ; implicit-def: $vgpr50
; %bb.2676:                             ;   in Loop: Header=BB8_2637 Depth=3
	s_and_not1_saveexec_b32 s41, s41
; %bb.2677:                             ;   in Loop: Header=BB8_2637 Depth=3
	v_and_b32_e32 v17, 0xffff, v50
	v_or_b32_e32 v96, 0x10000, v50
	s_delay_alu instid0(VALU_DEP_2) | instskip(NEXT) | instid1(VALU_DEP_2)
	v_cmp_eq_u32_e32 vcc_lo, 0, v17
	v_cndmask_b32_e32 v17, v96, v50, vcc_lo
; %bb.2678:                             ;   in Loop: Header=BB8_2637 Depth=3
	s_or_b32 exec_lo, exec_lo, s41
	v_and_b32_e32 v50, 0xffff0000, v53
	v_lshlrev_b32_e32 v53, 16, v27
	s_delay_alu instid0(VALU_DEP_1) | instskip(NEXT) | instid1(VALU_DEP_1)
	v_add_f32_e32 v53, v53, v50
	v_and_b32_e32 v50, 0x7f800000, v53
	s_delay_alu instid0(VALU_DEP_1) | instskip(SKIP_1) | instid1(SALU_CYCLE_1)
	v_cmp_ne_u32_e32 vcc_lo, 0x7f800000, v50
                                        ; implicit-def: $vgpr50
	s_and_saveexec_b32 s41, vcc_lo
	s_xor_b32 s41, exec_lo, s41
; %bb.2679:                             ;   in Loop: Header=BB8_2637 Depth=3
	v_bfe_u32 v50, v53, 16, 1
	s_delay_alu instid0(VALU_DEP_1)
	v_add3_u32 v50, v53, v50, 0x7fff
                                        ; implicit-def: $vgpr53
; %bb.2680:                             ;   in Loop: Header=BB8_2637 Depth=3
	s_and_not1_saveexec_b32 s41, s41
; %bb.2681:                             ;   in Loop: Header=BB8_2637 Depth=3
	v_and_b32_e32 v50, 0xffff, v53
	v_or_b32_e32 v96, 0x10000, v53
	s_delay_alu instid0(VALU_DEP_2) | instskip(NEXT) | instid1(VALU_DEP_2)
	v_cmp_eq_u32_e32 vcc_lo, 0, v50
	v_cndmask_b32_e32 v50, v96, v53, vcc_lo
; %bb.2682:                             ;   in Loop: Header=BB8_2637 Depth=3
	s_or_b32 exec_lo, exec_lo, s41
	v_and_b32_e32 v29, 0xffff0000, v29
	v_lshlrev_b32_e32 v53, 16, v32
	s_delay_alu instid0(VALU_DEP_1) | instskip(NEXT) | instid1(VALU_DEP_1)
	v_add_f32_e32 v53, v53, v29
	v_and_b32_e32 v29, 0x7f800000, v53
	s_delay_alu instid0(VALU_DEP_1) | instskip(SKIP_1) | instid1(SALU_CYCLE_1)
	v_cmp_ne_u32_e32 vcc_lo, 0x7f800000, v29
                                        ; implicit-def: $vgpr29
	s_and_saveexec_b32 s41, vcc_lo
	s_xor_b32 s41, exec_lo, s41
; %bb.2683:                             ;   in Loop: Header=BB8_2637 Depth=3
	v_bfe_u32 v29, v53, 16, 1
	s_delay_alu instid0(VALU_DEP_1)
	v_add3_u32 v29, v53, v29, 0x7fff
                                        ; implicit-def: $vgpr53
; %bb.2684:                             ;   in Loop: Header=BB8_2637 Depth=3
	s_and_not1_saveexec_b32 s41, s41
; %bb.2685:                             ;   in Loop: Header=BB8_2637 Depth=3
	v_and_b32_e32 v29, 0xffff, v53
	v_or_b32_e32 v96, 0x10000, v53
	s_delay_alu instid0(VALU_DEP_2) | instskip(NEXT) | instid1(VALU_DEP_2)
	v_cmp_eq_u32_e32 vcc_lo, 0, v29
	v_cndmask_b32_e32 v29, v96, v53, vcc_lo
; %bb.2686:                             ;   in Loop: Header=BB8_2637 Depth=3
	s_or_b32 exec_lo, exec_lo, s41
	v_and_b32_e32 v19, 0xffff0000, v19
	v_lshlrev_b32_e32 v53, 16, v33
	s_delay_alu instid0(VALU_DEP_1) | instskip(NEXT) | instid1(VALU_DEP_1)
	v_add_f32_e32 v53, v53, v19
	v_and_b32_e32 v19, 0x7f800000, v53
	s_delay_alu instid0(VALU_DEP_1) | instskip(SKIP_1) | instid1(SALU_CYCLE_1)
	v_cmp_ne_u32_e32 vcc_lo, 0x7f800000, v19
                                        ; implicit-def: $vgpr19
	s_and_saveexec_b32 s41, vcc_lo
	s_xor_b32 s41, exec_lo, s41
; %bb.2687:                             ;   in Loop: Header=BB8_2637 Depth=3
	v_bfe_u32 v19, v53, 16, 1
	s_delay_alu instid0(VALU_DEP_1)
	v_add3_u32 v19, v53, v19, 0x7fff
                                        ; implicit-def: $vgpr53
; %bb.2688:                             ;   in Loop: Header=BB8_2637 Depth=3
	s_and_not1_saveexec_b32 s41, s41
; %bb.2689:                             ;   in Loop: Header=BB8_2637 Depth=3
	v_and_b32_e32 v19, 0xffff, v53
	v_or_b32_e32 v96, 0x10000, v53
	s_delay_alu instid0(VALU_DEP_2) | instskip(NEXT) | instid1(VALU_DEP_2)
	v_cmp_eq_u32_e32 vcc_lo, 0, v19
	v_cndmask_b32_e32 v19, v96, v53, vcc_lo
; %bb.2690:                             ;   in Loop: Header=BB8_2637 Depth=3
	s_or_b32 exec_lo, exec_lo, s41
	v_and_b32_e32 v18, 0xffff0000, v18
	v_lshlrev_b32_e32 v53, 16, v34
	s_delay_alu instid0(VALU_DEP_1) | instskip(NEXT) | instid1(VALU_DEP_1)
	v_add_f32_e32 v53, v53, v18
	v_and_b32_e32 v18, 0x7f800000, v53
	s_delay_alu instid0(VALU_DEP_1) | instskip(SKIP_1) | instid1(SALU_CYCLE_1)
	v_cmp_ne_u32_e32 vcc_lo, 0x7f800000, v18
                                        ; implicit-def: $vgpr18
	s_and_saveexec_b32 s41, vcc_lo
	s_xor_b32 s41, exec_lo, s41
; %bb.2691:                             ;   in Loop: Header=BB8_2637 Depth=3
	v_bfe_u32 v18, v53, 16, 1
	s_delay_alu instid0(VALU_DEP_1)
	v_add3_u32 v18, v53, v18, 0x7fff
                                        ; implicit-def: $vgpr53
; %bb.2692:                             ;   in Loop: Header=BB8_2637 Depth=3
	s_and_not1_saveexec_b32 s41, s41
; %bb.2693:                             ;   in Loop: Header=BB8_2637 Depth=3
	v_and_b32_e32 v18, 0xffff, v53
	v_or_b32_e32 v96, 0x10000, v53
	s_delay_alu instid0(VALU_DEP_2) | instskip(NEXT) | instid1(VALU_DEP_2)
	v_cmp_eq_u32_e32 vcc_lo, 0, v18
	v_cndmask_b32_e32 v18, v96, v53, vcc_lo
; %bb.2694:                             ;   in Loop: Header=BB8_2637 Depth=3
	s_or_b32 exec_lo, exec_lo, s41
	v_and_b32_e32 v16, 0xffff0000, v16
	v_lshlrev_b32_e32 v53, 16, v35
	s_delay_alu instid0(VALU_DEP_1) | instskip(NEXT) | instid1(VALU_DEP_1)
	v_add_f32_e32 v53, v53, v16
	v_and_b32_e32 v16, 0x7f800000, v53
	s_delay_alu instid0(VALU_DEP_1) | instskip(SKIP_1) | instid1(SALU_CYCLE_1)
	v_cmp_ne_u32_e32 vcc_lo, 0x7f800000, v16
                                        ; implicit-def: $vgpr16
	s_and_saveexec_b32 s41, vcc_lo
	s_xor_b32 s41, exec_lo, s41
; %bb.2695:                             ;   in Loop: Header=BB8_2637 Depth=3
	v_bfe_u32 v16, v53, 16, 1
	s_delay_alu instid0(VALU_DEP_1)
	v_add3_u32 v16, v53, v16, 0x7fff
                                        ; implicit-def: $vgpr53
; %bb.2696:                             ;   in Loop: Header=BB8_2637 Depth=3
	s_and_not1_saveexec_b32 s41, s41
; %bb.2697:                             ;   in Loop: Header=BB8_2637 Depth=3
	v_and_b32_e32 v16, 0xffff, v53
	v_or_b32_e32 v96, 0x10000, v53
	s_delay_alu instid0(VALU_DEP_2) | instskip(NEXT) | instid1(VALU_DEP_2)
	v_cmp_eq_u32_e32 vcc_lo, 0, v16
	v_cndmask_b32_e32 v16, v96, v53, vcc_lo
; %bb.2698:                             ;   in Loop: Header=BB8_2637 Depth=3
	s_or_b32 exec_lo, exec_lo, s41
	v_and_b32_e32 v5, 0xffff0000, v5
	v_lshlrev_b32_e32 v53, 16, v36
	s_delay_alu instid0(VALU_DEP_1) | instskip(NEXT) | instid1(VALU_DEP_1)
	v_add_f32_e32 v53, v53, v5
	v_and_b32_e32 v5, 0x7f800000, v53
	s_delay_alu instid0(VALU_DEP_1) | instskip(SKIP_1) | instid1(SALU_CYCLE_1)
	v_cmp_ne_u32_e32 vcc_lo, 0x7f800000, v5
                                        ; implicit-def: $vgpr5
	s_and_saveexec_b32 s41, vcc_lo
	s_xor_b32 s41, exec_lo, s41
; %bb.2699:                             ;   in Loop: Header=BB8_2637 Depth=3
	v_bfe_u32 v5, v53, 16, 1
	s_delay_alu instid0(VALU_DEP_1)
	v_add3_u32 v5, v53, v5, 0x7fff
                                        ; implicit-def: $vgpr53
; %bb.2700:                             ;   in Loop: Header=BB8_2637 Depth=3
	s_and_not1_saveexec_b32 s41, s41
; %bb.2701:                             ;   in Loop: Header=BB8_2637 Depth=3
	v_and_b32_e32 v5, 0xffff, v53
	v_or_b32_e32 v96, 0x10000, v53
	s_delay_alu instid0(VALU_DEP_2) | instskip(NEXT) | instid1(VALU_DEP_2)
	v_cmp_eq_u32_e32 vcc_lo, 0, v5
	v_cndmask_b32_e32 v5, v96, v53, vcc_lo
; %bb.2702:                             ;   in Loop: Header=BB8_2637 Depth=3
	s_or_b32 exec_lo, exec_lo, s41
	v_dual_lshrrev_b32 v95, 16, v19 :: v_dual_lshrrev_b32 v53, 16, v4
	v_dual_lshrrev_b32 v126, 16, v17 :: v_dual_lshrrev_b32 v107, 16, v50
	;; [unrolled: 1-line block ×4, first 2 shown]
	s_clause 0x7
	flat_store_b16 v[10:11], v53 th:TH_STORE_NT
	flat_store_b16 v[10:11], v126 offset:64 th:TH_STORE_NT
	flat_store_b16 v[10:11], v107 offset:128 th:TH_STORE_NT
	;; [unrolled: 1-line block ×7, first 2 shown]
	s_clause 0x7
	flat_store_b16 v[8:9], v53 th:TH_STORE_NT
	flat_store_b16 v[8:9], v126 offset:64 th:TH_STORE_NT
	flat_store_b16 v[8:9], v107 offset:128 th:TH_STORE_NT
	;; [unrolled: 1-line block ×7, first 2 shown]
	s_wait_xcnt 0x8
	v_add_nc_u64_e32 v[10:11], v[10:11], v[44:45]
	s_wait_xcnt 0x0
	v_add_nc_u64_e32 v[8:9], v[8:9], v[44:45]
.LBB8_2703:                             ;   in Loop: Header=BB8_2637 Depth=3
	s_or_b32 exec_lo, exec_lo, s76
	v_sub_nc_u32_e32 v22, v22, v84
	v_add_nc_u64_e32 v[12:13], v[12:13], v[44:45]
	v_add_nc_u64_e32 v[14:15], v[14:15], v[44:45]
	s_delay_alu instid0(VALU_DEP_3)
	v_cmp_lt_i32_e64 s41, 0, v22
	s_and_saveexec_b32 s76, s41
	s_cbranch_execz .LBB8_2705
; %bb.2704:                             ;   in Loop: Header=BB8_2637 Depth=3
	s_clause 0x7
	flat_load_u16 v53, v[12:13] th:TH_LOAD_NT
	flat_load_u16 v126, v[12:13] offset:64 th:TH_LOAD_NT
	flat_load_u16 v107, v[12:13] offset:128 th:TH_LOAD_NT
	;; [unrolled: 1-line block ×7, first 2 shown]
	s_clause 0x7
	flat_load_u16 v25, v[14:15] th:TH_LOAD_NT
	flat_load_u16 v26, v[14:15] offset:64 th:TH_LOAD_NT
	flat_load_u16 v27, v[14:15] offset:128 th:TH_LOAD_NT
	;; [unrolled: 1-line block ×7, first 2 shown]
	s_wait_xcnt 0x8
	v_add_nc_u64_e32 v[12:13], 0x200, v[12:13]
	s_wait_xcnt 0x0
	v_add_nc_u64_e32 v[14:15], 0x200, v[14:15]
.LBB8_2705:                             ;   in Loop: Header=BB8_2637 Depth=3
	s_or_b32 exec_lo, exec_lo, s76
	s_trap 2
	ds_load_b32 v4, v0
	s_wait_dscnt 0x0
	v_lshlrev_b32_e32 v17, 16, v4
	s_wait_loadcnt 0xf
	s_delay_alu instid0(VALU_DEP_1) | instskip(NEXT) | instid1(VALU_DEP_1)
	v_dual_lshlrev_b32 v16, 16, v28 :: v_dual_mov_b32 v4, v17
	v_pk_mul_f32 v[18:19], v[4:5], v[16:17]
	s_delay_alu instid0(VALU_DEP_1) | instskip(NEXT) | instid1(VALU_DEP_1)
	v_and_b32_e32 v4, 0x7f800000, v18
	v_cmp_ne_u32_e32 vcc_lo, 0x7f800000, v4
                                        ; implicit-def: $vgpr4
	s_and_saveexec_b32 s76, vcc_lo
	s_delay_alu instid0(SALU_CYCLE_1)
	s_xor_b32 s76, exec_lo, s76
; %bb.2706:                             ;   in Loop: Header=BB8_2637 Depth=3
	v_bfe_u32 v4, v18, 16, 1
	s_delay_alu instid0(VALU_DEP_1)
	v_add3_u32 v4, v18, v4, 0x7fff
                                        ; implicit-def: $vgpr18_vgpr19
; %bb.2707:                             ;   in Loop: Header=BB8_2637 Depth=3
	s_and_not1_saveexec_b32 s76, s76
; %bb.2708:                             ;   in Loop: Header=BB8_2637 Depth=3
	v_and_b32_e32 v4, 0xffff, v18
	v_or_b32_e32 v5, 0x10000, v18
	s_delay_alu instid0(VALU_DEP_2) | instskip(NEXT) | instid1(VALU_DEP_2)
	v_cmp_eq_u32_e32 vcc_lo, 0, v4
	v_cndmask_b32_e32 v4, v5, v18, vcc_lo
; %bb.2709:                             ;   in Loop: Header=BB8_2637 Depth=3
	s_or_b32 exec_lo, exec_lo, s76
	s_wait_loadcnt 0xe
	v_lshlrev_b32_e32 v5, 16, v55
	s_mov_b32 s76, exec_lo
                                        ; implicit-def: $vgpr55
	s_delay_alu instid0(VALU_DEP_1) | instskip(NEXT) | instid1(VALU_DEP_1)
	v_mul_f32_e32 v5, v17, v5
	v_and_b32_e32 v16, 0x7f800000, v5
	s_delay_alu instid0(VALU_DEP_1)
	v_cmpx_ne_u32_e32 0x7f800000, v16
	s_xor_b32 s76, exec_lo, s76
; %bb.2710:                             ;   in Loop: Header=BB8_2637 Depth=3
	v_bfe_u32 v16, v5, 16, 1
	s_delay_alu instid0(VALU_DEP_1)
	v_add3_u32 v55, v5, v16, 0x7fff
                                        ; implicit-def: $vgpr5
; %bb.2711:                             ;   in Loop: Header=BB8_2637 Depth=3
	s_and_not1_saveexec_b32 s76, s76
; %bb.2712:                             ;   in Loop: Header=BB8_2637 Depth=3
	v_and_b32_e32 v16, 0xffff, v5
	v_or_b32_e32 v18, 0x10000, v5
	s_delay_alu instid0(VALU_DEP_2) | instskip(NEXT) | instid1(VALU_DEP_2)
	v_cmp_eq_u32_e32 vcc_lo, 0, v16
	v_cndmask_b32_e32 v55, v18, v5, vcc_lo
; %bb.2713:                             ;   in Loop: Header=BB8_2637 Depth=3
	s_or_b32 exec_lo, exec_lo, s76
	s_wait_loadcnt 0xd
	v_lshlrev_b32_e32 v5, 16, v54
	s_mov_b32 s76, exec_lo
                                        ; implicit-def: $vgpr29
	s_delay_alu instid0(VALU_DEP_1) | instskip(NEXT) | instid1(VALU_DEP_1)
	v_mul_f32_e32 v5, v17, v5
	v_and_b32_e32 v16, 0x7f800000, v5
	s_delay_alu instid0(VALU_DEP_1)
	v_cmpx_ne_u32_e32 0x7f800000, v16
	s_xor_b32 s76, exec_lo, s76
; %bb.2714:                             ;   in Loop: Header=BB8_2637 Depth=3
	v_bfe_u32 v16, v5, 16, 1
	s_delay_alu instid0(VALU_DEP_1)
	v_add3_u32 v29, v5, v16, 0x7fff
                                        ; implicit-def: $vgpr5
; %bb.2715:                             ;   in Loop: Header=BB8_2637 Depth=3
	s_and_not1_saveexec_b32 s76, s76
; %bb.2716:                             ;   in Loop: Header=BB8_2637 Depth=3
	v_and_b32_e32 v16, 0xffff, v5
	v_or_b32_e32 v18, 0x10000, v5
	s_delay_alu instid0(VALU_DEP_2) | instskip(NEXT) | instid1(VALU_DEP_2)
	v_cmp_eq_u32_e32 vcc_lo, 0, v16
	v_cndmask_b32_e32 v29, v18, v5, vcc_lo
; %bb.2717:                             ;   in Loop: Header=BB8_2637 Depth=3
	s_or_b32 exec_lo, exec_lo, s76
	s_wait_loadcnt 0xc
	v_lshlrev_b32_e32 v5, 16, v108
	s_mov_b32 s76, exec_lo
                                        ; implicit-def: $vgpr28
	s_delay_alu instid0(VALU_DEP_1) | instskip(NEXT) | instid1(VALU_DEP_1)
	v_mul_f32_e32 v5, v17, v5
	v_and_b32_e32 v16, 0x7f800000, v5
	s_delay_alu instid0(VALU_DEP_1)
	v_cmpx_ne_u32_e32 0x7f800000, v16
	s_xor_b32 s76, exec_lo, s76
; %bb.2718:                             ;   in Loop: Header=BB8_2637 Depth=3
	v_bfe_u32 v16, v5, 16, 1
	s_delay_alu instid0(VALU_DEP_1)
	v_add3_u32 v28, v5, v16, 0x7fff
                                        ; implicit-def: $vgpr5
; %bb.2719:                             ;   in Loop: Header=BB8_2637 Depth=3
	s_and_not1_saveexec_b32 s76, s76
; %bb.2720:                             ;   in Loop: Header=BB8_2637 Depth=3
	v_and_b32_e32 v16, 0xffff, v5
	v_or_b32_e32 v18, 0x10000, v5
	s_delay_alu instid0(VALU_DEP_2) | instskip(NEXT) | instid1(VALU_DEP_2)
	v_cmp_eq_u32_e32 vcc_lo, 0, v16
	v_cndmask_b32_e32 v28, v18, v5, vcc_lo
; %bb.2721:                             ;   in Loop: Header=BB8_2637 Depth=3
	s_or_b32 exec_lo, exec_lo, s76
	s_wait_loadcnt 0xb
	v_lshlrev_b32_e32 v5, 16, v52
	s_mov_b32 s76, exec_lo
                                        ; implicit-def: $vgpr19
	s_delay_alu instid0(VALU_DEP_1) | instskip(NEXT) | instid1(VALU_DEP_1)
	v_mul_f32_e32 v5, v17, v5
	v_and_b32_e32 v16, 0x7f800000, v5
	s_delay_alu instid0(VALU_DEP_1)
	v_cmpx_ne_u32_e32 0x7f800000, v16
	s_xor_b32 s76, exec_lo, s76
; %bb.2722:                             ;   in Loop: Header=BB8_2637 Depth=3
	v_bfe_u32 v16, v5, 16, 1
	s_delay_alu instid0(VALU_DEP_1)
	v_add3_u32 v19, v5, v16, 0x7fff
                                        ; implicit-def: $vgpr5
; %bb.2723:                             ;   in Loop: Header=BB8_2637 Depth=3
	s_and_not1_saveexec_b32 s76, s76
; %bb.2724:                             ;   in Loop: Header=BB8_2637 Depth=3
	v_and_b32_e32 v16, 0xffff, v5
	v_or_b32_e32 v18, 0x10000, v5
	s_delay_alu instid0(VALU_DEP_2) | instskip(NEXT) | instid1(VALU_DEP_2)
	v_cmp_eq_u32_e32 vcc_lo, 0, v16
	v_cndmask_b32_e32 v19, v18, v5, vcc_lo
; %bb.2725:                             ;   in Loop: Header=BB8_2637 Depth=3
	s_or_b32 exec_lo, exec_lo, s76
	s_wait_loadcnt 0xa
	v_lshlrev_b32_e32 v5, 16, v125
	s_mov_b32 s76, exec_lo
                                        ; implicit-def: $vgpr18
	s_delay_alu instid0(VALU_DEP_1) | instskip(NEXT) | instid1(VALU_DEP_1)
	v_mul_f32_e32 v5, v17, v5
	v_and_b32_e32 v16, 0x7f800000, v5
	s_delay_alu instid0(VALU_DEP_1)
	v_cmpx_ne_u32_e32 0x7f800000, v16
	s_xor_b32 s76, exec_lo, s76
; %bb.2726:                             ;   in Loop: Header=BB8_2637 Depth=3
	v_bfe_u32 v16, v5, 16, 1
	s_delay_alu instid0(VALU_DEP_1)
	v_add3_u32 v18, v5, v16, 0x7fff
                                        ; implicit-def: $vgpr5
; %bb.2727:                             ;   in Loop: Header=BB8_2637 Depth=3
	s_and_not1_saveexec_b32 s76, s76
; %bb.2728:                             ;   in Loop: Header=BB8_2637 Depth=3
	v_and_b32_e32 v16, 0xffff, v5
	v_or_b32_e32 v18, 0x10000, v5
	s_delay_alu instid0(VALU_DEP_2) | instskip(NEXT) | instid1(VALU_DEP_2)
	v_cmp_eq_u32_e32 vcc_lo, 0, v16
	v_cndmask_b32_e32 v18, v18, v5, vcc_lo
; %bb.2729:                             ;   in Loop: Header=BB8_2637 Depth=3
	s_or_b32 exec_lo, exec_lo, s76
	s_wait_loadcnt 0x9
	v_lshlrev_b32_e32 v5, 16, v106
	s_delay_alu instid0(VALU_DEP_1) | instskip(NEXT) | instid1(VALU_DEP_1)
	v_mul_f32_e32 v5, v17, v5
	v_and_b32_e32 v16, 0x7f800000, v5
	s_delay_alu instid0(VALU_DEP_1) | instskip(SKIP_1) | instid1(SALU_CYCLE_1)
	v_cmp_ne_u32_e32 vcc_lo, 0x7f800000, v16
                                        ; implicit-def: $vgpr16
	s_and_saveexec_b32 s76, vcc_lo
	s_xor_b32 s76, exec_lo, s76
; %bb.2730:                             ;   in Loop: Header=BB8_2637 Depth=3
	v_bfe_u32 v16, v5, 16, 1
	s_delay_alu instid0(VALU_DEP_1)
	v_add3_u32 v16, v5, v16, 0x7fff
                                        ; implicit-def: $vgpr5
; %bb.2731:                             ;   in Loop: Header=BB8_2637 Depth=3
	s_and_not1_saveexec_b32 s76, s76
; %bb.2732:                             ;   in Loop: Header=BB8_2637 Depth=3
	v_and_b32_e32 v16, 0xffff, v5
	v_or_b32_e32 v52, 0x10000, v5
	s_delay_alu instid0(VALU_DEP_2) | instskip(NEXT) | instid1(VALU_DEP_2)
	v_cmp_eq_u32_e32 vcc_lo, 0, v16
	v_cndmask_b32_e32 v16, v52, v5, vcc_lo
; %bb.2733:                             ;   in Loop: Header=BB8_2637 Depth=3
	s_or_b32 exec_lo, exec_lo, s76
	s_wait_loadcnt 0x8
	v_lshlrev_b32_e32 v5, 16, v104
	s_delay_alu instid0(VALU_DEP_1) | instskip(NEXT) | instid1(VALU_DEP_1)
	v_mul_f32_e32 v17, v17, v5
	v_and_b32_e32 v5, 0x7f800000, v17
	s_delay_alu instid0(VALU_DEP_1) | instskip(SKIP_1) | instid1(SALU_CYCLE_1)
	v_cmp_ne_u32_e32 vcc_lo, 0x7f800000, v5
                                        ; implicit-def: $vgpr5
	s_and_saveexec_b32 s76, vcc_lo
	s_xor_b32 s76, exec_lo, s76
; %bb.2734:                             ;   in Loop: Header=BB8_2637 Depth=3
	v_bfe_u32 v5, v17, 16, 1
	s_delay_alu instid0(VALU_DEP_1)
	v_add3_u32 v5, v17, v5, 0x7fff
                                        ; implicit-def: $vgpr17
; %bb.2735:                             ;   in Loop: Header=BB8_2637 Depth=3
	s_and_not1_saveexec_b32 s76, s76
; %bb.2736:                             ;   in Loop: Header=BB8_2637 Depth=3
	v_and_b32_e32 v5, 0xffff, v17
	v_or_b32_e32 v52, 0x10000, v17
	s_delay_alu instid0(VALU_DEP_2) | instskip(NEXT) | instid1(VALU_DEP_2)
	v_cmp_eq_u32_e32 vcc_lo, 0, v5
	v_cndmask_b32_e32 v5, v52, v17, vcc_lo
; %bb.2737:                             ;   in Loop: Header=BB8_2637 Depth=3
	s_or_b32 exec_lo, exec_lo, s76
	v_and_b32_e32 v4, 0xffff0000, v4
	s_wait_loadcnt 0x7
	v_lshlrev_b32_e32 v17, 16, v94
	s_delay_alu instid0(VALU_DEP_1) | instskip(NEXT) | instid1(VALU_DEP_1)
	v_add_f32_e32 v17, v17, v4
	v_and_b32_e32 v4, 0x7f800000, v17
	s_delay_alu instid0(VALU_DEP_1) | instskip(SKIP_1) | instid1(SALU_CYCLE_1)
	v_cmp_ne_u32_e32 vcc_lo, 0x7f800000, v4
                                        ; implicit-def: $vgpr4
	s_and_saveexec_b32 s76, vcc_lo
	s_xor_b32 s76, exec_lo, s76
; %bb.2738:                             ;   in Loop: Header=BB8_2637 Depth=3
	v_bfe_u32 v4, v17, 16, 1
	s_delay_alu instid0(VALU_DEP_1)
	v_add3_u32 v4, v17, v4, 0x7fff
                                        ; implicit-def: $vgpr17
; %bb.2739:                             ;   in Loop: Header=BB8_2637 Depth=3
	s_and_not1_saveexec_b32 s76, s76
; %bb.2740:                             ;   in Loop: Header=BB8_2637 Depth=3
	v_and_b32_e32 v4, 0xffff, v17
	v_or_b32_e32 v52, 0x10000, v17
	s_delay_alu instid0(VALU_DEP_2) | instskip(NEXT) | instid1(VALU_DEP_2)
	v_cmp_eq_u32_e32 vcc_lo, 0, v4
	v_cndmask_b32_e32 v4, v52, v17, vcc_lo
; %bb.2741:                             ;   in Loop: Header=BB8_2637 Depth=3
	s_or_b32 exec_lo, exec_lo, s76
	v_and_b32_e32 v17, 0xffff0000, v55
	s_wait_loadcnt 0x6
	v_lshlrev_b32_e32 v52, 16, v92
	s_delay_alu instid0(VALU_DEP_1) | instskip(NEXT) | instid1(VALU_DEP_1)
	v_add_f32_e32 v52, v52, v17
	v_and_b32_e32 v17, 0x7f800000, v52
	s_delay_alu instid0(VALU_DEP_1) | instskip(SKIP_1) | instid1(SALU_CYCLE_1)
	v_cmp_ne_u32_e32 vcc_lo, 0x7f800000, v17
                                        ; implicit-def: $vgpr17
	s_and_saveexec_b32 s76, vcc_lo
	s_xor_b32 s76, exec_lo, s76
; %bb.2742:                             ;   in Loop: Header=BB8_2637 Depth=3
	v_bfe_u32 v17, v52, 16, 1
	s_delay_alu instid0(VALU_DEP_1)
	v_add3_u32 v17, v52, v17, 0x7fff
                                        ; implicit-def: $vgpr52
; %bb.2743:                             ;   in Loop: Header=BB8_2637 Depth=3
	s_and_not1_saveexec_b32 s76, s76
; %bb.2744:                             ;   in Loop: Header=BB8_2637 Depth=3
	v_and_b32_e32 v17, 0xffff, v52
	v_or_b32_e32 v54, 0x10000, v52
	s_delay_alu instid0(VALU_DEP_2) | instskip(NEXT) | instid1(VALU_DEP_2)
	v_cmp_eq_u32_e32 vcc_lo, 0, v17
	v_cndmask_b32_e32 v17, v54, v52, vcc_lo
; %bb.2745:                             ;   in Loop: Header=BB8_2637 Depth=3
	s_or_b32 exec_lo, exec_lo, s76
	v_and_b32_e32 v29, 0xffff0000, v29
	s_wait_loadcnt 0x5
	v_lshlrev_b32_e32 v51, 16, v51
	s_delay_alu instid0(VALU_DEP_1) | instskip(NEXT) | instid1(VALU_DEP_1)
	v_add_f32_e32 v51, v51, v29
	v_and_b32_e32 v29, 0x7f800000, v51
	s_delay_alu instid0(VALU_DEP_1) | instskip(SKIP_1) | instid1(SALU_CYCLE_1)
	v_cmp_ne_u32_e32 vcc_lo, 0x7f800000, v29
                                        ; implicit-def: $vgpr29
	s_and_saveexec_b32 s76, vcc_lo
	s_xor_b32 s76, exec_lo, s76
; %bb.2746:                             ;   in Loop: Header=BB8_2637 Depth=3
	v_bfe_u32 v29, v51, 16, 1
	s_delay_alu instid0(VALU_DEP_1)
	v_add3_u32 v29, v51, v29, 0x7fff
                                        ; implicit-def: $vgpr51
; %bb.2747:                             ;   in Loop: Header=BB8_2637 Depth=3
	s_and_not1_saveexec_b32 s76, s76
; %bb.2748:                             ;   in Loop: Header=BB8_2637 Depth=3
	v_and_b32_e32 v29, 0xffff, v51
	v_or_b32_e32 v52, 0x10000, v51
	s_delay_alu instid0(VALU_DEP_2) | instskip(NEXT) | instid1(VALU_DEP_2)
	v_cmp_eq_u32_e32 vcc_lo, 0, v29
	v_cndmask_b32_e32 v29, v52, v51, vcc_lo
; %bb.2749:                             ;   in Loop: Header=BB8_2637 Depth=3
	s_or_b32 exec_lo, exec_lo, s76
	v_and_b32_e32 v28, 0xffff0000, v28
	s_wait_loadcnt 0x4
	v_lshlrev_b32_e32 v49, 16, v49
	s_delay_alu instid0(VALU_DEP_1) | instskip(NEXT) | instid1(VALU_DEP_1)
	v_add_f32_e32 v49, v49, v28
	v_and_b32_e32 v28, 0x7f800000, v49
	s_delay_alu instid0(VALU_DEP_1) | instskip(SKIP_1) | instid1(SALU_CYCLE_1)
	v_cmp_ne_u32_e32 vcc_lo, 0x7f800000, v28
                                        ; implicit-def: $vgpr28
	s_and_saveexec_b32 s76, vcc_lo
	s_xor_b32 s76, exec_lo, s76
; %bb.2750:                             ;   in Loop: Header=BB8_2637 Depth=3
	v_bfe_u32 v28, v49, 16, 1
	s_delay_alu instid0(VALU_DEP_1)
	v_add3_u32 v28, v49, v28, 0x7fff
                                        ; implicit-def: $vgpr49
; %bb.2751:                             ;   in Loop: Header=BB8_2637 Depth=3
	s_and_not1_saveexec_b32 s76, s76
; %bb.2752:                             ;   in Loop: Header=BB8_2637 Depth=3
	v_and_b32_e32 v28, 0xffff, v49
	v_or_b32_e32 v51, 0x10000, v49
	s_delay_alu instid0(VALU_DEP_2) | instskip(NEXT) | instid1(VALU_DEP_2)
	v_cmp_eq_u32_e32 vcc_lo, 0, v28
	v_cndmask_b32_e32 v28, v51, v49, vcc_lo
; %bb.2753:                             ;   in Loop: Header=BB8_2637 Depth=3
	s_or_b32 exec_lo, exec_lo, s76
	v_and_b32_e32 v19, 0xffff0000, v19
	s_wait_loadcnt 0x3
	v_lshlrev_b32_e32 v48, 16, v48
	s_delay_alu instid0(VALU_DEP_1) | instskip(NEXT) | instid1(VALU_DEP_1)
	v_add_f32_e32 v48, v48, v19
	v_and_b32_e32 v19, 0x7f800000, v48
	s_delay_alu instid0(VALU_DEP_1) | instskip(SKIP_1) | instid1(SALU_CYCLE_1)
	v_cmp_ne_u32_e32 vcc_lo, 0x7f800000, v19
                                        ; implicit-def: $vgpr19
	s_and_saveexec_b32 s76, vcc_lo
	s_xor_b32 s76, exec_lo, s76
; %bb.2754:                             ;   in Loop: Header=BB8_2637 Depth=3
	v_bfe_u32 v19, v48, 16, 1
	s_delay_alu instid0(VALU_DEP_1)
	v_add3_u32 v19, v48, v19, 0x7fff
                                        ; implicit-def: $vgpr48
; %bb.2755:                             ;   in Loop: Header=BB8_2637 Depth=3
	s_and_not1_saveexec_b32 s76, s76
; %bb.2756:                             ;   in Loop: Header=BB8_2637 Depth=3
	v_and_b32_e32 v19, 0xffff, v48
	v_or_b32_e32 v49, 0x10000, v48
	s_delay_alu instid0(VALU_DEP_2) | instskip(NEXT) | instid1(VALU_DEP_2)
	v_cmp_eq_u32_e32 vcc_lo, 0, v19
	v_cndmask_b32_e32 v19, v49, v48, vcc_lo
; %bb.2757:                             ;   in Loop: Header=BB8_2637 Depth=3
	s_or_b32 exec_lo, exec_lo, s76
	v_and_b32_e32 v18, 0xffff0000, v18
	s_wait_loadcnt 0x2
	v_lshlrev_b32_e32 v39, 16, v39
	s_delay_alu instid0(VALU_DEP_1) | instskip(NEXT) | instid1(VALU_DEP_1)
	v_add_f32_e32 v39, v39, v18
	v_and_b32_e32 v18, 0x7f800000, v39
	s_delay_alu instid0(VALU_DEP_1) | instskip(SKIP_1) | instid1(SALU_CYCLE_1)
	v_cmp_ne_u32_e32 vcc_lo, 0x7f800000, v18
                                        ; implicit-def: $vgpr18
	s_and_saveexec_b32 s76, vcc_lo
	s_xor_b32 s76, exec_lo, s76
; %bb.2758:                             ;   in Loop: Header=BB8_2637 Depth=3
	v_bfe_u32 v18, v39, 16, 1
	s_delay_alu instid0(VALU_DEP_1)
	v_add3_u32 v18, v39, v18, 0x7fff
                                        ; implicit-def: $vgpr39
; %bb.2759:                             ;   in Loop: Header=BB8_2637 Depth=3
	s_and_not1_saveexec_b32 s76, s76
; %bb.2760:                             ;   in Loop: Header=BB8_2637 Depth=3
	v_and_b32_e32 v18, 0xffff, v39
	v_or_b32_e32 v48, 0x10000, v39
	s_delay_alu instid0(VALU_DEP_2) | instskip(NEXT) | instid1(VALU_DEP_2)
	v_cmp_eq_u32_e32 vcc_lo, 0, v18
	v_cndmask_b32_e32 v18, v48, v39, vcc_lo
; %bb.2761:                             ;   in Loop: Header=BB8_2637 Depth=3
	s_or_b32 exec_lo, exec_lo, s76
	v_and_b32_e32 v16, 0xffff0000, v16
	s_wait_loadcnt 0x1
	v_lshlrev_b32_e32 v38, 16, v38
	s_delay_alu instid0(VALU_DEP_1) | instskip(NEXT) | instid1(VALU_DEP_1)
	v_add_f32_e32 v38, v38, v16
	v_and_b32_e32 v16, 0x7f800000, v38
	s_delay_alu instid0(VALU_DEP_1) | instskip(SKIP_1) | instid1(SALU_CYCLE_1)
	v_cmp_ne_u32_e32 vcc_lo, 0x7f800000, v16
                                        ; implicit-def: $vgpr16
	s_and_saveexec_b32 s76, vcc_lo
	s_xor_b32 s76, exec_lo, s76
; %bb.2762:                             ;   in Loop: Header=BB8_2637 Depth=3
	v_bfe_u32 v16, v38, 16, 1
	s_delay_alu instid0(VALU_DEP_1)
	v_add3_u32 v16, v38, v16, 0x7fff
                                        ; implicit-def: $vgpr38
; %bb.2763:                             ;   in Loop: Header=BB8_2637 Depth=3
	s_and_not1_saveexec_b32 s76, s76
; %bb.2764:                             ;   in Loop: Header=BB8_2637 Depth=3
	v_and_b32_e32 v16, 0xffff, v38
	v_or_b32_e32 v39, 0x10000, v38
	s_delay_alu instid0(VALU_DEP_2) | instskip(NEXT) | instid1(VALU_DEP_2)
	v_cmp_eq_u32_e32 vcc_lo, 0, v16
	v_cndmask_b32_e32 v16, v39, v38, vcc_lo
; %bb.2765:                             ;   in Loop: Header=BB8_2637 Depth=3
	s_or_b32 exec_lo, exec_lo, s76
	v_and_b32_e32 v5, 0xffff0000, v5
	s_wait_loadcnt 0x0
	v_lshlrev_b32_e32 v37, 16, v37
	s_delay_alu instid0(VALU_DEP_1) | instskip(NEXT) | instid1(VALU_DEP_1)
	v_add_f32_e32 v37, v37, v5
	v_and_b32_e32 v5, 0x7f800000, v37
	s_delay_alu instid0(VALU_DEP_1) | instskip(SKIP_1) | instid1(SALU_CYCLE_1)
	v_cmp_ne_u32_e32 vcc_lo, 0x7f800000, v5
                                        ; implicit-def: $vgpr5
	s_and_saveexec_b32 s76, vcc_lo
	s_xor_b32 s76, exec_lo, s76
; %bb.2766:                             ;   in Loop: Header=BB8_2637 Depth=3
	v_bfe_u32 v5, v37, 16, 1
	s_delay_alu instid0(VALU_DEP_1)
	v_add3_u32 v5, v37, v5, 0x7fff
                                        ; implicit-def: $vgpr37
; %bb.2767:                             ;   in Loop: Header=BB8_2637 Depth=3
	s_and_not1_saveexec_b32 s76, s76
; %bb.2768:                             ;   in Loop: Header=BB8_2637 Depth=3
	v_and_b32_e32 v5, 0xffff, v37
	v_or_b32_e32 v38, 0x10000, v37
	s_delay_alu instid0(VALU_DEP_2) | instskip(NEXT) | instid1(VALU_DEP_2)
	v_cmp_eq_u32_e32 vcc_lo, 0, v5
	v_cndmask_b32_e32 v5, v38, v37, vcc_lo
; %bb.2769:                             ;   in Loop: Header=BB8_2637 Depth=3
	s_or_b32 exec_lo, exec_lo, s76
	v_dual_lshrrev_b32 v19, 16, v19 :: v_dual_lshrrev_b32 v4, 16, v4
	v_dual_lshrrev_b32 v17, 16, v17 :: v_dual_lshrrev_b32 v28, 16, v28
	;; [unrolled: 1-line block ×4, first 2 shown]
	s_clause 0x7
	flat_store_b16 v[10:11], v4 th:TH_STORE_NT
	flat_store_b16 v[10:11], v17 offset:64 th:TH_STORE_NT
	flat_store_b16 v[10:11], v29 offset:128 th:TH_STORE_NT
	;; [unrolled: 1-line block ×7, first 2 shown]
	s_wait_xcnt 0x0
	v_add_nc_u64_e32 v[10:11], 0x200, v[10:11]
	s_clause 0x7
	flat_store_b16 v[8:9], v4 th:TH_STORE_NT
	flat_store_b16 v[8:9], v17 offset:64 th:TH_STORE_NT
	flat_store_b16 v[8:9], v29 offset:128 th:TH_STORE_NT
	;; [unrolled: 1-line block ×7, first 2 shown]
	s_wait_xcnt 0x0
	v_add_nc_u64_e32 v[8:9], 0x200, v[8:9]
	s_and_saveexec_b32 s76, s41
	s_cbranch_execz .LBB8_2636
; %bb.2770:                             ;   in Loop: Header=BB8_2637 Depth=3
	v_add_nc_u64_e32 v[10:11], v[10:11], v[116:117]
	s_delay_alu instid0(VALU_DEP_2)
	v_add_nc_u64_e32 v[8:9], v[8:9], v[116:117]
	v_add_nc_u64_e32 v[12:13], v[12:13], v[116:117]
	;; [unrolled: 1-line block ×3, first 2 shown]
	v_sub_nc_u32_e32 v22, v22, v84
	s_branch .LBB8_2636
.LBB8_2771:                             ;   in Loop: Header=BB8_1943 Depth=2
	s_or_b32 exec_lo, exec_lo, s40
	v_dual_lshlrev_b32 v51, 16, v53 :: v_dual_lshlrev_b32 v49, 16, v126
	v_dual_lshlrev_b32 v48, 16, v107 :: v_dual_lshlrev_b32 v39, 16, v105
	;; [unrolled: 1-line block ×8, first 2 shown]
	s_and_b32 s14, s14, exec_lo
.LBB8_2772:                             ;   in Loop: Header=BB8_1943 Depth=2
	s_or_b32 exec_lo, exec_lo, s13
	s_and_saveexec_b32 s13, s14
	s_cbranch_execz .LBB8_2838
; %bb.2773:                             ;   in Loop: Header=BB8_1943 Depth=2
	s_trap 2
	ds_load_b32 v14, v0
	s_wait_dscnt 0x0
	v_lshlrev_b32_e32 v15, 16, v14
	s_delay_alu instid0(VALU_DEP_1) | instskip(NEXT) | instid1(VALU_DEP_1)
	v_mul_f32_e32 v25, v51, v15
	v_and_b32_e32 v14, 0x7f800000, v25
	s_delay_alu instid0(VALU_DEP_1) | instskip(SKIP_1) | instid1(SALU_CYCLE_1)
	v_cmp_ne_u32_e32 vcc_lo, 0x7f800000, v14
                                        ; implicit-def: $vgpr14
	s_and_saveexec_b32 s14, vcc_lo
	s_xor_b32 s14, exec_lo, s14
; %bb.2774:                             ;   in Loop: Header=BB8_1943 Depth=2
	v_bfe_u32 v14, v25, 16, 1
	s_delay_alu instid0(VALU_DEP_1)
	v_add3_u32 v14, v25, v14, 0x7fff
                                        ; implicit-def: $vgpr25
; %bb.2775:                             ;   in Loop: Header=BB8_1943 Depth=2
	s_and_not1_saveexec_b32 s14, s14
; %bb.2776:                             ;   in Loop: Header=BB8_1943 Depth=2
	v_and_b32_e32 v14, 0xffff, v25
	v_or_b32_e32 v26, 0x10000, v25
	s_delay_alu instid0(VALU_DEP_2) | instskip(NEXT) | instid1(VALU_DEP_2)
	v_cmp_eq_u32_e32 vcc_lo, 0, v14
	v_cndmask_b32_e32 v14, v26, v25, vcc_lo
; %bb.2777:                             ;   in Loop: Header=BB8_1943 Depth=2
	s_or_b32 exec_lo, exec_lo, s14
	v_mul_f32_e32 v25, v49, v15
	s_mov_b32 s14, exec_lo
                                        ; implicit-def: $vgpr34
	s_delay_alu instid0(VALU_DEP_1) | instskip(NEXT) | instid1(VALU_DEP_1)
	v_and_b32_e32 v26, 0x7f800000, v25
	v_cmpx_ne_u32_e32 0x7f800000, v26
	s_xor_b32 s14, exec_lo, s14
; %bb.2778:                             ;   in Loop: Header=BB8_1943 Depth=2
	v_bfe_u32 v26, v25, 16, 1
	s_delay_alu instid0(VALU_DEP_1)
	v_add3_u32 v34, v25, v26, 0x7fff
                                        ; implicit-def: $vgpr25
; %bb.2779:                             ;   in Loop: Header=BB8_1943 Depth=2
	s_and_not1_saveexec_b32 s14, s14
; %bb.2780:                             ;   in Loop: Header=BB8_1943 Depth=2
	v_and_b32_e32 v26, 0xffff, v25
	v_or_b32_e32 v27, 0x10000, v25
	s_delay_alu instid0(VALU_DEP_2) | instskip(NEXT) | instid1(VALU_DEP_2)
	v_cmp_eq_u32_e32 vcc_lo, 0, v26
	v_cndmask_b32_e32 v34, v27, v25, vcc_lo
; %bb.2781:                             ;   in Loop: Header=BB8_1943 Depth=2
	s_or_b32 exec_lo, exec_lo, s14
	v_mul_f32_e32 v25, v48, v15
	s_mov_b32 s14, exec_lo
                                        ; implicit-def: $vgpr33
	s_delay_alu instid0(VALU_DEP_1) | instskip(NEXT) | instid1(VALU_DEP_1)
	v_and_b32_e32 v26, 0x7f800000, v25
	v_cmpx_ne_u32_e32 0x7f800000, v26
	s_xor_b32 s14, exec_lo, s14
; %bb.2782:                             ;   in Loop: Header=BB8_1943 Depth=2
	v_bfe_u32 v26, v25, 16, 1
	s_delay_alu instid0(VALU_DEP_1)
	v_add3_u32 v33, v25, v26, 0x7fff
                                        ; implicit-def: $vgpr25
; %bb.2783:                             ;   in Loop: Header=BB8_1943 Depth=2
	s_and_not1_saveexec_b32 s14, s14
; %bb.2784:                             ;   in Loop: Header=BB8_1943 Depth=2
	v_and_b32_e32 v26, 0xffff, v25
	v_or_b32_e32 v27, 0x10000, v25
	s_delay_alu instid0(VALU_DEP_2) | instskip(NEXT) | instid1(VALU_DEP_2)
	v_cmp_eq_u32_e32 vcc_lo, 0, v26
	v_cndmask_b32_e32 v33, v27, v25, vcc_lo
; %bb.2785:                             ;   in Loop: Header=BB8_1943 Depth=2
	s_or_b32 exec_lo, exec_lo, s14
	v_mul_f32_e32 v25, v39, v15
	s_mov_b32 s14, exec_lo
                                        ; implicit-def: $vgpr32
	s_delay_alu instid0(VALU_DEP_1) | instskip(NEXT) | instid1(VALU_DEP_1)
	v_and_b32_e32 v26, 0x7f800000, v25
	v_cmpx_ne_u32_e32 0x7f800000, v26
	s_xor_b32 s14, exec_lo, s14
; %bb.2786:                             ;   in Loop: Header=BB8_1943 Depth=2
	v_bfe_u32 v26, v25, 16, 1
	s_delay_alu instid0(VALU_DEP_1)
	v_add3_u32 v32, v25, v26, 0x7fff
                                        ; implicit-def: $vgpr25
; %bb.2787:                             ;   in Loop: Header=BB8_1943 Depth=2
	s_and_not1_saveexec_b32 s14, s14
; %bb.2788:                             ;   in Loop: Header=BB8_1943 Depth=2
	v_and_b32_e32 v26, 0xffff, v25
	v_or_b32_e32 v27, 0x10000, v25
	s_delay_alu instid0(VALU_DEP_2) | instskip(NEXT) | instid1(VALU_DEP_2)
	v_cmp_eq_u32_e32 vcc_lo, 0, v26
	v_cndmask_b32_e32 v32, v27, v25, vcc_lo
; %bb.2789:                             ;   in Loop: Header=BB8_1943 Depth=2
	s_or_b32 exec_lo, exec_lo, s14
	v_mul_f32_e32 v25, v38, v15
	s_mov_b32 s14, exec_lo
                                        ; implicit-def: $vgpr27
	s_delay_alu instid0(VALU_DEP_1) | instskip(NEXT) | instid1(VALU_DEP_1)
	v_and_b32_e32 v26, 0x7f800000, v25
	v_cmpx_ne_u32_e32 0x7f800000, v26
	s_xor_b32 s14, exec_lo, s14
; %bb.2790:                             ;   in Loop: Header=BB8_1943 Depth=2
	v_bfe_u32 v26, v25, 16, 1
	s_delay_alu instid0(VALU_DEP_1)
	v_add3_u32 v27, v25, v26, 0x7fff
                                        ; implicit-def: $vgpr25
; %bb.2791:                             ;   in Loop: Header=BB8_1943 Depth=2
	s_and_not1_saveexec_b32 s14, s14
; %bb.2792:                             ;   in Loop: Header=BB8_1943 Depth=2
	v_and_b32_e32 v26, 0xffff, v25
	v_or_b32_e32 v27, 0x10000, v25
	s_delay_alu instid0(VALU_DEP_2) | instskip(NEXT) | instid1(VALU_DEP_2)
	v_cmp_eq_u32_e32 vcc_lo, 0, v26
	v_cndmask_b32_e32 v27, v27, v25, vcc_lo
; %bb.2793:                             ;   in Loop: Header=BB8_1943 Depth=2
	s_or_b32 exec_lo, exec_lo, s14
	v_mul_f32_e32 v25, v37, v15
	s_delay_alu instid0(VALU_DEP_1) | instskip(NEXT) | instid1(VALU_DEP_1)
	v_and_b32_e32 v26, 0x7f800000, v25
	v_cmp_ne_u32_e32 vcc_lo, 0x7f800000, v26
                                        ; implicit-def: $vgpr26
	s_and_saveexec_b32 s14, vcc_lo
	s_delay_alu instid0(SALU_CYCLE_1)
	s_xor_b32 s14, exec_lo, s14
; %bb.2794:                             ;   in Loop: Header=BB8_1943 Depth=2
	v_bfe_u32 v26, v25, 16, 1
	s_delay_alu instid0(VALU_DEP_1)
	v_add3_u32 v26, v25, v26, 0x7fff
                                        ; implicit-def: $vgpr25
; %bb.2795:                             ;   in Loop: Header=BB8_1943 Depth=2
	s_and_not1_saveexec_b32 s14, s14
; %bb.2796:                             ;   in Loop: Header=BB8_1943 Depth=2
	v_and_b32_e32 v26, 0xffff, v25
	v_or_b32_e32 v35, 0x10000, v25
	s_delay_alu instid0(VALU_DEP_2) | instskip(NEXT) | instid1(VALU_DEP_2)
	v_cmp_eq_u32_e32 vcc_lo, 0, v26
	v_cndmask_b32_e32 v26, v35, v25, vcc_lo
; %bb.2797:                             ;   in Loop: Header=BB8_1943 Depth=2
	s_or_b32 exec_lo, exec_lo, s14
	v_mul_f32_e32 v29, v29, v15
	s_delay_alu instid0(VALU_DEP_1) | instskip(NEXT) | instid1(VALU_DEP_1)
	v_and_b32_e32 v25, 0x7f800000, v29
	v_cmp_ne_u32_e32 vcc_lo, 0x7f800000, v25
                                        ; implicit-def: $vgpr25
	s_and_saveexec_b32 s14, vcc_lo
	s_delay_alu instid0(SALU_CYCLE_1)
	s_xor_b32 s14, exec_lo, s14
; %bb.2798:                             ;   in Loop: Header=BB8_1943 Depth=2
	v_bfe_u32 v25, v29, 16, 1
	s_delay_alu instid0(VALU_DEP_1)
	v_add3_u32 v25, v29, v25, 0x7fff
                                        ; implicit-def: $vgpr29
; %bb.2799:                             ;   in Loop: Header=BB8_1943 Depth=2
	s_and_not1_saveexec_b32 s14, s14
; %bb.2800:                             ;   in Loop: Header=BB8_1943 Depth=2
	v_and_b32_e32 v25, 0xffff, v29
	v_or_b32_e32 v35, 0x10000, v29
	s_delay_alu instid0(VALU_DEP_2) | instskip(NEXT) | instid1(VALU_DEP_2)
	v_cmp_eq_u32_e32 vcc_lo, 0, v25
	v_cndmask_b32_e32 v25, v35, v29, vcc_lo
; %bb.2801:                             ;   in Loop: Header=BB8_1943 Depth=2
	s_or_b32 exec_lo, exec_lo, s14
	v_mul_f32_e32 v28, v28, v15
	s_delay_alu instid0(VALU_DEP_1) | instskip(NEXT) | instid1(VALU_DEP_1)
	v_and_b32_e32 v15, 0x7f800000, v28
	v_cmp_ne_u32_e32 vcc_lo, 0x7f800000, v15
                                        ; implicit-def: $vgpr15
	s_and_saveexec_b32 s14, vcc_lo
	s_delay_alu instid0(SALU_CYCLE_1)
	s_xor_b32 s14, exec_lo, s14
; %bb.2802:                             ;   in Loop: Header=BB8_1943 Depth=2
	v_bfe_u32 v15, v28, 16, 1
	s_delay_alu instid0(VALU_DEP_1)
	v_add3_u32 v15, v28, v15, 0x7fff
                                        ; implicit-def: $vgpr28
; %bb.2803:                             ;   in Loop: Header=BB8_1943 Depth=2
	s_and_not1_saveexec_b32 s14, s14
; %bb.2804:                             ;   in Loop: Header=BB8_1943 Depth=2
	v_and_b32_e32 v15, 0xffff, v28
	v_or_b32_e32 v29, 0x10000, v28
	s_delay_alu instid0(VALU_DEP_2) | instskip(NEXT) | instid1(VALU_DEP_2)
	v_cmp_eq_u32_e32 vcc_lo, 0, v15
	v_cndmask_b32_e32 v15, v29, v28, vcc_lo
; %bb.2805:                             ;   in Loop: Header=BB8_1943 Depth=2
	s_or_b32 exec_lo, exec_lo, s14
	v_and_b32_e32 v14, 0xffff0000, v14
	s_delay_alu instid0(VALU_DEP_1) | instskip(NEXT) | instid1(VALU_DEP_1)
	v_add_f32_e32 v19, v19, v14
	v_and_b32_e32 v14, 0x7f800000, v19
	s_delay_alu instid0(VALU_DEP_1) | instskip(SKIP_1) | instid1(SALU_CYCLE_1)
	v_cmp_ne_u32_e32 vcc_lo, 0x7f800000, v14
                                        ; implicit-def: $vgpr14
	s_and_saveexec_b32 s14, vcc_lo
	s_xor_b32 s14, exec_lo, s14
; %bb.2806:                             ;   in Loop: Header=BB8_1943 Depth=2
	v_bfe_u32 v14, v19, 16, 1
	s_delay_alu instid0(VALU_DEP_1)
	v_add3_u32 v14, v19, v14, 0x7fff
                                        ; implicit-def: $vgpr19
; %bb.2807:                             ;   in Loop: Header=BB8_1943 Depth=2
	s_and_not1_saveexec_b32 s14, s14
; %bb.2808:                             ;   in Loop: Header=BB8_1943 Depth=2
	v_and_b32_e32 v14, 0xffff, v19
	v_or_b32_e32 v28, 0x10000, v19
	s_delay_alu instid0(VALU_DEP_2) | instskip(NEXT) | instid1(VALU_DEP_2)
	v_cmp_eq_u32_e32 vcc_lo, 0, v14
	v_cndmask_b32_e32 v14, v28, v19, vcc_lo
; %bb.2809:                             ;   in Loop: Header=BB8_1943 Depth=2
	s_or_b32 exec_lo, exec_lo, s14
	v_and_b32_e32 v19, 0xffff0000, v34
	s_delay_alu instid0(VALU_DEP_1) | instskip(NEXT) | instid1(VALU_DEP_1)
	v_add_f32_e32 v19, v18, v19
	v_and_b32_e32 v18, 0x7f800000, v19
	s_delay_alu instid0(VALU_DEP_1) | instskip(SKIP_1) | instid1(SALU_CYCLE_1)
	v_cmp_ne_u32_e32 vcc_lo, 0x7f800000, v18
                                        ; implicit-def: $vgpr18
	s_and_saveexec_b32 s14, vcc_lo
	s_xor_b32 s14, exec_lo, s14
; %bb.2810:                             ;   in Loop: Header=BB8_1943 Depth=2
	v_bfe_u32 v18, v19, 16, 1
	s_delay_alu instid0(VALU_DEP_1)
	v_add3_u32 v18, v19, v18, 0x7fff
                                        ; implicit-def: $vgpr19
; %bb.2811:                             ;   in Loop: Header=BB8_1943 Depth=2
	s_and_not1_saveexec_b32 s14, s14
; %bb.2812:                             ;   in Loop: Header=BB8_1943 Depth=2
	v_and_b32_e32 v18, 0xffff, v19
	v_or_b32_e32 v28, 0x10000, v19
	s_delay_alu instid0(VALU_DEP_2) | instskip(NEXT) | instid1(VALU_DEP_2)
	v_cmp_eq_u32_e32 vcc_lo, 0, v18
	v_cndmask_b32_e32 v18, v28, v19, vcc_lo
; %bb.2813:                             ;   in Loop: Header=BB8_1943 Depth=2
	s_or_b32 exec_lo, exec_lo, s14
	v_and_b32_e32 v19, 0xffff0000, v33
	s_delay_alu instid0(VALU_DEP_1) | instskip(NEXT) | instid1(VALU_DEP_1)
	v_add_f32_e32 v19, v17, v19
	v_and_b32_e32 v17, 0x7f800000, v19
	s_delay_alu instid0(VALU_DEP_1) | instskip(SKIP_1) | instid1(SALU_CYCLE_1)
	v_cmp_ne_u32_e32 vcc_lo, 0x7f800000, v17
                                        ; implicit-def: $vgpr17
	s_and_saveexec_b32 s14, vcc_lo
	s_xor_b32 s14, exec_lo, s14
; %bb.2814:                             ;   in Loop: Header=BB8_1943 Depth=2
	v_bfe_u32 v17, v19, 16, 1
	s_delay_alu instid0(VALU_DEP_1)
	v_add3_u32 v17, v19, v17, 0x7fff
                                        ; implicit-def: $vgpr19
; %bb.2815:                             ;   in Loop: Header=BB8_1943 Depth=2
	s_and_not1_saveexec_b32 s14, s14
; %bb.2816:                             ;   in Loop: Header=BB8_1943 Depth=2
	v_and_b32_e32 v17, 0xffff, v19
	v_or_b32_e32 v28, 0x10000, v19
	s_delay_alu instid0(VALU_DEP_2) | instskip(NEXT) | instid1(VALU_DEP_2)
	v_cmp_eq_u32_e32 vcc_lo, 0, v17
	v_cndmask_b32_e32 v17, v28, v19, vcc_lo
; %bb.2817:                             ;   in Loop: Header=BB8_1943 Depth=2
	s_or_b32 exec_lo, exec_lo, s14
	v_and_b32_e32 v19, 0xffff0000, v32
	s_delay_alu instid0(VALU_DEP_1) | instskip(NEXT) | instid1(VALU_DEP_1)
	v_add_f32_e32 v19, v16, v19
	v_and_b32_e32 v16, 0x7f800000, v19
	s_delay_alu instid0(VALU_DEP_1) | instskip(SKIP_1) | instid1(SALU_CYCLE_1)
	v_cmp_ne_u32_e32 vcc_lo, 0x7f800000, v16
                                        ; implicit-def: $vgpr16
	s_and_saveexec_b32 s14, vcc_lo
	s_xor_b32 s14, exec_lo, s14
; %bb.2818:                             ;   in Loop: Header=BB8_1943 Depth=2
	v_bfe_u32 v16, v19, 16, 1
	s_delay_alu instid0(VALU_DEP_1)
	v_add3_u32 v16, v19, v16, 0x7fff
                                        ; implicit-def: $vgpr19
; %bb.2819:                             ;   in Loop: Header=BB8_1943 Depth=2
	s_and_not1_saveexec_b32 s14, s14
; %bb.2820:                             ;   in Loop: Header=BB8_1943 Depth=2
	v_and_b32_e32 v16, 0xffff, v19
	v_or_b32_e32 v28, 0x10000, v19
	s_delay_alu instid0(VALU_DEP_2) | instskip(NEXT) | instid1(VALU_DEP_2)
	v_cmp_eq_u32_e32 vcc_lo, 0, v16
	v_cndmask_b32_e32 v16, v28, v19, vcc_lo
; %bb.2821:                             ;   in Loop: Header=BB8_1943 Depth=2
	s_or_b32 exec_lo, exec_lo, s14
	v_and_b32_e32 v19, 0xffff0000, v27
	s_delay_alu instid0(VALU_DEP_1) | instskip(NEXT) | instid1(VALU_DEP_1)
	v_add_f32_e32 v19, v13, v19
	v_and_b32_e32 v13, 0x7f800000, v19
	s_delay_alu instid0(VALU_DEP_1) | instskip(SKIP_1) | instid1(SALU_CYCLE_1)
	v_cmp_ne_u32_e32 vcc_lo, 0x7f800000, v13
                                        ; implicit-def: $vgpr13
	s_and_saveexec_b32 s14, vcc_lo
	s_xor_b32 s14, exec_lo, s14
; %bb.2822:                             ;   in Loop: Header=BB8_1943 Depth=2
	v_bfe_u32 v13, v19, 16, 1
	s_delay_alu instid0(VALU_DEP_1)
	v_add3_u32 v13, v19, v13, 0x7fff
                                        ; implicit-def: $vgpr19
; %bb.2823:                             ;   in Loop: Header=BB8_1943 Depth=2
	s_and_not1_saveexec_b32 s14, s14
; %bb.2824:                             ;   in Loop: Header=BB8_1943 Depth=2
	v_and_b32_e32 v13, 0xffff, v19
	v_or_b32_e32 v27, 0x10000, v19
	s_delay_alu instid0(VALU_DEP_2) | instskip(NEXT) | instid1(VALU_DEP_2)
	v_cmp_eq_u32_e32 vcc_lo, 0, v13
	v_cndmask_b32_e32 v13, v27, v19, vcc_lo
; %bb.2825:                             ;   in Loop: Header=BB8_1943 Depth=2
	s_or_b32 exec_lo, exec_lo, s14
	v_and_b32_e32 v19, 0xffff0000, v26
	s_delay_alu instid0(VALU_DEP_1) | instskip(NEXT) | instid1(VALU_DEP_1)
	v_add_f32_e32 v19, v5, v19
	v_and_b32_e32 v5, 0x7f800000, v19
	s_delay_alu instid0(VALU_DEP_1) | instskip(SKIP_1) | instid1(SALU_CYCLE_1)
	v_cmp_ne_u32_e32 vcc_lo, 0x7f800000, v5
                                        ; implicit-def: $vgpr5
	s_and_saveexec_b32 s14, vcc_lo
	s_xor_b32 s14, exec_lo, s14
; %bb.2826:                             ;   in Loop: Header=BB8_1943 Depth=2
	v_bfe_u32 v5, v19, 16, 1
	s_delay_alu instid0(VALU_DEP_1)
	v_add3_u32 v5, v19, v5, 0x7fff
                                        ; implicit-def: $vgpr19
; %bb.2827:                             ;   in Loop: Header=BB8_1943 Depth=2
	s_and_not1_saveexec_b32 s14, s14
; %bb.2828:                             ;   in Loop: Header=BB8_1943 Depth=2
	v_and_b32_e32 v5, 0xffff, v19
	v_or_b32_e32 v26, 0x10000, v19
	s_delay_alu instid0(VALU_DEP_2) | instskip(NEXT) | instid1(VALU_DEP_2)
	v_cmp_eq_u32_e32 vcc_lo, 0, v5
	v_cndmask_b32_e32 v5, v26, v19, vcc_lo
; %bb.2829:                             ;   in Loop: Header=BB8_1943 Depth=2
	s_or_b32 exec_lo, exec_lo, s14
	v_and_b32_e32 v19, 0xffff0000, v25
	s_delay_alu instid0(VALU_DEP_1) | instskip(NEXT) | instid1(VALU_DEP_1)
	v_add_f32_e32 v19, v4, v19
	v_and_b32_e32 v4, 0x7f800000, v19
	s_delay_alu instid0(VALU_DEP_1) | instskip(SKIP_1) | instid1(SALU_CYCLE_1)
	v_cmp_ne_u32_e32 vcc_lo, 0x7f800000, v4
                                        ; implicit-def: $vgpr4
	s_and_saveexec_b32 s14, vcc_lo
	s_xor_b32 s14, exec_lo, s14
; %bb.2830:                             ;   in Loop: Header=BB8_1943 Depth=2
	v_bfe_u32 v4, v19, 16, 1
	s_delay_alu instid0(VALU_DEP_1)
	v_add3_u32 v4, v19, v4, 0x7fff
                                        ; implicit-def: $vgpr19
; %bb.2831:                             ;   in Loop: Header=BB8_1943 Depth=2
	s_and_not1_saveexec_b32 s14, s14
; %bb.2832:                             ;   in Loop: Header=BB8_1943 Depth=2
	v_and_b32_e32 v4, 0xffff, v19
	v_or_b32_e32 v25, 0x10000, v19
	s_delay_alu instid0(VALU_DEP_2) | instskip(NEXT) | instid1(VALU_DEP_2)
	v_cmp_eq_u32_e32 vcc_lo, 0, v4
	v_cndmask_b32_e32 v4, v25, v19, vcc_lo
; %bb.2833:                             ;   in Loop: Header=BB8_1943 Depth=2
	s_or_b32 exec_lo, exec_lo, s14
	v_and_b32_e32 v15, 0xffff0000, v15
	s_delay_alu instid0(VALU_DEP_1) | instskip(NEXT) | instid1(VALU_DEP_1)
	v_add_f32_e32 v15, v12, v15
	v_and_b32_e32 v12, 0x7f800000, v15
	s_delay_alu instid0(VALU_DEP_1) | instskip(SKIP_1) | instid1(SALU_CYCLE_1)
	v_cmp_ne_u32_e32 vcc_lo, 0x7f800000, v12
                                        ; implicit-def: $vgpr12
	s_and_saveexec_b32 s14, vcc_lo
	s_xor_b32 s14, exec_lo, s14
; %bb.2834:                             ;   in Loop: Header=BB8_1943 Depth=2
	v_bfe_u32 v12, v15, 16, 1
	s_delay_alu instid0(VALU_DEP_1)
	v_add3_u32 v12, v15, v12, 0x7fff
                                        ; implicit-def: $vgpr15
; %bb.2835:                             ;   in Loop: Header=BB8_1943 Depth=2
	s_and_not1_saveexec_b32 s14, s14
; %bb.2836:                             ;   in Loop: Header=BB8_1943 Depth=2
	v_and_b32_e32 v12, 0xffff, v15
	v_or_b32_e32 v19, 0x10000, v15
	s_delay_alu instid0(VALU_DEP_2) | instskip(NEXT) | instid1(VALU_DEP_2)
	v_cmp_eq_u32_e32 vcc_lo, 0, v12
	v_cndmask_b32_e32 v12, v19, v15, vcc_lo
; %bb.2837:                             ;   in Loop: Header=BB8_1943 Depth=2
	s_or_b32 exec_lo, exec_lo, s14
	v_dual_lshrrev_b32 v13, 16, v13 :: v_dual_lshrrev_b32 v14, 16, v14
	v_dual_lshrrev_b32 v15, 16, v18 :: v_dual_lshrrev_b32 v17, 16, v17
	v_lshrrev_b32_e32 v16, 16, v16
	v_dual_lshrrev_b32 v4, 16, v4 :: v_dual_lshrrev_b32 v5, 16, v5
	v_lshrrev_b32_e32 v12, 16, v12
	s_clause 0x7
	flat_store_b16 v[10:11], v14 th:TH_STORE_NT
	flat_store_b16 v[10:11], v15 offset:64 th:TH_STORE_NT
	flat_store_b16 v[10:11], v17 offset:128 th:TH_STORE_NT
	;; [unrolled: 1-line block ×7, first 2 shown]
	s_clause 0x7
	flat_store_b16 v[8:9], v14 th:TH_STORE_NT
	flat_store_b16 v[8:9], v15 offset:64 th:TH_STORE_NT
	flat_store_b16 v[8:9], v17 offset:128 th:TH_STORE_NT
	;; [unrolled: 1-line block ×7, first 2 shown]
.LBB8_2838:                             ;   in Loop: Header=BB8_1943 Depth=2
	s_wait_xcnt 0x0
	s_or_b32 exec_lo, exec_lo, s13
	v_lshlrev_b32_e32 v4, 9, v24
	s_delay_alu instid0(VALU_DEP_1)
	v_cmp_ne_u32_e32 vcc_lo, v20, v4
	s_and_b32 exec_lo, exec_lo, vcc_lo
	s_cbranch_execz .LBB8_2882
; %bb.2839:                             ;   in Loop: Header=BB8_1943 Depth=2
	v_lshlrev_b32_e32 v5, 5, v22
	s_delay_alu instid0(VALU_DEP_1) | instskip(NEXT) | instid1(VALU_DEP_1)
	v_sub_nc_u32_e32 v5, v23, v5
	v_ashrrev_i32_e32 v8, 31, v5
	s_delay_alu instid0(VALU_DEP_1) | instskip(NEXT) | instid1(VALU_DEP_1)
	v_lshrrev_b32_e32 v8, 27, v8
	v_add_nc_u32_e32 v8, v5, v8
	s_delay_alu instid0(VALU_DEP_1) | instskip(NEXT) | instid1(VALU_DEP_1)
	v_and_b32_e32 v9, 0x7fffffe0, v8
	v_dual_lshlrev_b32 v8, 1, v8 :: v_dual_sub_nc_u32 v5, v5, v9
	s_delay_alu instid0(VALU_DEP_1) | instskip(NEXT) | instid1(VALU_DEP_2)
	v_and_b32_e32 v8, 0xffffffc0, v8
	v_lshlrev_b32_e32 v5, 1, v5
	s_delay_alu instid0(VALU_DEP_1) | instskip(NEXT) | instid1(VALU_DEP_1)
	v_add3_u32 v5, v8, v5, v4
	v_sub_nc_u32_e32 v4, v20, v5
	s_delay_alu instid0(VALU_DEP_1)
	v_cmp_lt_i32_e32 vcc_lo, 1, v4
	s_and_b32 exec_lo, exec_lo, vcc_lo
	s_cbranch_execz .LBB8_2882
; %bb.2840:                             ;   in Loop: Header=BB8_1943 Depth=2
	s_trap 2
	ds_load_b64 v[14:15], v0
	v_add_nc_u32_e32 v16, v5, v21
	s_mov_b32 s78, 0
	s_mov_b32 s76, 0
                                        ; implicit-def: $sgpr77
	s_delay_alu instid0(VALU_DEP_1) | instskip(NEXT) | instid1(VALU_DEP_1)
	v_ashrrev_i32_e32 v17, 31, v16
	v_add_nc_u64_e32 v[8:9], v[88:89], v[16:17]
	v_add_nc_u64_e32 v[10:11], v[90:91], v[16:17]
	;; [unrolled: 1-line block ×3, first 2 shown]
	s_wait_dscnt 0x0
	v_add_nc_u64_e32 v[14:15], v[14:15], v[16:17]
	s_branch .LBB8_2842
.LBB8_2841:                             ;   in Loop: Header=BB8_2842 Depth=3
	s_or_b32 exec_lo, exec_lo, s13
	s_delay_alu instid0(VALU_DEP_1) | instskip(SKIP_3) | instid1(SALU_CYCLE_1)
	v_cmp_gt_i32_e32 vcc_lo, 2, v4
	s_or_b32 s76, vcc_lo, s76
	s_and_not1_b32 s13, s77, exec_lo
	s_and_b32 s14, s78, exec_lo
	s_or_b32 s77, s13, s14
	s_and_not1_b32 exec_lo, exec_lo, s76
	s_cbranch_execz .LBB8_2871
.LBB8_2842:                             ;   Parent Loop BB8_47 Depth=1
                                        ;     Parent Loop BB8_1943 Depth=2
                                        ; =>    This Loop Header: Depth=3
                                        ;         Child Loop BB8_2843 Depth 4
                                        ;         Child Loop BB8_2854 Depth 4
	;; [unrolled: 1-line block ×4, first 2 shown]
	s_add_co_i32 s13, s33, 0xc0
	s_mov_b64 s[40:41], 0
	s_mov_b32 s79, s13
	s_mov_b32 s88, -1
.LBB8_2843:                             ;   Parent Loop BB8_47 Depth=1
                                        ;     Parent Loop BB8_1943 Depth=2
                                        ;       Parent Loop BB8_2842 Depth=3
                                        ; =>      This Inner Loop Header: Depth=4
	s_cmp_eq_u32 s40, 1
	s_cselect_b32 vcc_lo, -1, 0
	s_cmp_eq_u32 s40, 0
	v_dual_cndmask_b32 v17, v13, v15 :: v_dual_cndmask_b32 v16, v12, v14
	s_cselect_b32 s13, -1, 0
	s_and_b32 s14, exec_lo, s88
	s_mov_b64 s[40:41], 1
	s_mov_b32 s88, 0
	flat_load_u16 v5, v[16:17] th:TH_LOAD_NT
	s_wait_xcnt 0x0
	v_add_nc_u64_e32 v[16:17], 64, v[16:17]
	s_delay_alu instid0(VALU_DEP_1)
	v_dual_cndmask_b32 v13, v13, v17, s13 :: v_dual_cndmask_b32 v12, v12, v16, s13
	v_dual_cndmask_b32 v15, v15, v17 :: v_dual_cndmask_b32 v14, v14, v16
	s_add_co_i32 s13, s33, 0xe0
	s_mov_b32 vcc_lo, s14
	s_wait_loadcnt_dscnt 0x0
	scratch_store_b16 off, v5, s79
	s_wait_xcnt 0x0
	s_mov_b32 s79, s13
	s_cbranch_vccnz .LBB8_2843
; %bb.2844:                             ;   in Loop: Header=BB8_2842 Depth=3
	s_and_saveexec_b32 s79, s78
	s_cbranch_execz .LBB8_2856
; %bb.2845:                             ;   in Loop: Header=BB8_2842 Depth=3
	s_trap 2
	scratch_load_u16 v5, off, s33 offset:188
	ds_load_b32 v16, v0
	s_wait_loadcnt_dscnt 0x0
	v_dual_lshlrev_b32 v16, 16, v16 :: v_dual_lshlrev_b32 v5, 16, v5
	s_delay_alu instid0(VALU_DEP_1) | instskip(NEXT) | instid1(VALU_DEP_1)
	v_mul_f32_e32 v5, v16, v5
	v_and_b32_e32 v16, 0x7f800000, v5
	s_delay_alu instid0(VALU_DEP_1) | instskip(SKIP_2) | instid1(SALU_CYCLE_1)
	v_cmp_ne_u32_e32 vcc_lo, 0x7f800000, v16
                                        ; implicit-def: $vgpr16
	s_wait_xcnt 0x0
	s_and_saveexec_b32 s13, vcc_lo
	s_xor_b32 s13, exec_lo, s13
; %bb.2846:                             ;   in Loop: Header=BB8_2842 Depth=3
	v_bfe_u32 v16, v5, 16, 1
	s_delay_alu instid0(VALU_DEP_1)
	v_add3_u32 v16, v5, v16, 0x7fff
                                        ; implicit-def: $vgpr5
; %bb.2847:                             ;   in Loop: Header=BB8_2842 Depth=3
	s_and_not1_saveexec_b32 s13, s13
; %bb.2848:                             ;   in Loop: Header=BB8_2842 Depth=3
	v_and_b32_e32 v16, 0xffff, v5
	v_or_b32_e32 v17, 0x10000, v5
	s_delay_alu instid0(VALU_DEP_2) | instskip(NEXT) | instid1(VALU_DEP_2)
	v_cmp_eq_u32_e32 vcc_lo, 0, v16
	v_cndmask_b32_e32 v16, v17, v5, vcc_lo
; %bb.2849:                             ;   in Loop: Header=BB8_2842 Depth=3
	s_or_b32 exec_lo, exec_lo, s13
	scratch_load_u16 v5, off, s33 offset:190
	v_and_b32_e32 v16, 0xffff0000, v16
	s_wait_loadcnt 0x0
	v_lshlrev_b32_e32 v5, 16, v5
	s_delay_alu instid0(VALU_DEP_1) | instskip(NEXT) | instid1(VALU_DEP_1)
	v_add_f32_e32 v5, v16, v5
	v_and_b32_e32 v16, 0x7f800000, v5
	s_delay_alu instid0(VALU_DEP_1) | instskip(SKIP_2) | instid1(SALU_CYCLE_1)
	v_cmp_ne_u32_e32 vcc_lo, 0x7f800000, v16
                                        ; implicit-def: $vgpr16
	s_wait_xcnt 0x0
	s_and_saveexec_b32 s13, vcc_lo
	s_xor_b32 s13, exec_lo, s13
; %bb.2850:                             ;   in Loop: Header=BB8_2842 Depth=3
	v_bfe_u32 v16, v5, 16, 1
	s_delay_alu instid0(VALU_DEP_1)
	v_add3_u32 v16, v5, v16, 0x7fff
                                        ; implicit-def: $vgpr5
; %bb.2851:                             ;   in Loop: Header=BB8_2842 Depth=3
	s_and_not1_saveexec_b32 s13, s13
; %bb.2852:                             ;   in Loop: Header=BB8_2842 Depth=3
	v_and_b32_e32 v16, 0xffff, v5
	v_or_b32_e32 v17, 0x10000, v5
	s_delay_alu instid0(VALU_DEP_2) | instskip(NEXT) | instid1(VALU_DEP_2)
	v_cmp_eq_u32_e32 vcc_lo, 0, v16
	v_cndmask_b32_e32 v16, v17, v5, vcc_lo
; %bb.2853:                             ;   in Loop: Header=BB8_2842 Depth=3
	s_or_b32 exec_lo, exec_lo, s13
	s_delay_alu instid0(VALU_DEP_1)
	v_lshrrev_b32_e32 v5, 16, v16
	s_mov_b64 s[40:41], 0
	s_mov_b32 s78, -1
	scratch_store_b16 off, v5, s33 offset:188
.LBB8_2854:                             ;   Parent Loop BB8_47 Depth=1
                                        ;     Parent Loop BB8_1943 Depth=2
                                        ;       Parent Loop BB8_2842 Depth=3
                                        ; =>      This Inner Loop Header: Depth=4
	s_cmp_eq_u32 s40, 1
	s_cselect_b32 vcc_lo, -1, 0
	s_cmp_eq_u32 s40, 0
	s_wait_xcnt 0x0
	v_dual_cndmask_b32 v17, v9, v11 :: v_dual_cndmask_b32 v16, v8, v10
	s_cselect_b32 s13, -1, 0
	s_and_b32 s14, exec_lo, s78
	s_mov_b64 s[40:41], 1
	s_mov_b32 s78, 0
	v_add_nc_u64_e32 v[18:19], 64, v[16:17]
	flat_store_b16 v[16:17], v5 th:TH_STORE_NT
	v_dual_cndmask_b32 v11, v11, v19 :: v_dual_cndmask_b32 v10, v10, v18
	v_dual_cndmask_b32 v9, v9, v19, s13 :: v_dual_cndmask_b32 v8, v8, v18, s13
	s_mov_b32 vcc_lo, s14
	s_cbranch_vccnz .LBB8_2854
; %bb.2855:                             ;   in Loop: Header=BB8_2842 Depth=3
	s_delay_alu instid0(VALU_DEP_1)
	v_add_nc_u64_e32 v[8:9], v[8:9], v[118:119]
	v_add_nc_u64_e32 v[10:11], v[10:11], v[118:119]
.LBB8_2856:                             ;   in Loop: Header=BB8_2842 Depth=3
	s_wait_xcnt 0x0
	s_or_b32 exec_lo, exec_lo, s79
	v_sub_nc_u32_e32 v4, v4, v123
	v_add_nc_u64_e32 v[12:13], v[12:13], v[118:119]
	v_add_nc_u64_e32 v[14:15], v[14:15], v[118:119]
	s_delay_alu instid0(VALU_DEP_3)
	v_cmp_lt_i32_e64 s78, 1, v4
	s_and_saveexec_b32 s79, s78
	s_cbranch_execz .LBB8_2859
; %bb.2857:                             ;   in Loop: Header=BB8_2842 Depth=3
	s_add_co_i32 s13, s33, 0xbc
	s_mov_b64 s[40:41], 0
	s_mov_b32 s88, s13
	s_mov_b32 s89, -1
.LBB8_2858:                             ;   Parent Loop BB8_47 Depth=1
                                        ;     Parent Loop BB8_1943 Depth=2
                                        ;       Parent Loop BB8_2842 Depth=3
                                        ; =>      This Inner Loop Header: Depth=4
	s_cmp_eq_u32 s40, 1
	s_cselect_b32 vcc_lo, -1, 0
	s_cmp_eq_u32 s40, 0
	v_dual_cndmask_b32 v17, v13, v15 :: v_dual_cndmask_b32 v16, v12, v14
	s_cselect_b32 s13, -1, 0
	s_and_b32 s14, exec_lo, s89
	s_mov_b64 s[40:41], 1
	s_mov_b32 s89, 0
	flat_load_u16 v5, v[16:17] th:TH_LOAD_NT
	s_wait_xcnt 0x0
	v_add_nc_u64_e32 v[16:17], 64, v[16:17]
	s_delay_alu instid0(VALU_DEP_1)
	v_dual_cndmask_b32 v13, v13, v17, s13 :: v_dual_cndmask_b32 v12, v12, v16, s13
	v_dual_cndmask_b32 v15, v15, v17 :: v_dual_cndmask_b32 v14, v14, v16
	s_add_co_i32 s13, s33, 0xbe
	s_mov_b32 vcc_lo, s14
	s_wait_loadcnt_dscnt 0x0
	scratch_store_b16 off, v5, s88
	s_wait_xcnt 0x0
	s_mov_b32 s88, s13
	s_cbranch_vccnz .LBB8_2858
.LBB8_2859:                             ;   in Loop: Header=BB8_2842 Depth=3
	s_or_b32 exec_lo, exec_lo, s79
	s_trap 2
	scratch_load_u16 v5, off, s33 offset:192
	ds_load_b32 v16, v0
	s_wait_loadcnt_dscnt 0x0
	v_dual_lshlrev_b32 v16, 16, v16 :: v_dual_lshlrev_b32 v5, 16, v5
	s_delay_alu instid0(VALU_DEP_1) | instskip(NEXT) | instid1(VALU_DEP_1)
	v_mul_f32_e32 v5, v16, v5
	v_and_b32_e32 v16, 0x7f800000, v5
	s_delay_alu instid0(VALU_DEP_1) | instskip(SKIP_2) | instid1(SALU_CYCLE_1)
	v_cmp_ne_u32_e32 vcc_lo, 0x7f800000, v16
                                        ; implicit-def: $vgpr16
	s_wait_xcnt 0x0
	s_and_saveexec_b32 s13, vcc_lo
	s_xor_b32 s13, exec_lo, s13
; %bb.2860:                             ;   in Loop: Header=BB8_2842 Depth=3
	v_bfe_u32 v16, v5, 16, 1
	s_delay_alu instid0(VALU_DEP_1)
	v_add3_u32 v16, v5, v16, 0x7fff
                                        ; implicit-def: $vgpr5
; %bb.2861:                             ;   in Loop: Header=BB8_2842 Depth=3
	s_and_not1_saveexec_b32 s13, s13
; %bb.2862:                             ;   in Loop: Header=BB8_2842 Depth=3
	v_and_b32_e32 v16, 0xffff, v5
	v_or_b32_e32 v17, 0x10000, v5
	s_delay_alu instid0(VALU_DEP_2) | instskip(NEXT) | instid1(VALU_DEP_2)
	v_cmp_eq_u32_e32 vcc_lo, 0, v16
	v_cndmask_b32_e32 v16, v17, v5, vcc_lo
; %bb.2863:                             ;   in Loop: Header=BB8_2842 Depth=3
	s_or_b32 exec_lo, exec_lo, s13
	scratch_load_u16 v5, off, s33 offset:224
	v_and_b32_e32 v16, 0xffff0000, v16
	s_wait_loadcnt 0x0
	v_lshlrev_b32_e32 v5, 16, v5
	s_delay_alu instid0(VALU_DEP_1) | instskip(NEXT) | instid1(VALU_DEP_1)
	v_add_f32_e32 v5, v16, v5
	v_and_b32_e32 v16, 0x7f800000, v5
	s_delay_alu instid0(VALU_DEP_1) | instskip(SKIP_2) | instid1(SALU_CYCLE_1)
	v_cmp_ne_u32_e32 vcc_lo, 0x7f800000, v16
                                        ; implicit-def: $vgpr16
	s_wait_xcnt 0x0
	s_and_saveexec_b32 s13, vcc_lo
	s_xor_b32 s13, exec_lo, s13
; %bb.2864:                             ;   in Loop: Header=BB8_2842 Depth=3
	v_bfe_u32 v16, v5, 16, 1
	s_delay_alu instid0(VALU_DEP_1)
	v_add3_u32 v16, v5, v16, 0x7fff
                                        ; implicit-def: $vgpr5
; %bb.2865:                             ;   in Loop: Header=BB8_2842 Depth=3
	s_and_not1_saveexec_b32 s13, s13
; %bb.2866:                             ;   in Loop: Header=BB8_2842 Depth=3
	v_and_b32_e32 v16, 0xffff, v5
	v_or_b32_e32 v17, 0x10000, v5
	s_delay_alu instid0(VALU_DEP_2) | instskip(NEXT) | instid1(VALU_DEP_2)
	v_cmp_eq_u32_e32 vcc_lo, 0, v16
	v_cndmask_b32_e32 v16, v17, v5, vcc_lo
; %bb.2867:                             ;   in Loop: Header=BB8_2842 Depth=3
	s_or_b32 exec_lo, exec_lo, s13
	s_delay_alu instid0(VALU_DEP_1)
	v_lshrrev_b32_e32 v5, 16, v16
	s_mov_b64 s[40:41], 0
	s_mov_b32 s79, -1
	scratch_store_b16 off, v5, s33 offset:192
.LBB8_2868:                             ;   Parent Loop BB8_47 Depth=1
                                        ;     Parent Loop BB8_1943 Depth=2
                                        ;       Parent Loop BB8_2842 Depth=3
                                        ; =>      This Inner Loop Header: Depth=4
	s_cmp_eq_u32 s40, 1
	s_cselect_b32 vcc_lo, -1, 0
	s_cmp_eq_u32 s40, 0
	s_wait_xcnt 0x0
	v_dual_cndmask_b32 v17, v9, v11 :: v_dual_cndmask_b32 v16, v8, v10
	s_cselect_b32 s13, -1, 0
	s_and_b32 s14, exec_lo, s79
	s_mov_b64 s[40:41], 1
	s_mov_b32 s79, 0
	v_add_nc_u64_e32 v[18:19], 64, v[16:17]
	flat_store_b16 v[16:17], v5 th:TH_STORE_NT
	v_dual_cndmask_b32 v11, v11, v19 :: v_dual_cndmask_b32 v10, v10, v18
	v_dual_cndmask_b32 v9, v9, v19, s13 :: v_dual_cndmask_b32 v8, v8, v18, s13
	s_mov_b32 vcc_lo, s14
	s_cbranch_vccnz .LBB8_2868
; %bb.2869:                             ;   in Loop: Header=BB8_2842 Depth=3
	s_wait_xcnt 0x0
	s_and_saveexec_b32 s13, s78
	s_cbranch_execz .LBB8_2841
; %bb.2870:                             ;   in Loop: Header=BB8_2842 Depth=3
	v_add_nc_u64_e32 v[8:9], v[8:9], v[118:119]
	v_add_nc_u64_e32 v[10:11], v[10:11], v[118:119]
	;; [unrolled: 1-line block ×4, first 2 shown]
	v_sub_nc_u32_e32 v4, v4, v123
	s_branch .LBB8_2841
.LBB8_2871:                             ;   in Loop: Header=BB8_1943 Depth=2
	s_or_b32 exec_lo, exec_lo, s76
	s_delay_alu instid0(SALU_CYCLE_1)
	s_and_b32 exec_lo, exec_lo, s77
	s_cbranch_execz .LBB8_2882
; %bb.2872:                             ;   in Loop: Header=BB8_1943 Depth=2
	s_trap 2
	scratch_load_u16 v4, off, s33 offset:188
	ds_load_b32 v5, v0
	s_wait_loadcnt_dscnt 0x0
	v_dual_lshlrev_b32 v5, 16, v5 :: v_dual_lshlrev_b32 v4, 16, v4
	s_delay_alu instid0(VALU_DEP_1) | instskip(NEXT) | instid1(VALU_DEP_1)
	v_mul_f32_e32 v4, v5, v4
	v_and_b32_e32 v5, 0x7f800000, v4
	s_delay_alu instid0(VALU_DEP_1) | instskip(SKIP_2) | instid1(SALU_CYCLE_1)
	v_cmp_ne_u32_e32 vcc_lo, 0x7f800000, v5
                                        ; implicit-def: $vgpr5
	s_wait_xcnt 0x0
	s_and_saveexec_b32 s13, vcc_lo
	s_xor_b32 s13, exec_lo, s13
; %bb.2873:                             ;   in Loop: Header=BB8_1943 Depth=2
	v_bfe_u32 v5, v4, 16, 1
	s_delay_alu instid0(VALU_DEP_1)
	v_add3_u32 v5, v4, v5, 0x7fff
                                        ; implicit-def: $vgpr4
; %bb.2874:                             ;   in Loop: Header=BB8_1943 Depth=2
	s_and_not1_saveexec_b32 s13, s13
; %bb.2875:                             ;   in Loop: Header=BB8_1943 Depth=2
	v_and_b32_e32 v5, 0xffff, v4
	v_or_b32_e32 v12, 0x10000, v4
	s_delay_alu instid0(VALU_DEP_2) | instskip(NEXT) | instid1(VALU_DEP_2)
	v_cmp_eq_u32_e32 vcc_lo, 0, v5
	v_cndmask_b32_e32 v5, v12, v4, vcc_lo
; %bb.2876:                             ;   in Loop: Header=BB8_1943 Depth=2
	s_or_b32 exec_lo, exec_lo, s13
	scratch_load_u16 v4, off, s33 offset:190
	v_and_b32_e32 v5, 0xffff0000, v5
	s_wait_loadcnt 0x0
	v_lshlrev_b32_e32 v4, 16, v4
	s_delay_alu instid0(VALU_DEP_1) | instskip(NEXT) | instid1(VALU_DEP_1)
	v_add_f32_e32 v4, v5, v4
	v_and_b32_e32 v5, 0x7f800000, v4
	s_delay_alu instid0(VALU_DEP_1) | instskip(SKIP_2) | instid1(SALU_CYCLE_1)
	v_cmp_ne_u32_e32 vcc_lo, 0x7f800000, v5
                                        ; implicit-def: $vgpr5
	s_wait_xcnt 0x0
	s_and_saveexec_b32 s13, vcc_lo
	s_xor_b32 s13, exec_lo, s13
; %bb.2877:                             ;   in Loop: Header=BB8_1943 Depth=2
	v_bfe_u32 v5, v4, 16, 1
	s_delay_alu instid0(VALU_DEP_1)
	v_add3_u32 v5, v4, v5, 0x7fff
                                        ; implicit-def: $vgpr4
; %bb.2878:                             ;   in Loop: Header=BB8_1943 Depth=2
	s_and_not1_saveexec_b32 s13, s13
; %bb.2879:                             ;   in Loop: Header=BB8_1943 Depth=2
	v_and_b32_e32 v5, 0xffff, v4
	v_or_b32_e32 v12, 0x10000, v4
	s_delay_alu instid0(VALU_DEP_2) | instskip(NEXT) | instid1(VALU_DEP_2)
	v_cmp_eq_u32_e32 vcc_lo, 0, v5
	v_cndmask_b32_e32 v5, v12, v4, vcc_lo
; %bb.2880:                             ;   in Loop: Header=BB8_1943 Depth=2
	s_or_b32 exec_lo, exec_lo, s13
	s_delay_alu instid0(VALU_DEP_1)
	v_lshrrev_b32_e32 v4, 16, v5
	s_mov_b64 s[40:41], 0
	s_mov_b32 s76, -1
.LBB8_2881:                             ;   Parent Loop BB8_47 Depth=1
                                        ;     Parent Loop BB8_1943 Depth=2
                                        ; =>    This Inner Loop Header: Depth=3
	s_cmp_eq_u32 s40, 1
	s_cselect_b32 vcc_lo, -1, 0
	s_cmp_eq_u32 s40, 0
	s_wait_xcnt 0x0
	v_dual_cndmask_b32 v13, v9, v11 :: v_dual_cndmask_b32 v12, v8, v10
	s_cselect_b32 s13, -1, 0
	s_and_b32 s14, exec_lo, s76
	s_mov_b64 s[40:41], 1
	s_mov_b32 s76, 0
	v_add_nc_u64_e32 v[14:15], 64, v[12:13]
	flat_store_b16 v[12:13], v4 th:TH_STORE_NT
	v_dual_cndmask_b32 v11, v11, v15 :: v_dual_cndmask_b32 v10, v10, v14
	v_dual_cndmask_b32 v9, v9, v15, s13 :: v_dual_cndmask_b32 v8, v8, v14, s13
	s_mov_b32 vcc_lo, s14
	s_cbranch_vccnz .LBB8_2881
.LBB8_2882:                             ;   in Loop: Header=BB8_1943 Depth=2
	s_wait_xcnt 0x0
	s_or_b32 exec_lo, exec_lo, s15
	s_mov_b32 s13, 0
.LBB8_2883:                             ;   in Loop: Header=BB8_1943 Depth=2
	s_delay_alu instid0(SALU_CYCLE_1)
	s_and_b32 vcc_lo, exec_lo, s13
	s_cbranch_vccz .LBB8_3153
; %bb.2884:                             ;   in Loop: Header=BB8_1943 Depth=2
	s_mov_b32 s13, -1
	s_and_saveexec_b32 s14, s11
	s_cbranch_execz .LBB8_2886
; %bb.2885:                             ;   in Loop: Header=BB8_1943 Depth=2
	ds_load_b32 v4, v0 offset:720
	s_wait_dscnt 0x0
	v_and_b32_e32 v4, 15, v4
	s_delay_alu instid0(VALU_DEP_1)
	v_cmp_eq_u32_e32 vcc_lo, 0, v4
	s_or_not1_b32 s13, vcc_lo, exec_lo
.LBB8_2886:                             ;   in Loop: Header=BB8_1943 Depth=2
	s_or_b32 exec_lo, exec_lo, s14
	s_and_saveexec_b32 s14, s7
	s_cbranch_execz .LBB8_2888
; %bb.2887:                             ;   in Loop: Header=BB8_1943 Depth=2
	ds_load_b32 v4, v0 offset:784
	s_wait_dscnt 0x0
	v_and_b32_e32 v4, 15, v4
	s_delay_alu instid0(VALU_DEP_1) | instskip(SKIP_3) | instid1(SALU_CYCLE_1)
	v_cmp_eq_u32_e32 vcc_lo, 0, v4
	s_and_b32 s15, s13, vcc_lo
	s_and_not1_b32 s13, s13, exec_lo
	s_and_b32 s15, s15, exec_lo
	s_or_b32 s13, s13, s15
.LBB8_2888:                             ;   in Loop: Header=BB8_1943 Depth=2
	s_or_b32 exec_lo, exec_lo, s14
	s_xor_b32 s13, s13, -1
	s_delay_alu instid0(SALU_CYCLE_1) | instskip(SKIP_1) | instid1(VALU_DEP_1)
	v_cndmask_b32_e64 v4, 0, 1, s13
	s_mov_b32 s13, -1
	v_cmp_ne_u32_e32 vcc_lo, 0, v4
	s_cbranch_vccz .LBB8_3154
; %bb.2889:                             ;   in Loop: Header=BB8_1943 Depth=2
	s_mov_b32 s76, -1
	v_mov_b32_e32 v18, 0
	s_cbranch_execnz .LBB8_3155
.LBB8_2890:                             ;   in Loop: Header=BB8_1943 Depth=2
	v_ashrrev_i32_e32 v4, 31, v73
	v_add_nc_u64_e32 v[90:91], v[88:89], v[112:113]
	s_mov_b32 s14, 0
	s_mov_b32 s13, exec_lo
                                        ; implicit-def: $vgpr32_vgpr33
                                        ; implicit-def: $vgpr16_vgpr17
                                        ; implicit-def: $vgpr12_vgpr13
                                        ; implicit-def: $vgpr8_vgpr9
	s_delay_alu instid0(VALU_DEP_2) | instskip(NEXT) | instid1(VALU_DEP_1)
	v_lshrrev_b32_e32 v4, 22, v4
	v_add_nc_u32_e32 v4, v73, v4
	s_delay_alu instid0(VALU_DEP_1) | instskip(NEXT) | instid1(VALU_DEP_1)
	v_ashrrev_i32_e32 v75, 10, v4
	v_sub_nc_u32_e32 v105, v75, v110
	s_delay_alu instid0(VALU_DEP_1)
	v_cmpx_lt_i32_e32 0, v105
	s_cbranch_execz .LBB8_3157
; %bb.2891:                             ;   in Loop: Header=BB8_1943 Depth=2
	s_trap 2
	ds_load_b64 v[4:5], v0
	ds_load_b32 v8, v0
	v_add_nc_u64_e32 v[92:93], v[78:79], v[112:113]
	s_mov_b32 s40, 0
                                        ; implicit-def: $sgpr15
                                        ; implicit-def: $vgpr32_vgpr33
                                        ; implicit-def: $vgpr16_vgpr17
                                        ; implicit-def: $vgpr12_vgpr13
	s_wait_dscnt 0x1
	v_add_nc_u64_e32 v[94:95], v[4:5], v[112:113]
	s_wait_dscnt 0x0
	v_lshlrev_b32_e32 v104, 16, v8
                                        ; implicit-def: $vgpr8_vgpr9
	s_branch .LBB8_2893
.LBB8_2892:                             ;   in Loop: Header=BB8_2893 Depth=3
	s_or_b32 exec_lo, exec_lo, s41
	v_dual_lshrrev_b32 v5, 16, v5 :: v_dual_lshrrev_b32 v28, 16, v28
	v_dual_lshrrev_b32 v29, 16, v25 :: v_dual_lshrrev_b32 v37, 16, v38
	s_delay_alu instid0(VALU_DEP_2) | instskip(NEXT) | instid1(VALU_DEP_3)
	v_and_or_b32 v25, 0xffff0000, v24, v5
	v_and_or_b32 v24, 0xffff0000, v4, v28
	v_dual_lshrrev_b32 v4, 16, v50 :: v_dual_lshrrev_b32 v5, 16, v39
	s_delay_alu instid0(VALU_DEP_4) | instskip(SKIP_2) | instid1(VALU_DEP_4)
	v_and_or_b32 v26, 0xffff0000, v26, v29
	v_lshrrev_b32_e32 v29, 16, v36
	v_lshrrev_b32_e32 v28, 16, v48
	v_and_or_b32 v21, 0xffff0000, v21, v4
	v_and_or_b32 v20, 0xffff0000, v20, v5
	v_add_nc_u64_e32 v[4:5], v[92:93], v[114:115]
	v_cndmask_b32_e64 v36, 0, v84, s40
	v_and_or_b32 v27, 0xffff0000, v27, v37
	s_delay_alu instid0(VALU_DEP_3) | instskip(NEXT) | instid1(VALU_DEP_3)
	v_cndmask_b32_e64 v93, v93, v5, s40
	v_sub_nc_u32_e32 v105, v105, v36
	v_and_or_b32 v23, 0xffff0000, v23, v29
	v_cndmask_b32_e64 v29, 0, v43, s40
	v_and_or_b32 v22, 0xffff0000, v22, v28
	v_cndmask_b32_e64 v28, 0x400, v42, s40
	v_add_nc_u64_e32 v[36:37], v[94:95], v[114:115]
	v_cmp_gt_i32_e32 vcc_lo, 1, v105
	s_clause 0x1
	global_store_b128 v[90:91], v[24:27], off th:TH_STORE_NT
	global_store_b128 v[90:91], v[20:23], off offset:512 th:TH_STORE_NT
	v_cndmask_b32_e64 v92, v92, v4, s40
	s_wait_xcnt 0x0
	v_add_nc_u64_e32 v[90:91], v[90:91], v[28:29]
	s_or_b32 s14, vcc_lo, s14
	v_dual_cndmask_b32 v95, v95, v37, s40 :: v_dual_cndmask_b32 v94, v94, v36, s40
	s_and_not1_b32 s15, s15, exec_lo
	s_and_b32 s41, s40, exec_lo
	s_delay_alu instid0(SALU_CYCLE_1)
	s_or_b32 s15, s15, s41
	s_and_not1_b32 exec_lo, exec_lo, s14
	s_cbranch_execz .LBB8_3156
.LBB8_2893:                             ;   Parent Loop BB8_47 Depth=1
                                        ;     Parent Loop BB8_1943 Depth=2
                                        ; =>    This Inner Loop Header: Depth=3
	s_clause 0x1
	global_load_b128 v[48:51], v[92:93], off th:TH_LOAD_NT
	global_load_b128 v[36:39], v[92:93], off offset:512 th:TH_LOAD_NT
	s_clause 0x1
	global_load_b128 v[24:27], v[94:95], off th:TH_LOAD_NT
	global_load_b128 v[20:23], v[94:95], off offset:512 th:TH_LOAD_NT
	s_wait_xcnt 0x0
	s_and_saveexec_b32 s41, s40
	s_cbranch_execz .LBB8_3023
; %bb.2894:                             ;   in Loop: Header=BB8_2893 Depth=3
	v_lshlrev_b32_e32 v4, 16, v32
	s_delay_alu instid0(VALU_DEP_1) | instskip(NEXT) | instid1(VALU_DEP_1)
	v_mul_f32_e32 v5, v104, v4
	v_and_b32_e32 v4, 0x7f800000, v5
	s_delay_alu instid0(VALU_DEP_1) | instskip(SKIP_1) | instid1(SALU_CYCLE_1)
	v_cmp_ne_u32_e32 vcc_lo, 0x7f800000, v4
                                        ; implicit-def: $vgpr4
	s_and_saveexec_b32 s40, vcc_lo
	s_xor_b32 s40, exec_lo, s40
; %bb.2895:                             ;   in Loop: Header=BB8_2893 Depth=3
	v_bfe_u32 v4, v5, 16, 1
	s_delay_alu instid0(VALU_DEP_1)
	v_add3_u32 v4, v5, v4, 0x7fff
                                        ; implicit-def: $vgpr5
; %bb.2896:                             ;   in Loop: Header=BB8_2893 Depth=3
	s_and_not1_saveexec_b32 s40, s40
; %bb.2897:                             ;   in Loop: Header=BB8_2893 Depth=3
	v_and_b32_e32 v4, 0xffff, v5
	v_or_b32_e32 v28, 0x10000, v5
	s_delay_alu instid0(VALU_DEP_2) | instskip(NEXT) | instid1(VALU_DEP_2)
	v_cmp_eq_u32_e32 vcc_lo, 0, v4
	v_cndmask_b32_e32 v4, v28, v5, vcc_lo
; %bb.2898:                             ;   in Loop: Header=BB8_2893 Depth=3
	s_or_b32 exec_lo, exec_lo, s40
	v_and_b32_e32 v5, 0xffff0000, v32
	s_mov_b32 s40, exec_lo
                                        ; implicit-def: $vgpr98
	s_delay_alu instid0(VALU_DEP_1) | instskip(NEXT) | instid1(VALU_DEP_1)
	v_mul_f32_e32 v5, v104, v5
	v_and_b32_e32 v28, 0x7f800000, v5
	s_delay_alu instid0(VALU_DEP_1)
	v_cmpx_ne_u32_e32 0x7f800000, v28
	s_xor_b32 s40, exec_lo, s40
; %bb.2899:                             ;   in Loop: Header=BB8_2893 Depth=3
	v_bfe_u32 v28, v5, 16, 1
	s_delay_alu instid0(VALU_DEP_1)
	v_add3_u32 v98, v5, v28, 0x7fff
                                        ; implicit-def: $vgpr5
; %bb.2900:                             ;   in Loop: Header=BB8_2893 Depth=3
	s_and_not1_saveexec_b32 s40, s40
; %bb.2901:                             ;   in Loop: Header=BB8_2893 Depth=3
	v_and_b32_e32 v28, 0xffff, v5
	v_or_b32_e32 v29, 0x10000, v5
	s_delay_alu instid0(VALU_DEP_2) | instskip(NEXT) | instid1(VALU_DEP_2)
	v_cmp_eq_u32_e32 vcc_lo, 0, v28
	v_cndmask_b32_e32 v98, v29, v5, vcc_lo
; %bb.2902:                             ;   in Loop: Header=BB8_2893 Depth=3
	s_or_b32 exec_lo, exec_lo, s40
	v_lshlrev_b32_e32 v5, 16, v33
	s_mov_b32 s40, exec_lo
                                        ; implicit-def: $vgpr99
	s_delay_alu instid0(VALU_DEP_1) | instskip(NEXT) | instid1(VALU_DEP_1)
	v_mul_f32_e32 v5, v104, v5
	v_and_b32_e32 v28, 0x7f800000, v5
	s_delay_alu instid0(VALU_DEP_1)
	v_cmpx_ne_u32_e32 0x7f800000, v28
	s_xor_b32 s40, exec_lo, s40
; %bb.2903:                             ;   in Loop: Header=BB8_2893 Depth=3
	v_bfe_u32 v28, v5, 16, 1
	s_delay_alu instid0(VALU_DEP_1)
	v_add3_u32 v99, v5, v28, 0x7fff
                                        ; implicit-def: $vgpr5
; %bb.2904:                             ;   in Loop: Header=BB8_2893 Depth=3
	s_and_not1_saveexec_b32 s40, s40
; %bb.2905:                             ;   in Loop: Header=BB8_2893 Depth=3
	v_and_b32_e32 v28, 0xffff, v5
	v_or_b32_e32 v29, 0x10000, v5
	s_delay_alu instid0(VALU_DEP_2) | instskip(NEXT) | instid1(VALU_DEP_2)
	v_cmp_eq_u32_e32 vcc_lo, 0, v28
	v_cndmask_b32_e32 v99, v29, v5, vcc_lo
; %bb.2906:                             ;   in Loop: Header=BB8_2893 Depth=3
	s_or_b32 exec_lo, exec_lo, s40
	v_and_b32_e32 v5, 0xffff0000, v33
	s_mov_b32 s40, exec_lo
                                        ; implicit-def: $vgpr55
	s_delay_alu instid0(VALU_DEP_1) | instskip(NEXT) | instid1(VALU_DEP_1)
	v_mul_f32_e32 v5, v104, v5
	v_and_b32_e32 v28, 0x7f800000, v5
	s_delay_alu instid0(VALU_DEP_1)
	v_cmpx_ne_u32_e32 0x7f800000, v28
	s_xor_b32 s40, exec_lo, s40
; %bb.2907:                             ;   in Loop: Header=BB8_2893 Depth=3
	v_bfe_u32 v28, v5, 16, 1
	s_delay_alu instid0(VALU_DEP_1)
	v_add3_u32 v55, v5, v28, 0x7fff
                                        ; implicit-def: $vgpr5
; %bb.2908:                             ;   in Loop: Header=BB8_2893 Depth=3
	s_and_not1_saveexec_b32 s40, s40
; %bb.2909:                             ;   in Loop: Header=BB8_2893 Depth=3
	v_and_b32_e32 v28, 0xffff, v5
	v_or_b32_e32 v29, 0x10000, v5
	s_delay_alu instid0(VALU_DEP_2) | instskip(NEXT) | instid1(VALU_DEP_2)
	v_cmp_eq_u32_e32 vcc_lo, 0, v28
	v_cndmask_b32_e32 v55, v29, v5, vcc_lo
; %bb.2910:                             ;   in Loop: Header=BB8_2893 Depth=3
	s_or_b32 exec_lo, exec_lo, s40
	v_lshlrev_b32_e32 v5, 16, v34
	s_mov_b32 s40, exec_lo
                                        ; implicit-def: $vgpr106
	s_delay_alu instid0(VALU_DEP_1) | instskip(NEXT) | instid1(VALU_DEP_1)
	v_mul_f32_e32 v5, v104, v5
	v_and_b32_e32 v28, 0x7f800000, v5
	s_delay_alu instid0(VALU_DEP_1)
	v_cmpx_ne_u32_e32 0x7f800000, v28
	s_xor_b32 s40, exec_lo, s40
; %bb.2911:                             ;   in Loop: Header=BB8_2893 Depth=3
	v_bfe_u32 v28, v5, 16, 1
	s_delay_alu instid0(VALU_DEP_1)
	v_add3_u32 v106, v5, v28, 0x7fff
                                        ; implicit-def: $vgpr5
; %bb.2912:                             ;   in Loop: Header=BB8_2893 Depth=3
	s_and_not1_saveexec_b32 s40, s40
; %bb.2913:                             ;   in Loop: Header=BB8_2893 Depth=3
	v_and_b32_e32 v28, 0xffff, v5
	v_or_b32_e32 v29, 0x10000, v5
	s_delay_alu instid0(VALU_DEP_2) | instskip(NEXT) | instid1(VALU_DEP_2)
	v_cmp_eq_u32_e32 vcc_lo, 0, v28
	v_cndmask_b32_e32 v106, v29, v5, vcc_lo
; %bb.2914:                             ;   in Loop: Header=BB8_2893 Depth=3
	s_or_b32 exec_lo, exec_lo, s40
	v_and_b32_e32 v5, 0xffff0000, v34
	s_mov_b32 s40, exec_lo
                                        ; implicit-def: $vgpr53
	s_delay_alu instid0(VALU_DEP_1) | instskip(NEXT) | instid1(VALU_DEP_1)
	v_mul_f32_e32 v5, v104, v5
	v_and_b32_e32 v28, 0x7f800000, v5
	s_delay_alu instid0(VALU_DEP_1)
	v_cmpx_ne_u32_e32 0x7f800000, v28
	s_xor_b32 s40, exec_lo, s40
; %bb.2915:                             ;   in Loop: Header=BB8_2893 Depth=3
	v_bfe_u32 v28, v5, 16, 1
	s_delay_alu instid0(VALU_DEP_1)
	v_add3_u32 v53, v5, v28, 0x7fff
                                        ; implicit-def: $vgpr5
; %bb.2916:                             ;   in Loop: Header=BB8_2893 Depth=3
	s_and_not1_saveexec_b32 s40, s40
; %bb.2917:                             ;   in Loop: Header=BB8_2893 Depth=3
	v_and_b32_e32 v28, 0xffff, v5
	v_or_b32_e32 v29, 0x10000, v5
	s_delay_alu instid0(VALU_DEP_2) | instskip(NEXT) | instid1(VALU_DEP_2)
	v_cmp_eq_u32_e32 vcc_lo, 0, v28
	v_cndmask_b32_e32 v53, v29, v5, vcc_lo
; %bb.2918:                             ;   in Loop: Header=BB8_2893 Depth=3
	s_or_b32 exec_lo, exec_lo, s40
	v_lshlrev_b32_e32 v5, 16, v35
	s_mov_b32 s40, exec_lo
                                        ; implicit-def: $vgpr54
	s_delay_alu instid0(VALU_DEP_1) | instskip(NEXT) | instid1(VALU_DEP_1)
	v_mul_f32_e32 v5, v104, v5
	v_and_b32_e32 v28, 0x7f800000, v5
	s_delay_alu instid0(VALU_DEP_1)
	v_cmpx_ne_u32_e32 0x7f800000, v28
	s_xor_b32 s40, exec_lo, s40
; %bb.2919:                             ;   in Loop: Header=BB8_2893 Depth=3
	v_bfe_u32 v28, v5, 16, 1
	s_delay_alu instid0(VALU_DEP_1)
	v_add3_u32 v54, v5, v28, 0x7fff
                                        ; implicit-def: $vgpr5
; %bb.2920:                             ;   in Loop: Header=BB8_2893 Depth=3
	s_and_not1_saveexec_b32 s40, s40
; %bb.2921:                             ;   in Loop: Header=BB8_2893 Depth=3
	v_and_b32_e32 v28, 0xffff, v5
	v_or_b32_e32 v29, 0x10000, v5
	s_delay_alu instid0(VALU_DEP_2) | instskip(NEXT) | instid1(VALU_DEP_2)
	v_cmp_eq_u32_e32 vcc_lo, 0, v28
	v_cndmask_b32_e32 v54, v29, v5, vcc_lo
; %bb.2922:                             ;   in Loop: Header=BB8_2893 Depth=3
	s_or_b32 exec_lo, exec_lo, s40
	v_and_b32_e32 v5, 0xffff0000, v35
	s_mov_b32 s40, exec_lo
                                        ; implicit-def: $vgpr35
	s_delay_alu instid0(VALU_DEP_1) | instskip(NEXT) | instid1(VALU_DEP_1)
	v_mul_f32_e32 v5, v104, v5
	v_and_b32_e32 v28, 0x7f800000, v5
	s_delay_alu instid0(VALU_DEP_1)
	v_cmpx_ne_u32_e32 0x7f800000, v28
	s_xor_b32 s40, exec_lo, s40
; %bb.2923:                             ;   in Loop: Header=BB8_2893 Depth=3
	v_bfe_u32 v28, v5, 16, 1
	s_delay_alu instid0(VALU_DEP_1)
	v_add3_u32 v35, v5, v28, 0x7fff
                                        ; implicit-def: $vgpr5
; %bb.2924:                             ;   in Loop: Header=BB8_2893 Depth=3
	s_and_not1_saveexec_b32 s40, s40
; %bb.2925:                             ;   in Loop: Header=BB8_2893 Depth=3
	v_and_b32_e32 v28, 0xffff, v5
	v_or_b32_e32 v29, 0x10000, v5
	s_delay_alu instid0(VALU_DEP_2) | instskip(NEXT) | instid1(VALU_DEP_2)
	v_cmp_eq_u32_e32 vcc_lo, 0, v28
	v_cndmask_b32_e32 v35, v29, v5, vcc_lo
; %bb.2926:                             ;   in Loop: Header=BB8_2893 Depth=3
	s_or_b32 exec_lo, exec_lo, s40
	v_lshlrev_b32_e32 v5, 16, v16
	s_mov_b32 s40, exec_lo
                                        ; implicit-def: $vgpr52
	s_delay_alu instid0(VALU_DEP_1) | instskip(NEXT) | instid1(VALU_DEP_1)
	v_mul_f32_e32 v5, v104, v5
	v_and_b32_e32 v28, 0x7f800000, v5
	s_delay_alu instid0(VALU_DEP_1)
	v_cmpx_ne_u32_e32 0x7f800000, v28
	s_xor_b32 s40, exec_lo, s40
; %bb.2927:                             ;   in Loop: Header=BB8_2893 Depth=3
	v_bfe_u32 v28, v5, 16, 1
	s_delay_alu instid0(VALU_DEP_1)
	v_add3_u32 v52, v5, v28, 0x7fff
                                        ; implicit-def: $vgpr5
; %bb.2928:                             ;   in Loop: Header=BB8_2893 Depth=3
	s_and_not1_saveexec_b32 s40, s40
; %bb.2929:                             ;   in Loop: Header=BB8_2893 Depth=3
	v_and_b32_e32 v28, 0xffff, v5
	v_or_b32_e32 v29, 0x10000, v5
	s_delay_alu instid0(VALU_DEP_2) | instskip(NEXT) | instid1(VALU_DEP_2)
	v_cmp_eq_u32_e32 vcc_lo, 0, v28
	v_cndmask_b32_e32 v52, v29, v5, vcc_lo
; %bb.2930:                             ;   in Loop: Header=BB8_2893 Depth=3
	s_or_b32 exec_lo, exec_lo, s40
	v_and_b32_e32 v5, 0xffff0000, v16
	s_mov_b32 s40, exec_lo
                                        ; implicit-def: $vgpr33
	s_delay_alu instid0(VALU_DEP_1) | instskip(NEXT) | instid1(VALU_DEP_1)
	v_mul_f32_e32 v5, v104, v5
	v_and_b32_e32 v16, 0x7f800000, v5
	s_delay_alu instid0(VALU_DEP_1)
	v_cmpx_ne_u32_e32 0x7f800000, v16
	s_xor_b32 s40, exec_lo, s40
; %bb.2931:                             ;   in Loop: Header=BB8_2893 Depth=3
	v_bfe_u32 v16, v5, 16, 1
	s_delay_alu instid0(VALU_DEP_1)
	v_add3_u32 v33, v5, v16, 0x7fff
                                        ; implicit-def: $vgpr5
; %bb.2932:                             ;   in Loop: Header=BB8_2893 Depth=3
	s_and_not1_saveexec_b32 s40, s40
; %bb.2933:                             ;   in Loop: Header=BB8_2893 Depth=3
	v_and_b32_e32 v16, 0xffff, v5
	v_or_b32_e32 v28, 0x10000, v5
	s_delay_alu instid0(VALU_DEP_2) | instskip(NEXT) | instid1(VALU_DEP_2)
	v_cmp_eq_u32_e32 vcc_lo, 0, v16
	v_cndmask_b32_e32 v33, v28, v5, vcc_lo
; %bb.2934:                             ;   in Loop: Header=BB8_2893 Depth=3
	s_or_b32 exec_lo, exec_lo, s40
	v_lshlrev_b32_e32 v5, 16, v17
	s_mov_b32 s40, exec_lo
                                        ; implicit-def: $vgpr34
	s_delay_alu instid0(VALU_DEP_1) | instskip(NEXT) | instid1(VALU_DEP_1)
	v_mul_f32_e32 v5, v104, v5
	v_and_b32_e32 v16, 0x7f800000, v5
	s_delay_alu instid0(VALU_DEP_1)
	v_cmpx_ne_u32_e32 0x7f800000, v16
	s_xor_b32 s40, exec_lo, s40
; %bb.2935:                             ;   in Loop: Header=BB8_2893 Depth=3
	v_bfe_u32 v16, v5, 16, 1
	s_delay_alu instid0(VALU_DEP_1)
	v_add3_u32 v34, v5, v16, 0x7fff
                                        ; implicit-def: $vgpr5
; %bb.2936:                             ;   in Loop: Header=BB8_2893 Depth=3
	s_and_not1_saveexec_b32 s40, s40
; %bb.2937:                             ;   in Loop: Header=BB8_2893 Depth=3
	v_and_b32_e32 v16, 0xffff, v5
	v_or_b32_e32 v28, 0x10000, v5
	s_delay_alu instid0(VALU_DEP_2) | instskip(NEXT) | instid1(VALU_DEP_2)
	v_cmp_eq_u32_e32 vcc_lo, 0, v16
	v_cndmask_b32_e32 v34, v28, v5, vcc_lo
; %bb.2938:                             ;   in Loop: Header=BB8_2893 Depth=3
	s_or_b32 exec_lo, exec_lo, s40
	v_and_b32_e32 v5, 0xffff0000, v17
	s_mov_b32 s40, exec_lo
                                        ; implicit-def: $vgpr29
	s_delay_alu instid0(VALU_DEP_1) | instskip(NEXT) | instid1(VALU_DEP_1)
	v_mul_f32_e32 v5, v104, v5
	v_and_b32_e32 v16, 0x7f800000, v5
	s_delay_alu instid0(VALU_DEP_1)
	v_cmpx_ne_u32_e32 0x7f800000, v16
	s_xor_b32 s40, exec_lo, s40
; %bb.2939:                             ;   in Loop: Header=BB8_2893 Depth=3
	v_bfe_u32 v16, v5, 16, 1
	s_delay_alu instid0(VALU_DEP_1)
	v_add3_u32 v29, v5, v16, 0x7fff
                                        ; implicit-def: $vgpr5
; %bb.2940:                             ;   in Loop: Header=BB8_2893 Depth=3
	s_and_not1_saveexec_b32 s40, s40
; %bb.2941:                             ;   in Loop: Header=BB8_2893 Depth=3
	v_and_b32_e32 v16, 0xffff, v5
	v_or_b32_e32 v17, 0x10000, v5
	s_delay_alu instid0(VALU_DEP_2) | instskip(NEXT) | instid1(VALU_DEP_2)
	v_cmp_eq_u32_e32 vcc_lo, 0, v16
	v_cndmask_b32_e32 v29, v17, v5, vcc_lo
; %bb.2942:                             ;   in Loop: Header=BB8_2893 Depth=3
	s_or_b32 exec_lo, exec_lo, s40
	v_lshlrev_b32_e32 v5, 16, v18
	s_mov_b32 s40, exec_lo
                                        ; implicit-def: $vgpr32
	s_delay_alu instid0(VALU_DEP_1) | instskip(NEXT) | instid1(VALU_DEP_1)
	v_mul_f32_e32 v5, v104, v5
	v_and_b32_e32 v16, 0x7f800000, v5
	s_delay_alu instid0(VALU_DEP_1)
	v_cmpx_ne_u32_e32 0x7f800000, v16
	s_xor_b32 s40, exec_lo, s40
; %bb.2943:                             ;   in Loop: Header=BB8_2893 Depth=3
	v_bfe_u32 v16, v5, 16, 1
	s_delay_alu instid0(VALU_DEP_1)
	v_add3_u32 v32, v5, v16, 0x7fff
                                        ; implicit-def: $vgpr5
; %bb.2944:                             ;   in Loop: Header=BB8_2893 Depth=3
	s_and_not1_saveexec_b32 s40, s40
; %bb.2945:                             ;   in Loop: Header=BB8_2893 Depth=3
	v_and_b32_e32 v16, 0xffff, v5
	v_or_b32_e32 v17, 0x10000, v5
	s_delay_alu instid0(VALU_DEP_2) | instskip(NEXT) | instid1(VALU_DEP_2)
	v_cmp_eq_u32_e32 vcc_lo, 0, v16
	v_cndmask_b32_e32 v32, v17, v5, vcc_lo
; %bb.2946:                             ;   in Loop: Header=BB8_2893 Depth=3
	s_or_b32 exec_lo, exec_lo, s40
	v_and_b32_e32 v5, 0xffff0000, v18
	s_mov_b32 s40, exec_lo
                                        ; implicit-def: $vgpr18
	s_delay_alu instid0(VALU_DEP_1) | instskip(NEXT) | instid1(VALU_DEP_1)
	v_mul_f32_e32 v5, v104, v5
	v_and_b32_e32 v16, 0x7f800000, v5
	s_delay_alu instid0(VALU_DEP_1)
	v_cmpx_ne_u32_e32 0x7f800000, v16
	s_xor_b32 s40, exec_lo, s40
; %bb.2947:                             ;   in Loop: Header=BB8_2893 Depth=3
	v_bfe_u32 v16, v5, 16, 1
	s_delay_alu instid0(VALU_DEP_1)
	v_add3_u32 v18, v5, v16, 0x7fff
                                        ; implicit-def: $vgpr5
; %bb.2948:                             ;   in Loop: Header=BB8_2893 Depth=3
	s_and_not1_saveexec_b32 s40, s40
; %bb.2949:                             ;   in Loop: Header=BB8_2893 Depth=3
	v_and_b32_e32 v16, 0xffff, v5
	v_or_b32_e32 v17, 0x10000, v5
	s_delay_alu instid0(VALU_DEP_2) | instskip(NEXT) | instid1(VALU_DEP_2)
	v_cmp_eq_u32_e32 vcc_lo, 0, v16
	v_cndmask_b32_e32 v18, v17, v5, vcc_lo
; %bb.2950:                             ;   in Loop: Header=BB8_2893 Depth=3
	s_or_b32 exec_lo, exec_lo, s40
	v_lshlrev_b32_e32 v5, 16, v19
	s_mov_b32 s40, exec_lo
                                        ; implicit-def: $vgpr28
	s_delay_alu instid0(VALU_DEP_1) | instskip(NEXT) | instid1(VALU_DEP_1)
	v_mul_f32_e32 v5, v104, v5
	v_and_b32_e32 v16, 0x7f800000, v5
	s_delay_alu instid0(VALU_DEP_1)
	v_cmpx_ne_u32_e32 0x7f800000, v16
	s_xor_b32 s40, exec_lo, s40
; %bb.2951:                             ;   in Loop: Header=BB8_2893 Depth=3
	v_bfe_u32 v16, v5, 16, 1
	s_delay_alu instid0(VALU_DEP_1)
	v_add3_u32 v28, v5, v16, 0x7fff
                                        ; implicit-def: $vgpr5
; %bb.2952:                             ;   in Loop: Header=BB8_2893 Depth=3
	s_and_not1_saveexec_b32 s40, s40
; %bb.2953:                             ;   in Loop: Header=BB8_2893 Depth=3
	v_and_b32_e32 v16, 0xffff, v5
	v_or_b32_e32 v17, 0x10000, v5
	s_delay_alu instid0(VALU_DEP_2) | instskip(NEXT) | instid1(VALU_DEP_2)
	v_cmp_eq_u32_e32 vcc_lo, 0, v16
	v_cndmask_b32_e32 v28, v17, v5, vcc_lo
; %bb.2954:                             ;   in Loop: Header=BB8_2893 Depth=3
	s_or_b32 exec_lo, exec_lo, s40
	v_and_b32_e32 v5, 0xffff0000, v19
	s_mov_b32 s40, exec_lo
                                        ; implicit-def: $vgpr17
	s_delay_alu instid0(VALU_DEP_1) | instskip(NEXT) | instid1(VALU_DEP_1)
	v_mul_f32_e32 v5, v104, v5
	v_and_b32_e32 v16, 0x7f800000, v5
	s_delay_alu instid0(VALU_DEP_1)
	v_cmpx_ne_u32_e32 0x7f800000, v16
	s_xor_b32 s40, exec_lo, s40
; %bb.2955:                             ;   in Loop: Header=BB8_2893 Depth=3
	v_bfe_u32 v16, v5, 16, 1
	s_delay_alu instid0(VALU_DEP_1)
	v_add3_u32 v17, v5, v16, 0x7fff
                                        ; implicit-def: $vgpr5
; %bb.2956:                             ;   in Loop: Header=BB8_2893 Depth=3
	s_and_not1_saveexec_b32 s40, s40
; %bb.2957:                             ;   in Loop: Header=BB8_2893 Depth=3
	v_and_b32_e32 v16, 0xffff, v5
	v_or_b32_e32 v17, 0x10000, v5
	s_delay_alu instid0(VALU_DEP_2) | instskip(NEXT) | instid1(VALU_DEP_2)
	v_cmp_eq_u32_e32 vcc_lo, 0, v16
	v_cndmask_b32_e32 v17, v17, v5, vcc_lo
; %bb.2958:                             ;   in Loop: Header=BB8_2893 Depth=3
	s_or_b32 exec_lo, exec_lo, s40
	v_and_b32_e32 v4, 0xffff0000, v4
	v_lshlrev_b32_e32 v5, 16, v12
	s_mov_b32 s40, exec_lo
                                        ; implicit-def: $vgpr16
	s_delay_alu instid0(VALU_DEP_1) | instskip(NEXT) | instid1(VALU_DEP_1)
	v_add_f32_e32 v4, v5, v4
	v_and_b32_e32 v5, 0x7f800000, v4
	s_delay_alu instid0(VALU_DEP_1)
	v_cmpx_ne_u32_e32 0x7f800000, v5
	s_xor_b32 s40, exec_lo, s40
; %bb.2959:                             ;   in Loop: Header=BB8_2893 Depth=3
	v_bfe_u32 v5, v4, 16, 1
	s_delay_alu instid0(VALU_DEP_1)
	v_add3_u32 v16, v4, v5, 0x7fff
                                        ; implicit-def: $vgpr4
; %bb.2960:                             ;   in Loop: Header=BB8_2893 Depth=3
	s_and_not1_saveexec_b32 s40, s40
; %bb.2961:                             ;   in Loop: Header=BB8_2893 Depth=3
	v_and_b32_e32 v5, 0xffff, v4
	v_or_b32_e32 v16, 0x10000, v4
	s_delay_alu instid0(VALU_DEP_2) | instskip(NEXT) | instid1(VALU_DEP_2)
	v_cmp_eq_u32_e32 vcc_lo, 0, v5
	v_cndmask_b32_e32 v16, v16, v4, vcc_lo
; %bb.2962:                             ;   in Loop: Header=BB8_2893 Depth=3
	s_or_b32 exec_lo, exec_lo, s40
	v_and_b32_e32 v4, 0xffff0000, v12
	v_and_b32_e32 v5, 0xffff0000, v98
	s_delay_alu instid0(VALU_DEP_1) | instskip(NEXT) | instid1(VALU_DEP_1)
	v_add_f32_e32 v5, v4, v5
	v_and_b32_e32 v4, 0x7f800000, v5
	s_delay_alu instid0(VALU_DEP_1) | instskip(SKIP_1) | instid1(SALU_CYCLE_1)
	v_cmp_ne_u32_e32 vcc_lo, 0x7f800000, v4
                                        ; implicit-def: $vgpr4
	s_and_saveexec_b32 s40, vcc_lo
	s_xor_b32 s40, exec_lo, s40
; %bb.2963:                             ;   in Loop: Header=BB8_2893 Depth=3
	v_bfe_u32 v4, v5, 16, 1
	s_delay_alu instid0(VALU_DEP_1)
	v_add3_u32 v4, v5, v4, 0x7fff
                                        ; implicit-def: $vgpr5
; %bb.2964:                             ;   in Loop: Header=BB8_2893 Depth=3
	s_and_not1_saveexec_b32 s40, s40
; %bb.2965:                             ;   in Loop: Header=BB8_2893 Depth=3
	v_and_b32_e32 v4, 0xffff, v5
	v_or_b32_e32 v19, 0x10000, v5
	s_delay_alu instid0(VALU_DEP_2) | instskip(NEXT) | instid1(VALU_DEP_2)
	v_cmp_eq_u32_e32 vcc_lo, 0, v4
	v_cndmask_b32_e32 v4, v19, v5, vcc_lo
; %bb.2966:                             ;   in Loop: Header=BB8_2893 Depth=3
	s_or_b32 exec_lo, exec_lo, s40
	v_and_b32_e32 v5, 0xffff0000, v99
	v_lshlrev_b32_e32 v19, 16, v13
	s_delay_alu instid0(VALU_DEP_1) | instskip(NEXT) | instid1(VALU_DEP_1)
	v_add_f32_e32 v19, v19, v5
	v_and_b32_e32 v5, 0x7f800000, v19
	s_delay_alu instid0(VALU_DEP_1) | instskip(SKIP_1) | instid1(SALU_CYCLE_1)
	v_cmp_ne_u32_e32 vcc_lo, 0x7f800000, v5
                                        ; implicit-def: $vgpr5
	s_and_saveexec_b32 s40, vcc_lo
	s_xor_b32 s40, exec_lo, s40
; %bb.2967:                             ;   in Loop: Header=BB8_2893 Depth=3
	v_bfe_u32 v5, v19, 16, 1
	s_delay_alu instid0(VALU_DEP_1)
	v_add3_u32 v5, v19, v5, 0x7fff
                                        ; implicit-def: $vgpr19
; %bb.2968:                             ;   in Loop: Header=BB8_2893 Depth=3
	s_and_not1_saveexec_b32 s40, s40
; %bb.2969:                             ;   in Loop: Header=BB8_2893 Depth=3
	v_and_b32_e32 v5, 0xffff, v19
	v_or_b32_e32 v96, 0x10000, v19
	s_delay_alu instid0(VALU_DEP_2) | instskip(NEXT) | instid1(VALU_DEP_2)
	v_cmp_eq_u32_e32 vcc_lo, 0, v5
	v_cndmask_b32_e32 v5, v96, v19, vcc_lo
; %bb.2970:                             ;   in Loop: Header=BB8_2893 Depth=3
	s_or_b32 exec_lo, exec_lo, s40
	v_and_b32_e32 v19, 0xffff0000, v13
	v_and_b32_e32 v55, 0xffff0000, v55
	s_delay_alu instid0(VALU_DEP_1) | instskip(NEXT) | instid1(VALU_DEP_1)
	v_add_f32_e32 v55, v19, v55
	v_and_b32_e32 v19, 0x7f800000, v55
	s_delay_alu instid0(VALU_DEP_1) | instskip(SKIP_1) | instid1(SALU_CYCLE_1)
	v_cmp_ne_u32_e32 vcc_lo, 0x7f800000, v19
                                        ; implicit-def: $vgpr19
	s_and_saveexec_b32 s40, vcc_lo
	s_xor_b32 s40, exec_lo, s40
; %bb.2971:                             ;   in Loop: Header=BB8_2893 Depth=3
	v_bfe_u32 v19, v55, 16, 1
	s_delay_alu instid0(VALU_DEP_1)
	v_add3_u32 v19, v55, v19, 0x7fff
                                        ; implicit-def: $vgpr55
; %bb.2972:                             ;   in Loop: Header=BB8_2893 Depth=3
	s_and_not1_saveexec_b32 s40, s40
; %bb.2973:                             ;   in Loop: Header=BB8_2893 Depth=3
	v_and_b32_e32 v19, 0xffff, v55
	v_or_b32_e32 v96, 0x10000, v55
	s_delay_alu instid0(VALU_DEP_2) | instskip(NEXT) | instid1(VALU_DEP_2)
	v_cmp_eq_u32_e32 vcc_lo, 0, v19
	v_cndmask_b32_e32 v19, v96, v55, vcc_lo
; %bb.2974:                             ;   in Loop: Header=BB8_2893 Depth=3
	s_or_b32 exec_lo, exec_lo, s40
	v_and_b32_e32 v55, 0xffff0000, v106
	v_lshlrev_b32_e32 v96, 16, v14
	s_delay_alu instid0(VALU_DEP_1) | instskip(NEXT) | instid1(VALU_DEP_1)
	v_add_f32_e32 v96, v96, v55
	v_and_b32_e32 v55, 0x7f800000, v96
	s_delay_alu instid0(VALU_DEP_1) | instskip(SKIP_1) | instid1(SALU_CYCLE_1)
	v_cmp_ne_u32_e32 vcc_lo, 0x7f800000, v55
                                        ; implicit-def: $vgpr55
	s_and_saveexec_b32 s40, vcc_lo
	s_xor_b32 s40, exec_lo, s40
; %bb.2975:                             ;   in Loop: Header=BB8_2893 Depth=3
	v_bfe_u32 v55, v96, 16, 1
	s_delay_alu instid0(VALU_DEP_1)
	v_add3_u32 v55, v96, v55, 0x7fff
                                        ; implicit-def: $vgpr96
; %bb.2976:                             ;   in Loop: Header=BB8_2893 Depth=3
	s_and_not1_saveexec_b32 s40, s40
; %bb.2977:                             ;   in Loop: Header=BB8_2893 Depth=3
	v_and_b32_e32 v55, 0xffff, v96
	v_or_b32_e32 v97, 0x10000, v96
	s_delay_alu instid0(VALU_DEP_2) | instskip(NEXT) | instid1(VALU_DEP_2)
	v_cmp_eq_u32_e32 vcc_lo, 0, v55
	v_cndmask_b32_e32 v55, v97, v96, vcc_lo
; %bb.2978:                             ;   in Loop: Header=BB8_2893 Depth=3
	s_or_b32 exec_lo, exec_lo, s40
	v_and_b32_e32 v96, 0xffff0000, v14
	v_and_b32_e32 v53, 0xffff0000, v53
	s_delay_alu instid0(VALU_DEP_1) | instskip(NEXT) | instid1(VALU_DEP_1)
	v_add_f32_e32 v96, v96, v53
	v_and_b32_e32 v53, 0x7f800000, v96
	s_delay_alu instid0(VALU_DEP_1) | instskip(SKIP_1) | instid1(SALU_CYCLE_1)
	v_cmp_ne_u32_e32 vcc_lo, 0x7f800000, v53
                                        ; implicit-def: $vgpr53
	s_and_saveexec_b32 s40, vcc_lo
	s_xor_b32 s40, exec_lo, s40
; %bb.2979:                             ;   in Loop: Header=BB8_2893 Depth=3
	v_bfe_u32 v53, v96, 16, 1
	s_delay_alu instid0(VALU_DEP_1)
	v_add3_u32 v53, v96, v53, 0x7fff
                                        ; implicit-def: $vgpr96
; %bb.2980:                             ;   in Loop: Header=BB8_2893 Depth=3
	s_and_not1_saveexec_b32 s40, s40
; %bb.2981:                             ;   in Loop: Header=BB8_2893 Depth=3
	v_and_b32_e32 v53, 0xffff, v96
	v_or_b32_e32 v97, 0x10000, v96
	s_delay_alu instid0(VALU_DEP_2) | instskip(NEXT) | instid1(VALU_DEP_2)
	v_cmp_eq_u32_e32 vcc_lo, 0, v53
	v_cndmask_b32_e32 v53, v97, v96, vcc_lo
; %bb.2982:                             ;   in Loop: Header=BB8_2893 Depth=3
	s_or_b32 exec_lo, exec_lo, s40
	v_and_b32_e32 v54, 0xffff0000, v54
	v_lshlrev_b32_e32 v96, 16, v15
	s_delay_alu instid0(VALU_DEP_1) | instskip(NEXT) | instid1(VALU_DEP_1)
	v_add_f32_e32 v96, v96, v54
	v_and_b32_e32 v54, 0x7f800000, v96
	s_delay_alu instid0(VALU_DEP_1) | instskip(SKIP_1) | instid1(SALU_CYCLE_1)
	v_cmp_ne_u32_e32 vcc_lo, 0x7f800000, v54
                                        ; implicit-def: $vgpr54
	s_and_saveexec_b32 s40, vcc_lo
	s_xor_b32 s40, exec_lo, s40
; %bb.2983:                             ;   in Loop: Header=BB8_2893 Depth=3
	v_bfe_u32 v54, v96, 16, 1
	s_delay_alu instid0(VALU_DEP_1)
	v_add3_u32 v54, v96, v54, 0x7fff
                                        ; implicit-def: $vgpr96
; %bb.2984:                             ;   in Loop: Header=BB8_2893 Depth=3
	s_and_not1_saveexec_b32 s40, s40
; %bb.2985:                             ;   in Loop: Header=BB8_2893 Depth=3
	v_and_b32_e32 v54, 0xffff, v96
	v_or_b32_e32 v97, 0x10000, v96
	s_delay_alu instid0(VALU_DEP_2) | instskip(NEXT) | instid1(VALU_DEP_2)
	v_cmp_eq_u32_e32 vcc_lo, 0, v54
	v_cndmask_b32_e32 v54, v97, v96, vcc_lo
; %bb.2986:                             ;   in Loop: Header=BB8_2893 Depth=3
	s_or_b32 exec_lo, exec_lo, s40
	v_and_b32_e32 v96, 0xffff0000, v15
	v_and_b32_e32 v35, 0xffff0000, v35
	s_delay_alu instid0(VALU_DEP_1) | instskip(NEXT) | instid1(VALU_DEP_1)
	v_add_f32_e32 v96, v96, v35
	v_and_b32_e32 v35, 0x7f800000, v96
	s_delay_alu instid0(VALU_DEP_1) | instskip(SKIP_1) | instid1(SALU_CYCLE_1)
	v_cmp_ne_u32_e32 vcc_lo, 0x7f800000, v35
                                        ; implicit-def: $vgpr35
	s_and_saveexec_b32 s40, vcc_lo
	s_xor_b32 s40, exec_lo, s40
; %bb.2987:                             ;   in Loop: Header=BB8_2893 Depth=3
	v_bfe_u32 v35, v96, 16, 1
	s_delay_alu instid0(VALU_DEP_1)
	v_add3_u32 v35, v96, v35, 0x7fff
                                        ; implicit-def: $vgpr96
; %bb.2988:                             ;   in Loop: Header=BB8_2893 Depth=3
	s_and_not1_saveexec_b32 s40, s40
; %bb.2989:                             ;   in Loop: Header=BB8_2893 Depth=3
	v_and_b32_e32 v35, 0xffff, v96
	v_or_b32_e32 v97, 0x10000, v96
	s_delay_alu instid0(VALU_DEP_2) | instskip(NEXT) | instid1(VALU_DEP_2)
	v_cmp_eq_u32_e32 vcc_lo, 0, v35
	v_cndmask_b32_e32 v35, v97, v96, vcc_lo
; %bb.2990:                             ;   in Loop: Header=BB8_2893 Depth=3
	s_or_b32 exec_lo, exec_lo, s40
	v_and_b32_e32 v52, 0xffff0000, v52
	v_lshlrev_b32_e32 v96, 16, v8
	s_delay_alu instid0(VALU_DEP_1) | instskip(NEXT) | instid1(VALU_DEP_1)
	v_add_f32_e32 v96, v96, v52
	v_and_b32_e32 v52, 0x7f800000, v96
	s_delay_alu instid0(VALU_DEP_1) | instskip(SKIP_1) | instid1(SALU_CYCLE_1)
	v_cmp_ne_u32_e32 vcc_lo, 0x7f800000, v52
                                        ; implicit-def: $vgpr52
	s_and_saveexec_b32 s40, vcc_lo
	s_xor_b32 s40, exec_lo, s40
; %bb.2991:                             ;   in Loop: Header=BB8_2893 Depth=3
	v_bfe_u32 v52, v96, 16, 1
	s_delay_alu instid0(VALU_DEP_1)
	v_add3_u32 v52, v96, v52, 0x7fff
                                        ; implicit-def: $vgpr96
; %bb.2992:                             ;   in Loop: Header=BB8_2893 Depth=3
	s_and_not1_saveexec_b32 s40, s40
; %bb.2993:                             ;   in Loop: Header=BB8_2893 Depth=3
	v_and_b32_e32 v52, 0xffff, v96
	v_or_b32_e32 v97, 0x10000, v96
	s_delay_alu instid0(VALU_DEP_2) | instskip(NEXT) | instid1(VALU_DEP_2)
	v_cmp_eq_u32_e32 vcc_lo, 0, v52
	v_cndmask_b32_e32 v52, v97, v96, vcc_lo
; %bb.2994:                             ;   in Loop: Header=BB8_2893 Depth=3
	s_or_b32 exec_lo, exec_lo, s40
	v_and_b32_e32 v96, 0xffff0000, v8
	v_and_b32_e32 v33, 0xffff0000, v33
	s_mov_b32 s40, exec_lo
                                        ; implicit-def: $vgpr98
	s_delay_alu instid0(VALU_DEP_1) | instskip(NEXT) | instid1(VALU_DEP_1)
	v_add_f32_e32 v33, v96, v33
	v_and_b32_e32 v96, 0x7f800000, v33
	s_delay_alu instid0(VALU_DEP_1)
	v_cmpx_ne_u32_e32 0x7f800000, v96
	s_xor_b32 s40, exec_lo, s40
; %bb.2995:                             ;   in Loop: Header=BB8_2893 Depth=3
	v_bfe_u32 v96, v33, 16, 1
	s_delay_alu instid0(VALU_DEP_1)
	v_add3_u32 v98, v33, v96, 0x7fff
                                        ; implicit-def: $vgpr33
; %bb.2996:                             ;   in Loop: Header=BB8_2893 Depth=3
	s_and_not1_saveexec_b32 s40, s40
; %bb.2997:                             ;   in Loop: Header=BB8_2893 Depth=3
	v_and_b32_e32 v96, 0xffff, v33
	v_or_b32_e32 v97, 0x10000, v33
	s_delay_alu instid0(VALU_DEP_2) | instskip(NEXT) | instid1(VALU_DEP_2)
	v_cmp_eq_u32_e32 vcc_lo, 0, v96
	v_cndmask_b32_e32 v98, v97, v33, vcc_lo
; %bb.2998:                             ;   in Loop: Header=BB8_2893 Depth=3
	s_or_b32 exec_lo, exec_lo, s40
	v_and_b32_e32 v33, 0xffff0000, v34
	v_lshlrev_b32_e32 v34, 16, v9
	s_mov_b32 s40, exec_lo
                                        ; implicit-def: $vgpr99
	s_delay_alu instid0(VALU_DEP_1) | instskip(NEXT) | instid1(VALU_DEP_1)
	v_add_f32_e32 v33, v34, v33
	v_and_b32_e32 v34, 0x7f800000, v33
	s_delay_alu instid0(VALU_DEP_1)
	v_cmpx_ne_u32_e32 0x7f800000, v34
	s_xor_b32 s40, exec_lo, s40
; %bb.2999:                             ;   in Loop: Header=BB8_2893 Depth=3
	v_bfe_u32 v34, v33, 16, 1
	s_delay_alu instid0(VALU_DEP_1)
	v_add3_u32 v99, v33, v34, 0x7fff
                                        ; implicit-def: $vgpr33
; %bb.3000:                             ;   in Loop: Header=BB8_2893 Depth=3
	s_and_not1_saveexec_b32 s40, s40
; %bb.3001:                             ;   in Loop: Header=BB8_2893 Depth=3
	v_and_b32_e32 v34, 0xffff, v33
	v_or_b32_e32 v96, 0x10000, v33
	s_delay_alu instid0(VALU_DEP_2) | instskip(NEXT) | instid1(VALU_DEP_2)
	v_cmp_eq_u32_e32 vcc_lo, 0, v34
	v_cndmask_b32_e32 v99, v96, v33, vcc_lo
; %bb.3002:                             ;   in Loop: Header=BB8_2893 Depth=3
	s_or_b32 exec_lo, exec_lo, s40
	v_and_b32_e32 v33, 0xffff0000, v9
	v_and_b32_e32 v29, 0xffff0000, v29
	s_delay_alu instid0(VALU_DEP_1) | instskip(NEXT) | instid1(VALU_DEP_1)
	v_add_f32_e32 v33, v33, v29
	v_and_b32_e32 v29, 0x7f800000, v33
	s_delay_alu instid0(VALU_DEP_1) | instskip(SKIP_1) | instid1(SALU_CYCLE_1)
	v_cmp_ne_u32_e32 vcc_lo, 0x7f800000, v29
                                        ; implicit-def: $vgpr29
	s_and_saveexec_b32 s40, vcc_lo
	s_xor_b32 s40, exec_lo, s40
; %bb.3003:                             ;   in Loop: Header=BB8_2893 Depth=3
	v_bfe_u32 v29, v33, 16, 1
	s_delay_alu instid0(VALU_DEP_1)
	v_add3_u32 v29, v33, v29, 0x7fff
                                        ; implicit-def: $vgpr33
; %bb.3004:                             ;   in Loop: Header=BB8_2893 Depth=3
	s_and_not1_saveexec_b32 s40, s40
; %bb.3005:                             ;   in Loop: Header=BB8_2893 Depth=3
	v_and_b32_e32 v29, 0xffff, v33
	v_or_b32_e32 v34, 0x10000, v33
	s_delay_alu instid0(VALU_DEP_2) | instskip(NEXT) | instid1(VALU_DEP_2)
	v_cmp_eq_u32_e32 vcc_lo, 0, v29
	v_cndmask_b32_e32 v29, v34, v33, vcc_lo
; %bb.3006:                             ;   in Loop: Header=BB8_2893 Depth=3
	s_or_b32 exec_lo, exec_lo, s40
	v_and_b32_e32 v32, 0xffff0000, v32
	v_lshlrev_b32_e32 v33, 16, v10
	s_mov_b32 s40, exec_lo
                                        ; implicit-def: $vgpr106
	s_delay_alu instid0(VALU_DEP_1) | instskip(NEXT) | instid1(VALU_DEP_1)
	v_add_f32_e32 v32, v33, v32
	v_and_b32_e32 v33, 0x7f800000, v32
	s_delay_alu instid0(VALU_DEP_1)
	v_cmpx_ne_u32_e32 0x7f800000, v33
	s_xor_b32 s40, exec_lo, s40
; %bb.3007:                             ;   in Loop: Header=BB8_2893 Depth=3
	v_bfe_u32 v33, v32, 16, 1
	s_delay_alu instid0(VALU_DEP_1)
	v_add3_u32 v106, v32, v33, 0x7fff
                                        ; implicit-def: $vgpr32
; %bb.3008:                             ;   in Loop: Header=BB8_2893 Depth=3
	s_and_not1_saveexec_b32 s40, s40
; %bb.3009:                             ;   in Loop: Header=BB8_2893 Depth=3
	v_and_b32_e32 v33, 0xffff, v32
	v_or_b32_e32 v34, 0x10000, v32
	s_delay_alu instid0(VALU_DEP_2) | instskip(NEXT) | instid1(VALU_DEP_2)
	v_cmp_eq_u32_e32 vcc_lo, 0, v33
	v_cndmask_b32_e32 v106, v34, v32, vcc_lo
; %bb.3010:                             ;   in Loop: Header=BB8_2893 Depth=3
	s_or_b32 exec_lo, exec_lo, s40
	v_and_b32_e32 v32, 0xffff0000, v10
	v_and_b32_e32 v18, 0xffff0000, v18
	s_delay_alu instid0(VALU_DEP_1) | instskip(NEXT) | instid1(VALU_DEP_1)
	v_add_f32_e32 v32, v32, v18
	v_and_b32_e32 v18, 0x7f800000, v32
	s_delay_alu instid0(VALU_DEP_1) | instskip(SKIP_1) | instid1(SALU_CYCLE_1)
	v_cmp_ne_u32_e32 vcc_lo, 0x7f800000, v18
                                        ; implicit-def: $vgpr18
	s_and_saveexec_b32 s40, vcc_lo
	s_xor_b32 s40, exec_lo, s40
; %bb.3011:                             ;   in Loop: Header=BB8_2893 Depth=3
	v_bfe_u32 v18, v32, 16, 1
	s_delay_alu instid0(VALU_DEP_1)
	v_add3_u32 v18, v32, v18, 0x7fff
                                        ; implicit-def: $vgpr32
; %bb.3012:                             ;   in Loop: Header=BB8_2893 Depth=3
	s_and_not1_saveexec_b32 s40, s40
; %bb.3013:                             ;   in Loop: Header=BB8_2893 Depth=3
	v_and_b32_e32 v18, 0xffff, v32
	v_or_b32_e32 v33, 0x10000, v32
	s_delay_alu instid0(VALU_DEP_2) | instskip(NEXT) | instid1(VALU_DEP_2)
	v_cmp_eq_u32_e32 vcc_lo, 0, v18
	v_cndmask_b32_e32 v18, v33, v32, vcc_lo
; %bb.3014:                             ;   in Loop: Header=BB8_2893 Depth=3
	s_or_b32 exec_lo, exec_lo, s40
	v_and_b32_e32 v28, 0xffff0000, v28
	v_lshlrev_b32_e32 v32, 16, v11
	s_delay_alu instid0(VALU_DEP_1) | instskip(NEXT) | instid1(VALU_DEP_1)
	v_add_f32_e32 v32, v32, v28
	v_and_b32_e32 v28, 0x7f800000, v32
	s_delay_alu instid0(VALU_DEP_1) | instskip(SKIP_1) | instid1(SALU_CYCLE_1)
	v_cmp_ne_u32_e32 vcc_lo, 0x7f800000, v28
                                        ; implicit-def: $vgpr28
	s_and_saveexec_b32 s40, vcc_lo
	s_xor_b32 s40, exec_lo, s40
; %bb.3015:                             ;   in Loop: Header=BB8_2893 Depth=3
	v_bfe_u32 v28, v32, 16, 1
	s_delay_alu instid0(VALU_DEP_1)
	v_add3_u32 v28, v32, v28, 0x7fff
                                        ; implicit-def: $vgpr32
; %bb.3016:                             ;   in Loop: Header=BB8_2893 Depth=3
	s_and_not1_saveexec_b32 s40, s40
; %bb.3017:                             ;   in Loop: Header=BB8_2893 Depth=3
	v_and_b32_e32 v28, 0xffff, v32
	v_or_b32_e32 v33, 0x10000, v32
	s_delay_alu instid0(VALU_DEP_2) | instskip(NEXT) | instid1(VALU_DEP_2)
	v_cmp_eq_u32_e32 vcc_lo, 0, v28
	v_cndmask_b32_e32 v28, v33, v32, vcc_lo
; %bb.3018:                             ;   in Loop: Header=BB8_2893 Depth=3
	s_or_b32 exec_lo, exec_lo, s40
	v_and_b32_e32 v32, 0xffff0000, v11
	v_and_b32_e32 v17, 0xffff0000, v17
	s_mov_b32 s40, exec_lo
                                        ; implicit-def: $vgpr107
	s_delay_alu instid0(VALU_DEP_1) | instskip(NEXT) | instid1(VALU_DEP_1)
	v_add_f32_e32 v17, v32, v17
	v_and_b32_e32 v32, 0x7f800000, v17
	s_delay_alu instid0(VALU_DEP_1)
	v_cmpx_ne_u32_e32 0x7f800000, v32
	s_xor_b32 s40, exec_lo, s40
; %bb.3019:                             ;   in Loop: Header=BB8_2893 Depth=3
	v_bfe_u32 v32, v17, 16, 1
	s_delay_alu instid0(VALU_DEP_1)
	v_add3_u32 v107, v17, v32, 0x7fff
                                        ; implicit-def: $vgpr17
; %bb.3020:                             ;   in Loop: Header=BB8_2893 Depth=3
	s_and_not1_saveexec_b32 s40, s40
; %bb.3021:                             ;   in Loop: Header=BB8_2893 Depth=3
	v_and_b32_e32 v32, 0xffff, v17
	v_or_b32_e32 v33, 0x10000, v17
	s_delay_alu instid0(VALU_DEP_2) | instskip(NEXT) | instid1(VALU_DEP_2)
	v_cmp_eq_u32_e32 vcc_lo, 0, v32
	v_cndmask_b32_e32 v107, v33, v17, vcc_lo
; %bb.3022:                             ;   in Loop: Header=BB8_2893 Depth=3
	s_or_b32 exec_lo, exec_lo, s40
	v_dual_lshrrev_b32 v5, 16, v5 :: v_dual_lshrrev_b32 v16, 16, v16
	v_dual_lshrrev_b32 v17, 16, v55 :: v_dual_lshrrev_b32 v28, 16, v28
	s_delay_alu instid0(VALU_DEP_2) | instskip(NEXT) | instid1(VALU_DEP_3)
	v_and_or_b32 v33, 0xffff0000, v19, v5
	v_and_or_b32 v32, 0xffff0000, v4, v16
	v_dual_lshrrev_b32 v4, 16, v54 :: v_dual_lshrrev_b32 v5, 16, v99
	v_dual_lshrrev_b32 v16, 16, v52 :: v_dual_lshrrev_b32 v19, 16, v106
	v_and_or_b32 v34, 0xffff0000, v53, v17
	s_delay_alu instid0(VALU_DEP_3) | instskip(NEXT) | instid1(VALU_DEP_4)
	v_and_or_b32 v35, 0xffff0000, v35, v4
	v_and_or_b32 v17, 0xffff0000, v29, v5
	s_delay_alu instid0(VALU_DEP_4)
	v_and_or_b32 v16, 0xffff0000, v98, v16
	v_and_or_b32 v18, 0xffff0000, v18, v19
	;; [unrolled: 1-line block ×3, first 2 shown]
	s_clause 0x1
	global_store_b128 v[90:91], v[32:35], off th:TH_STORE_NT
	global_store_b128 v[90:91], v[16:19], off offset:512 th:TH_STORE_NT
	s_wait_xcnt 0x0
	v_add_nc_u64_e32 v[90:91], v[90:91], v[42:43]
.LBB8_3023:                             ;   in Loop: Header=BB8_2893 Depth=3
	s_or_b32 exec_lo, exec_lo, s41
	v_sub_nc_u32_e32 v105, v105, v84
	v_add_nc_u64_e32 v[92:93], v[92:93], v[42:43]
	v_add_nc_u64_e32 v[94:95], v[94:95], v[42:43]
	s_delay_alu instid0(VALU_DEP_3)
	v_cmp_lt_i32_e64 s40, 0, v105
	s_and_saveexec_b32 s41, s40
	s_cbranch_execz .LBB8_3025
; %bb.3024:                             ;   in Loop: Header=BB8_2893 Depth=3
	s_clause 0x1
	global_load_b128 v[32:35], v[92:93], off th:TH_LOAD_NT
	global_load_b128 v[16:19], v[92:93], off offset:512 th:TH_LOAD_NT
	s_clause 0x1
	global_load_b128 v[12:15], v[94:95], off th:TH_LOAD_NT
	global_load_b128 v[8:11], v[94:95], off offset:512 th:TH_LOAD_NT
	s_wait_xcnt 0x2
	v_add_nc_u64_e32 v[92:93], 0x400, v[92:93]
	s_wait_xcnt 0x0
	v_add_nc_u64_e32 v[94:95], 0x400, v[94:95]
.LBB8_3025:                             ;   in Loop: Header=BB8_2893 Depth=3
	s_or_b32 exec_lo, exec_lo, s41
	s_wait_loadcnt 0x3
	v_lshlrev_b32_e32 v4, 16, v48
	s_delay_alu instid0(VALU_DEP_1) | instskip(NEXT) | instid1(VALU_DEP_1)
	v_mul_f32_e32 v5, v104, v4
	v_and_b32_e32 v4, 0x7f800000, v5
	s_delay_alu instid0(VALU_DEP_1) | instskip(SKIP_1) | instid1(SALU_CYCLE_1)
	v_cmp_ne_u32_e32 vcc_lo, 0x7f800000, v4
                                        ; implicit-def: $vgpr4
	s_and_saveexec_b32 s41, vcc_lo
	s_xor_b32 s41, exec_lo, s41
; %bb.3026:                             ;   in Loop: Header=BB8_2893 Depth=3
	v_bfe_u32 v4, v5, 16, 1
	s_delay_alu instid0(VALU_DEP_1)
	v_add3_u32 v4, v5, v4, 0x7fff
                                        ; implicit-def: $vgpr5
; %bb.3027:                             ;   in Loop: Header=BB8_2893 Depth=3
	s_and_not1_saveexec_b32 s41, s41
; %bb.3028:                             ;   in Loop: Header=BB8_2893 Depth=3
	v_and_b32_e32 v4, 0xffff, v5
	v_or_b32_e32 v28, 0x10000, v5
	s_delay_alu instid0(VALU_DEP_2) | instskip(NEXT) | instid1(VALU_DEP_2)
	v_cmp_eq_u32_e32 vcc_lo, 0, v4
	v_cndmask_b32_e32 v4, v28, v5, vcc_lo
; %bb.3029:                             ;   in Loop: Header=BB8_2893 Depth=3
	s_or_b32 exec_lo, exec_lo, s41
	v_and_b32_e32 v5, 0xffff0000, v48
	s_mov_b32 s41, exec_lo
                                        ; implicit-def: $vgpr98
	s_delay_alu instid0(VALU_DEP_1) | instskip(NEXT) | instid1(VALU_DEP_1)
	v_mul_f32_e32 v5, v104, v5
	v_and_b32_e32 v28, 0x7f800000, v5
	s_delay_alu instid0(VALU_DEP_1)
	v_cmpx_ne_u32_e32 0x7f800000, v28
	s_xor_b32 s41, exec_lo, s41
; %bb.3030:                             ;   in Loop: Header=BB8_2893 Depth=3
	v_bfe_u32 v28, v5, 16, 1
	s_delay_alu instid0(VALU_DEP_1)
	v_add3_u32 v98, v5, v28, 0x7fff
                                        ; implicit-def: $vgpr5
; %bb.3031:                             ;   in Loop: Header=BB8_2893 Depth=3
	s_and_not1_saveexec_b32 s41, s41
; %bb.3032:                             ;   in Loop: Header=BB8_2893 Depth=3
	v_and_b32_e32 v28, 0xffff, v5
	v_or_b32_e32 v29, 0x10000, v5
	s_delay_alu instid0(VALU_DEP_2) | instskip(NEXT) | instid1(VALU_DEP_2)
	v_cmp_eq_u32_e32 vcc_lo, 0, v28
	v_cndmask_b32_e32 v98, v29, v5, vcc_lo
; %bb.3033:                             ;   in Loop: Header=BB8_2893 Depth=3
	s_or_b32 exec_lo, exec_lo, s41
	v_lshlrev_b32_e32 v5, 16, v49
	s_mov_b32 s41, exec_lo
                                        ; implicit-def: $vgpr99
	s_delay_alu instid0(VALU_DEP_1) | instskip(NEXT) | instid1(VALU_DEP_1)
	v_mul_f32_e32 v5, v104, v5
	v_and_b32_e32 v28, 0x7f800000, v5
	s_delay_alu instid0(VALU_DEP_1)
	v_cmpx_ne_u32_e32 0x7f800000, v28
	s_xor_b32 s41, exec_lo, s41
; %bb.3034:                             ;   in Loop: Header=BB8_2893 Depth=3
	v_bfe_u32 v28, v5, 16, 1
	s_delay_alu instid0(VALU_DEP_1)
	v_add3_u32 v99, v5, v28, 0x7fff
                                        ; implicit-def: $vgpr5
; %bb.3035:                             ;   in Loop: Header=BB8_2893 Depth=3
	s_and_not1_saveexec_b32 s41, s41
; %bb.3036:                             ;   in Loop: Header=BB8_2893 Depth=3
	v_and_b32_e32 v28, 0xffff, v5
	v_or_b32_e32 v29, 0x10000, v5
	s_delay_alu instid0(VALU_DEP_2) | instskip(NEXT) | instid1(VALU_DEP_2)
	v_cmp_eq_u32_e32 vcc_lo, 0, v28
	v_cndmask_b32_e32 v99, v29, v5, vcc_lo
; %bb.3037:                             ;   in Loop: Header=BB8_2893 Depth=3
	s_or_b32 exec_lo, exec_lo, s41
	v_and_b32_e32 v5, 0xffff0000, v49
	s_mov_b32 s41, exec_lo
                                        ; implicit-def: $vgpr106
	s_delay_alu instid0(VALU_DEP_1) | instskip(NEXT) | instid1(VALU_DEP_1)
	v_mul_f32_e32 v5, v104, v5
	v_and_b32_e32 v28, 0x7f800000, v5
	s_delay_alu instid0(VALU_DEP_1)
	v_cmpx_ne_u32_e32 0x7f800000, v28
	s_xor_b32 s41, exec_lo, s41
; %bb.3038:                             ;   in Loop: Header=BB8_2893 Depth=3
	v_bfe_u32 v28, v5, 16, 1
	s_delay_alu instid0(VALU_DEP_1)
	v_add3_u32 v106, v5, v28, 0x7fff
                                        ; implicit-def: $vgpr5
; %bb.3039:                             ;   in Loop: Header=BB8_2893 Depth=3
	s_and_not1_saveexec_b32 s41, s41
; %bb.3040:                             ;   in Loop: Header=BB8_2893 Depth=3
	v_and_b32_e32 v28, 0xffff, v5
	v_or_b32_e32 v29, 0x10000, v5
	s_delay_alu instid0(VALU_DEP_2) | instskip(NEXT) | instid1(VALU_DEP_2)
	v_cmp_eq_u32_e32 vcc_lo, 0, v28
	v_cndmask_b32_e32 v106, v29, v5, vcc_lo
; %bb.3041:                             ;   in Loop: Header=BB8_2893 Depth=3
	s_or_b32 exec_lo, exec_lo, s41
	v_lshlrev_b32_e32 v5, 16, v50
	s_mov_b32 s41, exec_lo
                                        ; implicit-def: $vgpr107
	s_delay_alu instid0(VALU_DEP_1) | instskip(NEXT) | instid1(VALU_DEP_1)
	v_mul_f32_e32 v5, v104, v5
	v_and_b32_e32 v28, 0x7f800000, v5
	s_delay_alu instid0(VALU_DEP_1)
	v_cmpx_ne_u32_e32 0x7f800000, v28
	s_xor_b32 s41, exec_lo, s41
; %bb.3042:                             ;   in Loop: Header=BB8_2893 Depth=3
	v_bfe_u32 v28, v5, 16, 1
	s_delay_alu instid0(VALU_DEP_1)
	v_add3_u32 v107, v5, v28, 0x7fff
                                        ; implicit-def: $vgpr5
; %bb.3043:                             ;   in Loop: Header=BB8_2893 Depth=3
	s_and_not1_saveexec_b32 s41, s41
; %bb.3044:                             ;   in Loop: Header=BB8_2893 Depth=3
	v_and_b32_e32 v28, 0xffff, v5
	v_or_b32_e32 v29, 0x10000, v5
	s_delay_alu instid0(VALU_DEP_2) | instskip(NEXT) | instid1(VALU_DEP_2)
	v_cmp_eq_u32_e32 vcc_lo, 0, v28
	v_cndmask_b32_e32 v107, v29, v5, vcc_lo
; %bb.3045:                             ;   in Loop: Header=BB8_2893 Depth=3
	s_or_b32 exec_lo, exec_lo, s41
	v_and_b32_e32 v5, 0xffff0000, v50
	s_mov_b32 s41, exec_lo
                                        ; implicit-def: $vgpr54
	s_delay_alu instid0(VALU_DEP_1) | instskip(NEXT) | instid1(VALU_DEP_1)
	v_mul_f32_e32 v5, v104, v5
	v_and_b32_e32 v28, 0x7f800000, v5
	s_delay_alu instid0(VALU_DEP_1)
	v_cmpx_ne_u32_e32 0x7f800000, v28
	s_xor_b32 s41, exec_lo, s41
; %bb.3046:                             ;   in Loop: Header=BB8_2893 Depth=3
	v_bfe_u32 v28, v5, 16, 1
	s_delay_alu instid0(VALU_DEP_1)
	v_add3_u32 v54, v5, v28, 0x7fff
                                        ; implicit-def: $vgpr5
; %bb.3047:                             ;   in Loop: Header=BB8_2893 Depth=3
	s_and_not1_saveexec_b32 s41, s41
; %bb.3048:                             ;   in Loop: Header=BB8_2893 Depth=3
	v_and_b32_e32 v28, 0xffff, v5
	v_or_b32_e32 v29, 0x10000, v5
	s_delay_alu instid0(VALU_DEP_2) | instskip(NEXT) | instid1(VALU_DEP_2)
	v_cmp_eq_u32_e32 vcc_lo, 0, v28
	v_cndmask_b32_e32 v54, v29, v5, vcc_lo
; %bb.3049:                             ;   in Loop: Header=BB8_2893 Depth=3
	s_or_b32 exec_lo, exec_lo, s41
	v_lshlrev_b32_e32 v5, 16, v51
	s_mov_b32 s41, exec_lo
                                        ; implicit-def: $vgpr55
	s_delay_alu instid0(VALU_DEP_1) | instskip(NEXT) | instid1(VALU_DEP_1)
	v_mul_f32_e32 v5, v104, v5
	v_and_b32_e32 v28, 0x7f800000, v5
	s_delay_alu instid0(VALU_DEP_1)
	v_cmpx_ne_u32_e32 0x7f800000, v28
	s_xor_b32 s41, exec_lo, s41
; %bb.3050:                             ;   in Loop: Header=BB8_2893 Depth=3
	v_bfe_u32 v28, v5, 16, 1
	s_delay_alu instid0(VALU_DEP_1)
	v_add3_u32 v55, v5, v28, 0x7fff
                                        ; implicit-def: $vgpr5
; %bb.3051:                             ;   in Loop: Header=BB8_2893 Depth=3
	s_and_not1_saveexec_b32 s41, s41
; %bb.3052:                             ;   in Loop: Header=BB8_2893 Depth=3
	v_and_b32_e32 v28, 0xffff, v5
	v_or_b32_e32 v29, 0x10000, v5
	s_delay_alu instid0(VALU_DEP_2) | instskip(NEXT) | instid1(VALU_DEP_2)
	v_cmp_eq_u32_e32 vcc_lo, 0, v28
	v_cndmask_b32_e32 v55, v29, v5, vcc_lo
; %bb.3053:                             ;   in Loop: Header=BB8_2893 Depth=3
	s_or_b32 exec_lo, exec_lo, s41
	v_and_b32_e32 v5, 0xffff0000, v51
	s_mov_b32 s41, exec_lo
                                        ; implicit-def: $vgpr52
	s_delay_alu instid0(VALU_DEP_1) | instskip(NEXT) | instid1(VALU_DEP_1)
	v_mul_f32_e32 v5, v104, v5
	v_and_b32_e32 v28, 0x7f800000, v5
	s_delay_alu instid0(VALU_DEP_1)
	v_cmpx_ne_u32_e32 0x7f800000, v28
	s_xor_b32 s41, exec_lo, s41
; %bb.3054:                             ;   in Loop: Header=BB8_2893 Depth=3
	v_bfe_u32 v28, v5, 16, 1
	s_delay_alu instid0(VALU_DEP_1)
	v_add3_u32 v52, v5, v28, 0x7fff
                                        ; implicit-def: $vgpr5
; %bb.3055:                             ;   in Loop: Header=BB8_2893 Depth=3
	s_and_not1_saveexec_b32 s41, s41
; %bb.3056:                             ;   in Loop: Header=BB8_2893 Depth=3
	v_and_b32_e32 v28, 0xffff, v5
	v_or_b32_e32 v29, 0x10000, v5
	s_delay_alu instid0(VALU_DEP_2) | instskip(NEXT) | instid1(VALU_DEP_2)
	v_cmp_eq_u32_e32 vcc_lo, 0, v28
	v_cndmask_b32_e32 v52, v29, v5, vcc_lo
; %bb.3057:                             ;   in Loop: Header=BB8_2893 Depth=3
	s_or_b32 exec_lo, exec_lo, s41
	s_wait_loadcnt 0x2
	v_lshlrev_b32_e32 v5, 16, v36
	s_mov_b32 s41, exec_lo
                                        ; implicit-def: $vgpr53
	s_delay_alu instid0(VALU_DEP_1) | instskip(NEXT) | instid1(VALU_DEP_1)
	v_mul_f32_e32 v5, v104, v5
	v_and_b32_e32 v28, 0x7f800000, v5
	s_delay_alu instid0(VALU_DEP_1)
	v_cmpx_ne_u32_e32 0x7f800000, v28
	s_xor_b32 s41, exec_lo, s41
; %bb.3058:                             ;   in Loop: Header=BB8_2893 Depth=3
	v_bfe_u32 v28, v5, 16, 1
	s_delay_alu instid0(VALU_DEP_1)
	v_add3_u32 v53, v5, v28, 0x7fff
                                        ; implicit-def: $vgpr5
; %bb.3059:                             ;   in Loop: Header=BB8_2893 Depth=3
	s_and_not1_saveexec_b32 s41, s41
; %bb.3060:                             ;   in Loop: Header=BB8_2893 Depth=3
	v_and_b32_e32 v28, 0xffff, v5
	v_or_b32_e32 v29, 0x10000, v5
	s_delay_alu instid0(VALU_DEP_2) | instskip(NEXT) | instid1(VALU_DEP_2)
	v_cmp_eq_u32_e32 vcc_lo, 0, v28
	v_cndmask_b32_e32 v53, v29, v5, vcc_lo
; %bb.3061:                             ;   in Loop: Header=BB8_2893 Depth=3
	s_or_b32 exec_lo, exec_lo, s41
	v_and_b32_e32 v5, 0xffff0000, v36
	s_mov_b32 s41, exec_lo
                                        ; implicit-def: $vgpr50
	s_delay_alu instid0(VALU_DEP_1) | instskip(NEXT) | instid1(VALU_DEP_1)
	v_mul_f32_e32 v5, v104, v5
	v_and_b32_e32 v28, 0x7f800000, v5
	s_delay_alu instid0(VALU_DEP_1)
	v_cmpx_ne_u32_e32 0x7f800000, v28
	s_xor_b32 s41, exec_lo, s41
; %bb.3062:                             ;   in Loop: Header=BB8_2893 Depth=3
	v_bfe_u32 v28, v5, 16, 1
	s_delay_alu instid0(VALU_DEP_1)
	v_add3_u32 v50, v5, v28, 0x7fff
                                        ; implicit-def: $vgpr5
; %bb.3063:                             ;   in Loop: Header=BB8_2893 Depth=3
	s_and_not1_saveexec_b32 s41, s41
; %bb.3064:                             ;   in Loop: Header=BB8_2893 Depth=3
	v_and_b32_e32 v28, 0xffff, v5
	v_or_b32_e32 v29, 0x10000, v5
	s_delay_alu instid0(VALU_DEP_2) | instskip(NEXT) | instid1(VALU_DEP_2)
	v_cmp_eq_u32_e32 vcc_lo, 0, v28
	v_cndmask_b32_e32 v50, v29, v5, vcc_lo
; %bb.3065:                             ;   in Loop: Header=BB8_2893 Depth=3
	s_or_b32 exec_lo, exec_lo, s41
	v_lshlrev_b32_e32 v5, 16, v37
	s_mov_b32 s41, exec_lo
                                        ; implicit-def: $vgpr51
	s_delay_alu instid0(VALU_DEP_1) | instskip(NEXT) | instid1(VALU_DEP_1)
	v_mul_f32_e32 v5, v104, v5
	v_and_b32_e32 v28, 0x7f800000, v5
	s_delay_alu instid0(VALU_DEP_1)
	v_cmpx_ne_u32_e32 0x7f800000, v28
	s_xor_b32 s41, exec_lo, s41
; %bb.3066:                             ;   in Loop: Header=BB8_2893 Depth=3
	v_bfe_u32 v28, v5, 16, 1
	s_delay_alu instid0(VALU_DEP_1)
	v_add3_u32 v51, v5, v28, 0x7fff
                                        ; implicit-def: $vgpr5
; %bb.3067:                             ;   in Loop: Header=BB8_2893 Depth=3
	s_and_not1_saveexec_b32 s41, s41
; %bb.3068:                             ;   in Loop: Header=BB8_2893 Depth=3
	v_and_b32_e32 v28, 0xffff, v5
	v_or_b32_e32 v29, 0x10000, v5
	s_delay_alu instid0(VALU_DEP_2) | instskip(NEXT) | instid1(VALU_DEP_2)
	v_cmp_eq_u32_e32 vcc_lo, 0, v28
	v_cndmask_b32_e32 v51, v29, v5, vcc_lo
; %bb.3069:                             ;   in Loop: Header=BB8_2893 Depth=3
	s_or_b32 exec_lo, exec_lo, s41
	v_and_b32_e32 v5, 0xffff0000, v37
	s_mov_b32 s41, exec_lo
                                        ; implicit-def: $vgpr48
	s_delay_alu instid0(VALU_DEP_1) | instskip(NEXT) | instid1(VALU_DEP_1)
	v_mul_f32_e32 v5, v104, v5
	v_and_b32_e32 v28, 0x7f800000, v5
	s_delay_alu instid0(VALU_DEP_1)
	v_cmpx_ne_u32_e32 0x7f800000, v28
	s_xor_b32 s41, exec_lo, s41
; %bb.3070:                             ;   in Loop: Header=BB8_2893 Depth=3
	v_bfe_u32 v28, v5, 16, 1
	s_delay_alu instid0(VALU_DEP_1)
	v_add3_u32 v48, v5, v28, 0x7fff
                                        ; implicit-def: $vgpr5
; %bb.3071:                             ;   in Loop: Header=BB8_2893 Depth=3
	s_and_not1_saveexec_b32 s41, s41
; %bb.3072:                             ;   in Loop: Header=BB8_2893 Depth=3
	v_and_b32_e32 v28, 0xffff, v5
	v_or_b32_e32 v29, 0x10000, v5
	s_delay_alu instid0(VALU_DEP_2) | instskip(NEXT) | instid1(VALU_DEP_2)
	v_cmp_eq_u32_e32 vcc_lo, 0, v28
	v_cndmask_b32_e32 v48, v29, v5, vcc_lo
; %bb.3073:                             ;   in Loop: Header=BB8_2893 Depth=3
	s_or_b32 exec_lo, exec_lo, s41
	v_lshlrev_b32_e32 v5, 16, v38
	s_mov_b32 s41, exec_lo
                                        ; implicit-def: $vgpr49
	s_delay_alu instid0(VALU_DEP_1) | instskip(NEXT) | instid1(VALU_DEP_1)
	v_mul_f32_e32 v5, v104, v5
	v_and_b32_e32 v28, 0x7f800000, v5
	s_delay_alu instid0(VALU_DEP_1)
	v_cmpx_ne_u32_e32 0x7f800000, v28
	s_xor_b32 s41, exec_lo, s41
; %bb.3074:                             ;   in Loop: Header=BB8_2893 Depth=3
	v_bfe_u32 v28, v5, 16, 1
	s_delay_alu instid0(VALU_DEP_1)
	v_add3_u32 v49, v5, v28, 0x7fff
                                        ; implicit-def: $vgpr5
; %bb.3075:                             ;   in Loop: Header=BB8_2893 Depth=3
	s_and_not1_saveexec_b32 s41, s41
; %bb.3076:                             ;   in Loop: Header=BB8_2893 Depth=3
	v_and_b32_e32 v28, 0xffff, v5
	v_or_b32_e32 v29, 0x10000, v5
	s_delay_alu instid0(VALU_DEP_2) | instskip(NEXT) | instid1(VALU_DEP_2)
	v_cmp_eq_u32_e32 vcc_lo, 0, v28
	v_cndmask_b32_e32 v49, v29, v5, vcc_lo
; %bb.3077:                             ;   in Loop: Header=BB8_2893 Depth=3
	s_or_b32 exec_lo, exec_lo, s41
	v_and_b32_e32 v5, 0xffff0000, v38
	s_mov_b32 s41, exec_lo
                                        ; implicit-def: $vgpr36
	s_delay_alu instid0(VALU_DEP_1) | instskip(NEXT) | instid1(VALU_DEP_1)
	v_mul_f32_e32 v5, v104, v5
	v_and_b32_e32 v28, 0x7f800000, v5
	s_delay_alu instid0(VALU_DEP_1)
	v_cmpx_ne_u32_e32 0x7f800000, v28
	s_xor_b32 s41, exec_lo, s41
; %bb.3078:                             ;   in Loop: Header=BB8_2893 Depth=3
	v_bfe_u32 v28, v5, 16, 1
	s_delay_alu instid0(VALU_DEP_1)
	v_add3_u32 v36, v5, v28, 0x7fff
                                        ; implicit-def: $vgpr5
; %bb.3079:                             ;   in Loop: Header=BB8_2893 Depth=3
	s_and_not1_saveexec_b32 s41, s41
; %bb.3080:                             ;   in Loop: Header=BB8_2893 Depth=3
	v_and_b32_e32 v28, 0xffff, v5
	v_or_b32_e32 v29, 0x10000, v5
	s_delay_alu instid0(VALU_DEP_2) | instskip(NEXT) | instid1(VALU_DEP_2)
	v_cmp_eq_u32_e32 vcc_lo, 0, v28
	v_cndmask_b32_e32 v36, v29, v5, vcc_lo
; %bb.3081:                             ;   in Loop: Header=BB8_2893 Depth=3
	s_or_b32 exec_lo, exec_lo, s41
	v_lshlrev_b32_e32 v5, 16, v39
	s_mov_b32 s41, exec_lo
                                        ; implicit-def: $vgpr37
	s_delay_alu instid0(VALU_DEP_1) | instskip(NEXT) | instid1(VALU_DEP_1)
	v_mul_f32_e32 v5, v104, v5
	v_and_b32_e32 v28, 0x7f800000, v5
	s_delay_alu instid0(VALU_DEP_1)
	v_cmpx_ne_u32_e32 0x7f800000, v28
	s_xor_b32 s41, exec_lo, s41
; %bb.3082:                             ;   in Loop: Header=BB8_2893 Depth=3
	v_bfe_u32 v28, v5, 16, 1
	s_delay_alu instid0(VALU_DEP_1)
	v_add3_u32 v37, v5, v28, 0x7fff
                                        ; implicit-def: $vgpr5
; %bb.3083:                             ;   in Loop: Header=BB8_2893 Depth=3
	s_and_not1_saveexec_b32 s41, s41
; %bb.3084:                             ;   in Loop: Header=BB8_2893 Depth=3
	v_and_b32_e32 v28, 0xffff, v5
	v_or_b32_e32 v29, 0x10000, v5
	s_delay_alu instid0(VALU_DEP_2) | instskip(NEXT) | instid1(VALU_DEP_2)
	v_cmp_eq_u32_e32 vcc_lo, 0, v28
	v_cndmask_b32_e32 v37, v29, v5, vcc_lo
; %bb.3085:                             ;   in Loop: Header=BB8_2893 Depth=3
	s_or_b32 exec_lo, exec_lo, s41
	v_and_b32_e32 v5, 0xffff0000, v39
	s_mov_b32 s41, exec_lo
                                        ; implicit-def: $vgpr29
	s_delay_alu instid0(VALU_DEP_1) | instskip(NEXT) | instid1(VALU_DEP_1)
	v_mul_f32_e32 v5, v104, v5
	v_and_b32_e32 v28, 0x7f800000, v5
	s_delay_alu instid0(VALU_DEP_1)
	v_cmpx_ne_u32_e32 0x7f800000, v28
	s_xor_b32 s41, exec_lo, s41
; %bb.3086:                             ;   in Loop: Header=BB8_2893 Depth=3
	v_bfe_u32 v28, v5, 16, 1
	s_delay_alu instid0(VALU_DEP_1)
	v_add3_u32 v29, v5, v28, 0x7fff
                                        ; implicit-def: $vgpr5
; %bb.3087:                             ;   in Loop: Header=BB8_2893 Depth=3
	s_and_not1_saveexec_b32 s41, s41
; %bb.3088:                             ;   in Loop: Header=BB8_2893 Depth=3
	v_and_b32_e32 v28, 0xffff, v5
	v_or_b32_e32 v29, 0x10000, v5
	s_delay_alu instid0(VALU_DEP_2) | instskip(NEXT) | instid1(VALU_DEP_2)
	v_cmp_eq_u32_e32 vcc_lo, 0, v28
	v_cndmask_b32_e32 v29, v29, v5, vcc_lo
; %bb.3089:                             ;   in Loop: Header=BB8_2893 Depth=3
	s_or_b32 exec_lo, exec_lo, s41
	v_and_b32_e32 v4, 0xffff0000, v4
	s_wait_loadcnt 0x1
	v_lshlrev_b32_e32 v5, 16, v24
	s_mov_b32 s41, exec_lo
                                        ; implicit-def: $vgpr28
	s_delay_alu instid0(VALU_DEP_1) | instskip(NEXT) | instid1(VALU_DEP_1)
	v_add_f32_e32 v4, v5, v4
	v_and_b32_e32 v5, 0x7f800000, v4
	s_delay_alu instid0(VALU_DEP_1)
	v_cmpx_ne_u32_e32 0x7f800000, v5
	s_xor_b32 s41, exec_lo, s41
; %bb.3090:                             ;   in Loop: Header=BB8_2893 Depth=3
	v_bfe_u32 v5, v4, 16, 1
	s_delay_alu instid0(VALU_DEP_1)
	v_add3_u32 v28, v4, v5, 0x7fff
                                        ; implicit-def: $vgpr4
; %bb.3091:                             ;   in Loop: Header=BB8_2893 Depth=3
	s_and_not1_saveexec_b32 s41, s41
; %bb.3092:                             ;   in Loop: Header=BB8_2893 Depth=3
	v_and_b32_e32 v5, 0xffff, v4
	v_or_b32_e32 v28, 0x10000, v4
	s_delay_alu instid0(VALU_DEP_2) | instskip(NEXT) | instid1(VALU_DEP_2)
	v_cmp_eq_u32_e32 vcc_lo, 0, v5
	v_cndmask_b32_e32 v28, v28, v4, vcc_lo
; %bb.3093:                             ;   in Loop: Header=BB8_2893 Depth=3
	s_or_b32 exec_lo, exec_lo, s41
	v_and_b32_e32 v4, 0xffff0000, v24
	v_and_b32_e32 v5, 0xffff0000, v98
	s_delay_alu instid0(VALU_DEP_1) | instskip(NEXT) | instid1(VALU_DEP_1)
	v_add_f32_e32 v5, v4, v5
	v_and_b32_e32 v4, 0x7f800000, v5
	s_delay_alu instid0(VALU_DEP_1) | instskip(SKIP_1) | instid1(SALU_CYCLE_1)
	v_cmp_ne_u32_e32 vcc_lo, 0x7f800000, v4
                                        ; implicit-def: $vgpr4
	s_and_saveexec_b32 s41, vcc_lo
	s_xor_b32 s41, exec_lo, s41
; %bb.3094:                             ;   in Loop: Header=BB8_2893 Depth=3
	v_bfe_u32 v4, v5, 16, 1
	s_delay_alu instid0(VALU_DEP_1)
	v_add3_u32 v4, v5, v4, 0x7fff
                                        ; implicit-def: $vgpr5
; %bb.3095:                             ;   in Loop: Header=BB8_2893 Depth=3
	s_and_not1_saveexec_b32 s41, s41
; %bb.3096:                             ;   in Loop: Header=BB8_2893 Depth=3
	v_and_b32_e32 v4, 0xffff, v5
	v_or_b32_e32 v24, 0x10000, v5
	s_delay_alu instid0(VALU_DEP_2) | instskip(NEXT) | instid1(VALU_DEP_2)
	v_cmp_eq_u32_e32 vcc_lo, 0, v4
	v_cndmask_b32_e32 v4, v24, v5, vcc_lo
; %bb.3097:                             ;   in Loop: Header=BB8_2893 Depth=3
	s_or_b32 exec_lo, exec_lo, s41
	v_and_b32_e32 v5, 0xffff0000, v99
	v_lshlrev_b32_e32 v24, 16, v25
	s_delay_alu instid0(VALU_DEP_1) | instskip(NEXT) | instid1(VALU_DEP_1)
	v_add_f32_e32 v24, v24, v5
	v_and_b32_e32 v5, 0x7f800000, v24
	s_delay_alu instid0(VALU_DEP_1) | instskip(SKIP_1) | instid1(SALU_CYCLE_1)
	v_cmp_ne_u32_e32 vcc_lo, 0x7f800000, v5
                                        ; implicit-def: $vgpr5
	s_and_saveexec_b32 s41, vcc_lo
	s_xor_b32 s41, exec_lo, s41
; %bb.3098:                             ;   in Loop: Header=BB8_2893 Depth=3
	v_bfe_u32 v5, v24, 16, 1
	s_delay_alu instid0(VALU_DEP_1)
	v_add3_u32 v5, v24, v5, 0x7fff
                                        ; implicit-def: $vgpr24
; %bb.3099:                             ;   in Loop: Header=BB8_2893 Depth=3
	s_and_not1_saveexec_b32 s41, s41
; %bb.3100:                             ;   in Loop: Header=BB8_2893 Depth=3
	v_and_b32_e32 v5, 0xffff, v24
	v_or_b32_e32 v38, 0x10000, v24
	s_delay_alu instid0(VALU_DEP_2) | instskip(NEXT) | instid1(VALU_DEP_2)
	v_cmp_eq_u32_e32 vcc_lo, 0, v5
	v_cndmask_b32_e32 v5, v38, v24, vcc_lo
; %bb.3101:                             ;   in Loop: Header=BB8_2893 Depth=3
	s_or_b32 exec_lo, exec_lo, s41
	v_and_b32_e32 v24, 0xffff0000, v25
	v_and_b32_e32 v25, 0xffff0000, v106
	s_delay_alu instid0(VALU_DEP_1) | instskip(NEXT) | instid1(VALU_DEP_1)
	v_add_f32_e32 v25, v24, v25
	v_and_b32_e32 v24, 0x7f800000, v25
	s_delay_alu instid0(VALU_DEP_1) | instskip(SKIP_1) | instid1(SALU_CYCLE_1)
	v_cmp_ne_u32_e32 vcc_lo, 0x7f800000, v24
                                        ; implicit-def: $vgpr24
	s_and_saveexec_b32 s41, vcc_lo
	s_xor_b32 s41, exec_lo, s41
; %bb.3102:                             ;   in Loop: Header=BB8_2893 Depth=3
	v_bfe_u32 v24, v25, 16, 1
	s_delay_alu instid0(VALU_DEP_1)
	v_add3_u32 v24, v25, v24, 0x7fff
                                        ; implicit-def: $vgpr25
; %bb.3103:                             ;   in Loop: Header=BB8_2893 Depth=3
	s_and_not1_saveexec_b32 s41, s41
; %bb.3104:                             ;   in Loop: Header=BB8_2893 Depth=3
	v_and_b32_e32 v24, 0xffff, v25
	v_or_b32_e32 v38, 0x10000, v25
	s_delay_alu instid0(VALU_DEP_2) | instskip(NEXT) | instid1(VALU_DEP_2)
	v_cmp_eq_u32_e32 vcc_lo, 0, v24
	v_cndmask_b32_e32 v24, v38, v25, vcc_lo
; %bb.3105:                             ;   in Loop: Header=BB8_2893 Depth=3
	s_or_b32 exec_lo, exec_lo, s41
	v_and_b32_e32 v25, 0xffff0000, v107
	v_lshlrev_b32_e32 v38, 16, v26
	s_delay_alu instid0(VALU_DEP_1) | instskip(NEXT) | instid1(VALU_DEP_1)
	v_add_f32_e32 v38, v38, v25
	v_and_b32_e32 v25, 0x7f800000, v38
	s_delay_alu instid0(VALU_DEP_1) | instskip(SKIP_1) | instid1(SALU_CYCLE_1)
	v_cmp_ne_u32_e32 vcc_lo, 0x7f800000, v25
                                        ; implicit-def: $vgpr25
	s_and_saveexec_b32 s41, vcc_lo
	s_xor_b32 s41, exec_lo, s41
; %bb.3106:                             ;   in Loop: Header=BB8_2893 Depth=3
	v_bfe_u32 v25, v38, 16, 1
	s_delay_alu instid0(VALU_DEP_1)
	v_add3_u32 v25, v38, v25, 0x7fff
                                        ; implicit-def: $vgpr38
; %bb.3107:                             ;   in Loop: Header=BB8_2893 Depth=3
	s_and_not1_saveexec_b32 s41, s41
; %bb.3108:                             ;   in Loop: Header=BB8_2893 Depth=3
	v_and_b32_e32 v25, 0xffff, v38
	v_or_b32_e32 v39, 0x10000, v38
	s_delay_alu instid0(VALU_DEP_2) | instskip(NEXT) | instid1(VALU_DEP_2)
	v_cmp_eq_u32_e32 vcc_lo, 0, v25
	v_cndmask_b32_e32 v25, v39, v38, vcc_lo
; %bb.3109:                             ;   in Loop: Header=BB8_2893 Depth=3
	s_or_b32 exec_lo, exec_lo, s41
	v_and_b32_e32 v26, 0xffff0000, v26
	v_and_b32_e32 v38, 0xffff0000, v54
	s_delay_alu instid0(VALU_DEP_1) | instskip(NEXT) | instid1(VALU_DEP_1)
	v_add_f32_e32 v38, v26, v38
	v_and_b32_e32 v26, 0x7f800000, v38
	s_delay_alu instid0(VALU_DEP_1) | instskip(SKIP_1) | instid1(SALU_CYCLE_1)
	v_cmp_ne_u32_e32 vcc_lo, 0x7f800000, v26
                                        ; implicit-def: $vgpr26
	s_and_saveexec_b32 s41, vcc_lo
	s_xor_b32 s41, exec_lo, s41
; %bb.3110:                             ;   in Loop: Header=BB8_2893 Depth=3
	v_bfe_u32 v26, v38, 16, 1
	s_delay_alu instid0(VALU_DEP_1)
	v_add3_u32 v26, v38, v26, 0x7fff
                                        ; implicit-def: $vgpr38
; %bb.3111:                             ;   in Loop: Header=BB8_2893 Depth=3
	s_and_not1_saveexec_b32 s41, s41
; %bb.3112:                             ;   in Loop: Header=BB8_2893 Depth=3
	v_and_b32_e32 v26, 0xffff, v38
	v_or_b32_e32 v39, 0x10000, v38
	s_delay_alu instid0(VALU_DEP_2) | instskip(NEXT) | instid1(VALU_DEP_2)
	v_cmp_eq_u32_e32 vcc_lo, 0, v26
	v_cndmask_b32_e32 v26, v39, v38, vcc_lo
; %bb.3113:                             ;   in Loop: Header=BB8_2893 Depth=3
	s_or_b32 exec_lo, exec_lo, s41
	v_and_b32_e32 v38, 0xffff0000, v55
	v_lshlrev_b32_e32 v39, 16, v27
	s_delay_alu instid0(VALU_DEP_1) | instskip(NEXT) | instid1(VALU_DEP_1)
	v_add_f32_e32 v39, v39, v38
	v_and_b32_e32 v38, 0x7f800000, v39
	s_delay_alu instid0(VALU_DEP_1) | instskip(SKIP_1) | instid1(SALU_CYCLE_1)
	v_cmp_ne_u32_e32 vcc_lo, 0x7f800000, v38
                                        ; implicit-def: $vgpr38
	s_and_saveexec_b32 s41, vcc_lo
	s_xor_b32 s41, exec_lo, s41
; %bb.3114:                             ;   in Loop: Header=BB8_2893 Depth=3
	v_bfe_u32 v38, v39, 16, 1
	s_delay_alu instid0(VALU_DEP_1)
	v_add3_u32 v38, v39, v38, 0x7fff
                                        ; implicit-def: $vgpr39
; %bb.3115:                             ;   in Loop: Header=BB8_2893 Depth=3
	s_and_not1_saveexec_b32 s41, s41
; %bb.3116:                             ;   in Loop: Header=BB8_2893 Depth=3
	v_and_b32_e32 v38, 0xffff, v39
	v_or_b32_e32 v54, 0x10000, v39
	s_delay_alu instid0(VALU_DEP_2) | instskip(NEXT) | instid1(VALU_DEP_2)
	v_cmp_eq_u32_e32 vcc_lo, 0, v38
	v_cndmask_b32_e32 v38, v54, v39, vcc_lo
; %bb.3117:                             ;   in Loop: Header=BB8_2893 Depth=3
	s_or_b32 exec_lo, exec_lo, s41
	v_and_b32_e32 v27, 0xffff0000, v27
	v_and_b32_e32 v39, 0xffff0000, v52
	s_delay_alu instid0(VALU_DEP_1) | instskip(NEXT) | instid1(VALU_DEP_1)
	v_add_f32_e32 v39, v27, v39
	v_and_b32_e32 v27, 0x7f800000, v39
	s_delay_alu instid0(VALU_DEP_1) | instskip(SKIP_1) | instid1(SALU_CYCLE_1)
	v_cmp_ne_u32_e32 vcc_lo, 0x7f800000, v27
                                        ; implicit-def: $vgpr27
	s_and_saveexec_b32 s41, vcc_lo
	s_xor_b32 s41, exec_lo, s41
; %bb.3118:                             ;   in Loop: Header=BB8_2893 Depth=3
	v_bfe_u32 v27, v39, 16, 1
	s_delay_alu instid0(VALU_DEP_1)
	v_add3_u32 v27, v39, v27, 0x7fff
                                        ; implicit-def: $vgpr39
; %bb.3119:                             ;   in Loop: Header=BB8_2893 Depth=3
	s_and_not1_saveexec_b32 s41, s41
; %bb.3120:                             ;   in Loop: Header=BB8_2893 Depth=3
	v_and_b32_e32 v27, 0xffff, v39
	v_or_b32_e32 v52, 0x10000, v39
	s_delay_alu instid0(VALU_DEP_2) | instskip(NEXT) | instid1(VALU_DEP_2)
	v_cmp_eq_u32_e32 vcc_lo, 0, v27
	v_cndmask_b32_e32 v27, v52, v39, vcc_lo
; %bb.3121:                             ;   in Loop: Header=BB8_2893 Depth=3
	s_or_b32 exec_lo, exec_lo, s41
	v_and_b32_e32 v39, 0xffff0000, v53
	s_wait_loadcnt 0x0
	v_lshlrev_b32_e32 v52, 16, v20
	s_delay_alu instid0(VALU_DEP_1) | instskip(NEXT) | instid1(VALU_DEP_1)
	v_add_f32_e32 v52, v52, v39
	v_and_b32_e32 v39, 0x7f800000, v52
	s_delay_alu instid0(VALU_DEP_1) | instskip(SKIP_1) | instid1(SALU_CYCLE_1)
	v_cmp_ne_u32_e32 vcc_lo, 0x7f800000, v39
                                        ; implicit-def: $vgpr39
	s_and_saveexec_b32 s41, vcc_lo
	s_xor_b32 s41, exec_lo, s41
; %bb.3122:                             ;   in Loop: Header=BB8_2893 Depth=3
	v_bfe_u32 v39, v52, 16, 1
	s_delay_alu instid0(VALU_DEP_1)
	v_add3_u32 v39, v52, v39, 0x7fff
                                        ; implicit-def: $vgpr52
; %bb.3123:                             ;   in Loop: Header=BB8_2893 Depth=3
	s_and_not1_saveexec_b32 s41, s41
; %bb.3124:                             ;   in Loop: Header=BB8_2893 Depth=3
	v_and_b32_e32 v39, 0xffff, v52
	v_or_b32_e32 v53, 0x10000, v52
	s_delay_alu instid0(VALU_DEP_2) | instskip(NEXT) | instid1(VALU_DEP_2)
	v_cmp_eq_u32_e32 vcc_lo, 0, v39
	v_cndmask_b32_e32 v39, v53, v52, vcc_lo
; %bb.3125:                             ;   in Loop: Header=BB8_2893 Depth=3
	s_or_b32 exec_lo, exec_lo, s41
	v_and_b32_e32 v20, 0xffff0000, v20
	v_and_b32_e32 v50, 0xffff0000, v50
	s_delay_alu instid0(VALU_DEP_1) | instskip(NEXT) | instid1(VALU_DEP_1)
	v_add_f32_e32 v50, v20, v50
	v_and_b32_e32 v20, 0x7f800000, v50
	s_delay_alu instid0(VALU_DEP_1) | instskip(SKIP_1) | instid1(SALU_CYCLE_1)
	v_cmp_ne_u32_e32 vcc_lo, 0x7f800000, v20
                                        ; implicit-def: $vgpr20
	s_and_saveexec_b32 s41, vcc_lo
	s_xor_b32 s41, exec_lo, s41
; %bb.3126:                             ;   in Loop: Header=BB8_2893 Depth=3
	v_bfe_u32 v20, v50, 16, 1
	s_delay_alu instid0(VALU_DEP_1)
	v_add3_u32 v20, v50, v20, 0x7fff
                                        ; implicit-def: $vgpr50
; %bb.3127:                             ;   in Loop: Header=BB8_2893 Depth=3
	s_and_not1_saveexec_b32 s41, s41
; %bb.3128:                             ;   in Loop: Header=BB8_2893 Depth=3
	v_and_b32_e32 v20, 0xffff, v50
	v_or_b32_e32 v52, 0x10000, v50
	s_delay_alu instid0(VALU_DEP_2) | instskip(NEXT) | instid1(VALU_DEP_2)
	v_cmp_eq_u32_e32 vcc_lo, 0, v20
	v_cndmask_b32_e32 v20, v52, v50, vcc_lo
; %bb.3129:                             ;   in Loop: Header=BB8_2893 Depth=3
	s_or_b32 exec_lo, exec_lo, s41
	v_and_b32_e32 v50, 0xffff0000, v51
	v_lshlrev_b32_e32 v51, 16, v21
	s_delay_alu instid0(VALU_DEP_1) | instskip(NEXT) | instid1(VALU_DEP_1)
	v_add_f32_e32 v51, v51, v50
	v_and_b32_e32 v50, 0x7f800000, v51
	s_delay_alu instid0(VALU_DEP_1) | instskip(SKIP_1) | instid1(SALU_CYCLE_1)
	v_cmp_ne_u32_e32 vcc_lo, 0x7f800000, v50
                                        ; implicit-def: $vgpr50
	s_and_saveexec_b32 s41, vcc_lo
	s_xor_b32 s41, exec_lo, s41
; %bb.3130:                             ;   in Loop: Header=BB8_2893 Depth=3
	v_bfe_u32 v50, v51, 16, 1
	s_delay_alu instid0(VALU_DEP_1)
	v_add3_u32 v50, v51, v50, 0x7fff
                                        ; implicit-def: $vgpr51
; %bb.3131:                             ;   in Loop: Header=BB8_2893 Depth=3
	s_and_not1_saveexec_b32 s41, s41
; %bb.3132:                             ;   in Loop: Header=BB8_2893 Depth=3
	v_and_b32_e32 v50, 0xffff, v51
	v_or_b32_e32 v52, 0x10000, v51
	s_delay_alu instid0(VALU_DEP_2) | instskip(NEXT) | instid1(VALU_DEP_2)
	v_cmp_eq_u32_e32 vcc_lo, 0, v50
	v_cndmask_b32_e32 v50, v52, v51, vcc_lo
; %bb.3133:                             ;   in Loop: Header=BB8_2893 Depth=3
	s_or_b32 exec_lo, exec_lo, s41
	v_and_b32_e32 v21, 0xffff0000, v21
	v_and_b32_e32 v48, 0xffff0000, v48
	s_delay_alu instid0(VALU_DEP_1) | instskip(NEXT) | instid1(VALU_DEP_1)
	v_add_f32_e32 v48, v21, v48
	v_and_b32_e32 v21, 0x7f800000, v48
	s_delay_alu instid0(VALU_DEP_1) | instskip(SKIP_1) | instid1(SALU_CYCLE_1)
	v_cmp_ne_u32_e32 vcc_lo, 0x7f800000, v21
                                        ; implicit-def: $vgpr21
	s_and_saveexec_b32 s41, vcc_lo
	s_xor_b32 s41, exec_lo, s41
; %bb.3134:                             ;   in Loop: Header=BB8_2893 Depth=3
	v_bfe_u32 v21, v48, 16, 1
	s_delay_alu instid0(VALU_DEP_1)
	v_add3_u32 v21, v48, v21, 0x7fff
                                        ; implicit-def: $vgpr48
; %bb.3135:                             ;   in Loop: Header=BB8_2893 Depth=3
	s_and_not1_saveexec_b32 s41, s41
; %bb.3136:                             ;   in Loop: Header=BB8_2893 Depth=3
	v_and_b32_e32 v21, 0xffff, v48
	v_or_b32_e32 v51, 0x10000, v48
	s_delay_alu instid0(VALU_DEP_2) | instskip(NEXT) | instid1(VALU_DEP_2)
	v_cmp_eq_u32_e32 vcc_lo, 0, v21
	v_cndmask_b32_e32 v21, v51, v48, vcc_lo
; %bb.3137:                             ;   in Loop: Header=BB8_2893 Depth=3
	s_or_b32 exec_lo, exec_lo, s41
	v_and_b32_e32 v48, 0xffff0000, v49
	v_lshlrev_b32_e32 v49, 16, v22
	s_delay_alu instid0(VALU_DEP_1) | instskip(NEXT) | instid1(VALU_DEP_1)
	v_add_f32_e32 v49, v49, v48
	v_and_b32_e32 v48, 0x7f800000, v49
	s_delay_alu instid0(VALU_DEP_1) | instskip(SKIP_1) | instid1(SALU_CYCLE_1)
	v_cmp_ne_u32_e32 vcc_lo, 0x7f800000, v48
                                        ; implicit-def: $vgpr48
	s_and_saveexec_b32 s41, vcc_lo
	s_xor_b32 s41, exec_lo, s41
; %bb.3138:                             ;   in Loop: Header=BB8_2893 Depth=3
	v_bfe_u32 v48, v49, 16, 1
	s_delay_alu instid0(VALU_DEP_1)
	v_add3_u32 v48, v49, v48, 0x7fff
                                        ; implicit-def: $vgpr49
; %bb.3139:                             ;   in Loop: Header=BB8_2893 Depth=3
	s_and_not1_saveexec_b32 s41, s41
; %bb.3140:                             ;   in Loop: Header=BB8_2893 Depth=3
	v_and_b32_e32 v48, 0xffff, v49
	v_or_b32_e32 v51, 0x10000, v49
	s_delay_alu instid0(VALU_DEP_2) | instskip(NEXT) | instid1(VALU_DEP_2)
	v_cmp_eq_u32_e32 vcc_lo, 0, v48
	v_cndmask_b32_e32 v48, v51, v49, vcc_lo
; %bb.3141:                             ;   in Loop: Header=BB8_2893 Depth=3
	s_or_b32 exec_lo, exec_lo, s41
	v_and_b32_e32 v22, 0xffff0000, v22
	v_and_b32_e32 v36, 0xffff0000, v36
	s_delay_alu instid0(VALU_DEP_1) | instskip(NEXT) | instid1(VALU_DEP_1)
	v_add_f32_e32 v36, v22, v36
	v_and_b32_e32 v22, 0x7f800000, v36
	s_delay_alu instid0(VALU_DEP_1) | instskip(SKIP_1) | instid1(SALU_CYCLE_1)
	v_cmp_ne_u32_e32 vcc_lo, 0x7f800000, v22
                                        ; implicit-def: $vgpr22
	s_and_saveexec_b32 s41, vcc_lo
	s_xor_b32 s41, exec_lo, s41
; %bb.3142:                             ;   in Loop: Header=BB8_2893 Depth=3
	v_bfe_u32 v22, v36, 16, 1
	s_delay_alu instid0(VALU_DEP_1)
	v_add3_u32 v22, v36, v22, 0x7fff
                                        ; implicit-def: $vgpr36
; %bb.3143:                             ;   in Loop: Header=BB8_2893 Depth=3
	s_and_not1_saveexec_b32 s41, s41
; %bb.3144:                             ;   in Loop: Header=BB8_2893 Depth=3
	v_and_b32_e32 v22, 0xffff, v36
	v_or_b32_e32 v49, 0x10000, v36
	s_delay_alu instid0(VALU_DEP_2) | instskip(NEXT) | instid1(VALU_DEP_2)
	v_cmp_eq_u32_e32 vcc_lo, 0, v22
	v_cndmask_b32_e32 v22, v49, v36, vcc_lo
; %bb.3145:                             ;   in Loop: Header=BB8_2893 Depth=3
	s_or_b32 exec_lo, exec_lo, s41
	v_and_b32_e32 v36, 0xffff0000, v37
	v_lshlrev_b32_e32 v37, 16, v23
	s_delay_alu instid0(VALU_DEP_1) | instskip(NEXT) | instid1(VALU_DEP_1)
	v_add_f32_e32 v37, v37, v36
	v_and_b32_e32 v36, 0x7f800000, v37
	s_delay_alu instid0(VALU_DEP_1) | instskip(SKIP_1) | instid1(SALU_CYCLE_1)
	v_cmp_ne_u32_e32 vcc_lo, 0x7f800000, v36
                                        ; implicit-def: $vgpr36
	s_and_saveexec_b32 s41, vcc_lo
	s_xor_b32 s41, exec_lo, s41
; %bb.3146:                             ;   in Loop: Header=BB8_2893 Depth=3
	v_bfe_u32 v36, v37, 16, 1
	s_delay_alu instid0(VALU_DEP_1)
	v_add3_u32 v36, v37, v36, 0x7fff
                                        ; implicit-def: $vgpr37
; %bb.3147:                             ;   in Loop: Header=BB8_2893 Depth=3
	s_and_not1_saveexec_b32 s41, s41
; %bb.3148:                             ;   in Loop: Header=BB8_2893 Depth=3
	v_and_b32_e32 v36, 0xffff, v37
	v_or_b32_e32 v49, 0x10000, v37
	s_delay_alu instid0(VALU_DEP_2) | instskip(NEXT) | instid1(VALU_DEP_2)
	v_cmp_eq_u32_e32 vcc_lo, 0, v36
	v_cndmask_b32_e32 v36, v49, v37, vcc_lo
; %bb.3149:                             ;   in Loop: Header=BB8_2893 Depth=3
	s_or_b32 exec_lo, exec_lo, s41
	v_and_b32_e32 v23, 0xffff0000, v23
	v_and_b32_e32 v29, 0xffff0000, v29
	s_delay_alu instid0(VALU_DEP_1) | instskip(NEXT) | instid1(VALU_DEP_1)
	v_add_f32_e32 v29, v23, v29
	v_and_b32_e32 v23, 0x7f800000, v29
	s_delay_alu instid0(VALU_DEP_1) | instskip(SKIP_1) | instid1(SALU_CYCLE_1)
	v_cmp_ne_u32_e32 vcc_lo, 0x7f800000, v23
                                        ; implicit-def: $vgpr23
	s_and_saveexec_b32 s41, vcc_lo
	s_xor_b32 s41, exec_lo, s41
; %bb.3150:                             ;   in Loop: Header=BB8_2893 Depth=3
	v_bfe_u32 v23, v29, 16, 1
	s_delay_alu instid0(VALU_DEP_1)
	v_add3_u32 v23, v29, v23, 0x7fff
                                        ; implicit-def: $vgpr29
; %bb.3151:                             ;   in Loop: Header=BB8_2893 Depth=3
	s_and_not1_saveexec_b32 s41, s41
	s_cbranch_execz .LBB8_2892
; %bb.3152:                             ;   in Loop: Header=BB8_2893 Depth=3
	v_and_b32_e32 v23, 0xffff, v29
	v_or_b32_e32 v37, 0x10000, v29
	s_delay_alu instid0(VALU_DEP_2) | instskip(NEXT) | instid1(VALU_DEP_2)
	v_cmp_eq_u32_e32 vcc_lo, 0, v23
	v_cndmask_b32_e32 v23, v37, v29, vcc_lo
	s_branch .LBB8_2892
.LBB8_3153:                             ;   in Loop: Header=BB8_1943 Depth=2
	v_cmp_lt_i32_e64 s13, 0, v2
	s_and_saveexec_b32 s14, s2
	s_cbranch_execnz .LBB8_3739
	s_branch .LBB8_3757
.LBB8_3154:                             ;   in Loop: Header=BB8_1943 Depth=2
	s_mov_b32 s76, 0
	v_mov_b32_e32 v18, 0
	s_and_not1_b32 vcc_lo, exec_lo, s13
	s_cbranch_vccz .LBB8_2890
.LBB8_3155:                             ;   in Loop: Header=BB8_1943 Depth=2
	v_dual_mov_b32 v4, v0 :: v_dual_mov_b32 v19, v109
	s_and_saveexec_b32 s15, s76
	s_cbranch_execnz .LBB8_3499
	s_branch .LBB8_3738
.LBB8_3156:                             ;   in Loop: Header=BB8_1943 Depth=2
	s_or_b32 exec_lo, exec_lo, s14
	s_delay_alu instid0(SALU_CYCLE_1)
	s_and_b32 s14, s15, exec_lo
.LBB8_3157:                             ;   in Loop: Header=BB8_1943 Depth=2
	s_or_b32 exec_lo, exec_lo, s13
	s_and_saveexec_b32 s13, s14
	s_cbranch_execz .LBB8_3287
; %bb.3158:                             ;   in Loop: Header=BB8_1943 Depth=2
	s_trap 2
	ds_load_b32 v4, v0
	s_wait_dscnt 0x0
	v_lshlrev_b32_e32 v21, 16, v4
	s_delay_alu instid0(VALU_DEP_1) | instskip(NEXT) | instid1(VALU_DEP_1)
	v_dual_lshlrev_b32 v20, 16, v32 :: v_dual_mov_b32 v4, v21
	v_pk_mul_f32 v[22:23], v[4:5], v[20:21]
	s_delay_alu instid0(VALU_DEP_1) | instskip(NEXT) | instid1(VALU_DEP_1)
	v_and_b32_e32 v4, 0x7f800000, v22
	v_cmp_ne_u32_e32 vcc_lo, 0x7f800000, v4
                                        ; implicit-def: $vgpr4
	s_and_saveexec_b32 s14, vcc_lo
	s_delay_alu instid0(SALU_CYCLE_1)
	s_xor_b32 s14, exec_lo, s14
; %bb.3159:                             ;   in Loop: Header=BB8_1943 Depth=2
	v_bfe_u32 v4, v22, 16, 1
	s_delay_alu instid0(VALU_DEP_1)
	v_add3_u32 v4, v22, v4, 0x7fff
                                        ; implicit-def: $vgpr22_vgpr23
; %bb.3160:                             ;   in Loop: Header=BB8_1943 Depth=2
	s_and_not1_saveexec_b32 s14, s14
; %bb.3161:                             ;   in Loop: Header=BB8_1943 Depth=2
	v_and_b32_e32 v4, 0xffff, v22
	v_or_b32_e32 v5, 0x10000, v22
	s_delay_alu instid0(VALU_DEP_2) | instskip(NEXT) | instid1(VALU_DEP_2)
	v_cmp_eq_u32_e32 vcc_lo, 0, v4
	v_cndmask_b32_e32 v4, v5, v22, vcc_lo
; %bb.3162:                             ;   in Loop: Header=BB8_1943 Depth=2
	s_or_b32 exec_lo, exec_lo, s14
	v_and_b32_e32 v5, 0xffff0000, v32
	s_mov_b32 s14, exec_lo
                                        ; implicit-def: $vgpr36
	s_delay_alu instid0(VALU_DEP_1) | instskip(NEXT) | instid1(VALU_DEP_1)
	v_mul_f32_e32 v5, v21, v5
	v_and_b32_e32 v20, 0x7f800000, v5
	s_delay_alu instid0(VALU_DEP_1)
	v_cmpx_ne_u32_e32 0x7f800000, v20
	s_xor_b32 s14, exec_lo, s14
; %bb.3163:                             ;   in Loop: Header=BB8_1943 Depth=2
	v_bfe_u32 v20, v5, 16, 1
	s_delay_alu instid0(VALU_DEP_1)
	v_add3_u32 v36, v5, v20, 0x7fff
                                        ; implicit-def: $vgpr5
; %bb.3164:                             ;   in Loop: Header=BB8_1943 Depth=2
	s_and_not1_saveexec_b32 s14, s14
; %bb.3165:                             ;   in Loop: Header=BB8_1943 Depth=2
	v_and_b32_e32 v20, 0xffff, v5
	v_or_b32_e32 v22, 0x10000, v5
	s_delay_alu instid0(VALU_DEP_2) | instskip(NEXT) | instid1(VALU_DEP_2)
	v_cmp_eq_u32_e32 vcc_lo, 0, v20
	v_cndmask_b32_e32 v36, v22, v5, vcc_lo
; %bb.3166:                             ;   in Loop: Header=BB8_1943 Depth=2
	s_or_b32 exec_lo, exec_lo, s14
	v_lshlrev_b32_e32 v5, 16, v33
	s_mov_b32 s14, exec_lo
                                        ; implicit-def: $vgpr37
	s_delay_alu instid0(VALU_DEP_1) | instskip(NEXT) | instid1(VALU_DEP_1)
	v_mul_f32_e32 v5, v21, v5
	v_and_b32_e32 v20, 0x7f800000, v5
	s_delay_alu instid0(VALU_DEP_1)
	v_cmpx_ne_u32_e32 0x7f800000, v20
	s_xor_b32 s14, exec_lo, s14
; %bb.3167:                             ;   in Loop: Header=BB8_1943 Depth=2
	v_bfe_u32 v20, v5, 16, 1
	s_delay_alu instid0(VALU_DEP_1)
	v_add3_u32 v37, v5, v20, 0x7fff
                                        ; implicit-def: $vgpr5
; %bb.3168:                             ;   in Loop: Header=BB8_1943 Depth=2
	s_and_not1_saveexec_b32 s14, s14
; %bb.3169:                             ;   in Loop: Header=BB8_1943 Depth=2
	v_and_b32_e32 v20, 0xffff, v5
	v_or_b32_e32 v22, 0x10000, v5
	s_delay_alu instid0(VALU_DEP_2) | instskip(NEXT) | instid1(VALU_DEP_2)
	v_cmp_eq_u32_e32 vcc_lo, 0, v20
	v_cndmask_b32_e32 v37, v22, v5, vcc_lo
; %bb.3170:                             ;   in Loop: Header=BB8_1943 Depth=2
	s_or_b32 exec_lo, exec_lo, s14
	v_and_b32_e32 v5, 0xffff0000, v33
	s_mov_b32 s14, exec_lo
                                        ; implicit-def: $vgpr32
	s_delay_alu instid0(VALU_DEP_1) | instskip(NEXT) | instid1(VALU_DEP_1)
	v_mul_f32_e32 v5, v21, v5
	v_and_b32_e32 v20, 0x7f800000, v5
	s_delay_alu instid0(VALU_DEP_1)
	v_cmpx_ne_u32_e32 0x7f800000, v20
	s_xor_b32 s14, exec_lo, s14
; %bb.3171:                             ;   in Loop: Header=BB8_1943 Depth=2
	v_bfe_u32 v20, v5, 16, 1
	s_delay_alu instid0(VALU_DEP_1)
	v_add3_u32 v32, v5, v20, 0x7fff
                                        ; implicit-def: $vgpr5
; %bb.3172:                             ;   in Loop: Header=BB8_1943 Depth=2
	s_and_not1_saveexec_b32 s14, s14
; %bb.3173:                             ;   in Loop: Header=BB8_1943 Depth=2
	v_and_b32_e32 v20, 0xffff, v5
	v_or_b32_e32 v22, 0x10000, v5
	s_delay_alu instid0(VALU_DEP_2) | instskip(NEXT) | instid1(VALU_DEP_2)
	v_cmp_eq_u32_e32 vcc_lo, 0, v20
	v_cndmask_b32_e32 v32, v22, v5, vcc_lo
; %bb.3174:                             ;   in Loop: Header=BB8_1943 Depth=2
	s_or_b32 exec_lo, exec_lo, s14
	v_lshlrev_b32_e32 v5, 16, v34
	s_mov_b32 s14, exec_lo
                                        ; implicit-def: $vgpr33
	s_delay_alu instid0(VALU_DEP_1) | instskip(NEXT) | instid1(VALU_DEP_1)
	v_mul_f32_e32 v5, v21, v5
	v_and_b32_e32 v20, 0x7f800000, v5
	s_delay_alu instid0(VALU_DEP_1)
	v_cmpx_ne_u32_e32 0x7f800000, v20
	s_xor_b32 s14, exec_lo, s14
; %bb.3175:                             ;   in Loop: Header=BB8_1943 Depth=2
	v_bfe_u32 v20, v5, 16, 1
	s_delay_alu instid0(VALU_DEP_1)
	v_add3_u32 v33, v5, v20, 0x7fff
                                        ; implicit-def: $vgpr5
; %bb.3176:                             ;   in Loop: Header=BB8_1943 Depth=2
	s_and_not1_saveexec_b32 s14, s14
; %bb.3177:                             ;   in Loop: Header=BB8_1943 Depth=2
	v_and_b32_e32 v20, 0xffff, v5
	v_or_b32_e32 v22, 0x10000, v5
	s_delay_alu instid0(VALU_DEP_2) | instskip(NEXT) | instid1(VALU_DEP_2)
	v_cmp_eq_u32_e32 vcc_lo, 0, v20
	v_cndmask_b32_e32 v33, v22, v5, vcc_lo
; %bb.3178:                             ;   in Loop: Header=BB8_1943 Depth=2
	s_or_b32 exec_lo, exec_lo, s14
	v_and_b32_e32 v5, 0xffff0000, v34
	s_mov_b32 s14, exec_lo
                                        ; implicit-def: $vgpr28
	s_delay_alu instid0(VALU_DEP_1) | instskip(NEXT) | instid1(VALU_DEP_1)
	v_mul_f32_e32 v5, v21, v5
	v_and_b32_e32 v20, 0x7f800000, v5
	s_delay_alu instid0(VALU_DEP_1)
	v_cmpx_ne_u32_e32 0x7f800000, v20
	s_xor_b32 s14, exec_lo, s14
; %bb.3179:                             ;   in Loop: Header=BB8_1943 Depth=2
	v_bfe_u32 v20, v5, 16, 1
	s_delay_alu instid0(VALU_DEP_1)
	v_add3_u32 v28, v5, v20, 0x7fff
                                        ; implicit-def: $vgpr5
; %bb.3180:                             ;   in Loop: Header=BB8_1943 Depth=2
	s_and_not1_saveexec_b32 s14, s14
; %bb.3181:                             ;   in Loop: Header=BB8_1943 Depth=2
	v_and_b32_e32 v20, 0xffff, v5
	v_or_b32_e32 v22, 0x10000, v5
	s_delay_alu instid0(VALU_DEP_2) | instskip(NEXT) | instid1(VALU_DEP_2)
	v_cmp_eq_u32_e32 vcc_lo, 0, v20
	v_cndmask_b32_e32 v28, v22, v5, vcc_lo
; %bb.3182:                             ;   in Loop: Header=BB8_1943 Depth=2
	s_or_b32 exec_lo, exec_lo, s14
	v_lshlrev_b32_e32 v5, 16, v35
	s_mov_b32 s14, exec_lo
                                        ; implicit-def: $vgpr29
	s_delay_alu instid0(VALU_DEP_1) | instskip(NEXT) | instid1(VALU_DEP_1)
	v_mul_f32_e32 v5, v21, v5
	v_and_b32_e32 v20, 0x7f800000, v5
	s_delay_alu instid0(VALU_DEP_1)
	v_cmpx_ne_u32_e32 0x7f800000, v20
	s_xor_b32 s14, exec_lo, s14
; %bb.3183:                             ;   in Loop: Header=BB8_1943 Depth=2
	v_bfe_u32 v20, v5, 16, 1
	s_delay_alu instid0(VALU_DEP_1)
	v_add3_u32 v29, v5, v20, 0x7fff
                                        ; implicit-def: $vgpr5
; %bb.3184:                             ;   in Loop: Header=BB8_1943 Depth=2
	s_and_not1_saveexec_b32 s14, s14
; %bb.3185:                             ;   in Loop: Header=BB8_1943 Depth=2
	v_and_b32_e32 v20, 0xffff, v5
	v_or_b32_e32 v22, 0x10000, v5
	s_delay_alu instid0(VALU_DEP_2) | instskip(NEXT) | instid1(VALU_DEP_2)
	v_cmp_eq_u32_e32 vcc_lo, 0, v20
	v_cndmask_b32_e32 v29, v22, v5, vcc_lo
; %bb.3186:                             ;   in Loop: Header=BB8_1943 Depth=2
	s_or_b32 exec_lo, exec_lo, s14
	v_and_b32_e32 v5, 0xffff0000, v35
	s_mov_b32 s14, exec_lo
                                        ; implicit-def: $vgpr26
	s_delay_alu instid0(VALU_DEP_1) | instskip(NEXT) | instid1(VALU_DEP_1)
	v_mul_f32_e32 v5, v21, v5
	v_and_b32_e32 v20, 0x7f800000, v5
	s_delay_alu instid0(VALU_DEP_1)
	v_cmpx_ne_u32_e32 0x7f800000, v20
	s_xor_b32 s14, exec_lo, s14
; %bb.3187:                             ;   in Loop: Header=BB8_1943 Depth=2
	v_bfe_u32 v20, v5, 16, 1
	s_delay_alu instid0(VALU_DEP_1)
	v_add3_u32 v26, v5, v20, 0x7fff
                                        ; implicit-def: $vgpr5
; %bb.3188:                             ;   in Loop: Header=BB8_1943 Depth=2
	s_and_not1_saveexec_b32 s14, s14
; %bb.3189:                             ;   in Loop: Header=BB8_1943 Depth=2
	v_and_b32_e32 v20, 0xffff, v5
	v_or_b32_e32 v22, 0x10000, v5
	s_delay_alu instid0(VALU_DEP_2) | instskip(NEXT) | instid1(VALU_DEP_2)
	v_cmp_eq_u32_e32 vcc_lo, 0, v20
	v_cndmask_b32_e32 v26, v22, v5, vcc_lo
; %bb.3190:                             ;   in Loop: Header=BB8_1943 Depth=2
	s_or_b32 exec_lo, exec_lo, s14
	v_lshlrev_b32_e32 v5, 16, v16
	s_mov_b32 s14, exec_lo
                                        ; implicit-def: $vgpr27
	s_delay_alu instid0(VALU_DEP_1) | instskip(NEXT) | instid1(VALU_DEP_1)
	v_mul_f32_e32 v5, v21, v5
	v_and_b32_e32 v20, 0x7f800000, v5
	s_delay_alu instid0(VALU_DEP_1)
	v_cmpx_ne_u32_e32 0x7f800000, v20
	s_xor_b32 s14, exec_lo, s14
; %bb.3191:                             ;   in Loop: Header=BB8_1943 Depth=2
	v_bfe_u32 v20, v5, 16, 1
	s_delay_alu instid0(VALU_DEP_1)
	v_add3_u32 v27, v5, v20, 0x7fff
                                        ; implicit-def: $vgpr5
; %bb.3192:                             ;   in Loop: Header=BB8_1943 Depth=2
	s_and_not1_saveexec_b32 s14, s14
; %bb.3193:                             ;   in Loop: Header=BB8_1943 Depth=2
	v_and_b32_e32 v20, 0xffff, v5
	v_or_b32_e32 v22, 0x10000, v5
	s_delay_alu instid0(VALU_DEP_2) | instskip(NEXT) | instid1(VALU_DEP_2)
	v_cmp_eq_u32_e32 vcc_lo, 0, v20
	v_cndmask_b32_e32 v27, v22, v5, vcc_lo
; %bb.3194:                             ;   in Loop: Header=BB8_1943 Depth=2
	s_or_b32 exec_lo, exec_lo, s14
	v_and_b32_e32 v5, 0xffff0000, v16
	s_mov_b32 s14, exec_lo
                                        ; implicit-def: $vgpr24
	s_delay_alu instid0(VALU_DEP_1) | instskip(NEXT) | instid1(VALU_DEP_1)
	v_mul_f32_e32 v5, v21, v5
	v_and_b32_e32 v16, 0x7f800000, v5
	s_delay_alu instid0(VALU_DEP_1)
	v_cmpx_ne_u32_e32 0x7f800000, v16
	s_xor_b32 s14, exec_lo, s14
; %bb.3195:                             ;   in Loop: Header=BB8_1943 Depth=2
	v_bfe_u32 v16, v5, 16, 1
	s_delay_alu instid0(VALU_DEP_1)
	v_add3_u32 v24, v5, v16, 0x7fff
                                        ; implicit-def: $vgpr5
; %bb.3196:                             ;   in Loop: Header=BB8_1943 Depth=2
	s_and_not1_saveexec_b32 s14, s14
; %bb.3197:                             ;   in Loop: Header=BB8_1943 Depth=2
	v_and_b32_e32 v16, 0xffff, v5
	v_or_b32_e32 v20, 0x10000, v5
	s_delay_alu instid0(VALU_DEP_2) | instskip(NEXT) | instid1(VALU_DEP_2)
	v_cmp_eq_u32_e32 vcc_lo, 0, v16
	v_cndmask_b32_e32 v24, v20, v5, vcc_lo
; %bb.3198:                             ;   in Loop: Header=BB8_1943 Depth=2
	s_or_b32 exec_lo, exec_lo, s14
	v_lshlrev_b32_e32 v5, 16, v17
	s_mov_b32 s14, exec_lo
                                        ; implicit-def: $vgpr25
	s_delay_alu instid0(VALU_DEP_1) | instskip(NEXT) | instid1(VALU_DEP_1)
	v_mul_f32_e32 v5, v21, v5
	v_and_b32_e32 v16, 0x7f800000, v5
	s_delay_alu instid0(VALU_DEP_1)
	v_cmpx_ne_u32_e32 0x7f800000, v16
	s_xor_b32 s14, exec_lo, s14
; %bb.3199:                             ;   in Loop: Header=BB8_1943 Depth=2
	v_bfe_u32 v16, v5, 16, 1
	s_delay_alu instid0(VALU_DEP_1)
	v_add3_u32 v25, v5, v16, 0x7fff
                                        ; implicit-def: $vgpr5
; %bb.3200:                             ;   in Loop: Header=BB8_1943 Depth=2
	s_and_not1_saveexec_b32 s14, s14
; %bb.3201:                             ;   in Loop: Header=BB8_1943 Depth=2
	v_and_b32_e32 v16, 0xffff, v5
	v_or_b32_e32 v20, 0x10000, v5
	s_delay_alu instid0(VALU_DEP_2) | instskip(NEXT) | instid1(VALU_DEP_2)
	v_cmp_eq_u32_e32 vcc_lo, 0, v16
	v_cndmask_b32_e32 v25, v20, v5, vcc_lo
; %bb.3202:                             ;   in Loop: Header=BB8_1943 Depth=2
	s_or_b32 exec_lo, exec_lo, s14
	v_and_b32_e32 v5, 0xffff0000, v17
	s_mov_b32 s14, exec_lo
                                        ; implicit-def: $vgpr22
	s_delay_alu instid0(VALU_DEP_1) | instskip(NEXT) | instid1(VALU_DEP_1)
	v_mul_f32_e32 v5, v21, v5
	v_and_b32_e32 v16, 0x7f800000, v5
	s_delay_alu instid0(VALU_DEP_1)
	v_cmpx_ne_u32_e32 0x7f800000, v16
	s_xor_b32 s14, exec_lo, s14
; %bb.3203:                             ;   in Loop: Header=BB8_1943 Depth=2
	v_bfe_u32 v16, v5, 16, 1
	s_delay_alu instid0(VALU_DEP_1)
	v_add3_u32 v22, v5, v16, 0x7fff
                                        ; implicit-def: $vgpr5
; %bb.3204:                             ;   in Loop: Header=BB8_1943 Depth=2
	s_and_not1_saveexec_b32 s14, s14
; %bb.3205:                             ;   in Loop: Header=BB8_1943 Depth=2
	v_and_b32_e32 v16, 0xffff, v5
	v_or_b32_e32 v17, 0x10000, v5
	s_delay_alu instid0(VALU_DEP_2) | instskip(NEXT) | instid1(VALU_DEP_2)
	v_cmp_eq_u32_e32 vcc_lo, 0, v16
	v_cndmask_b32_e32 v22, v17, v5, vcc_lo
; %bb.3206:                             ;   in Loop: Header=BB8_1943 Depth=2
	s_or_b32 exec_lo, exec_lo, s14
	v_lshlrev_b32_e32 v5, 16, v18
	s_mov_b32 s14, exec_lo
                                        ; implicit-def: $vgpr23
	s_delay_alu instid0(VALU_DEP_1) | instskip(NEXT) | instid1(VALU_DEP_1)
	v_mul_f32_e32 v5, v21, v5
	v_and_b32_e32 v16, 0x7f800000, v5
	s_delay_alu instid0(VALU_DEP_1)
	v_cmpx_ne_u32_e32 0x7f800000, v16
	s_xor_b32 s14, exec_lo, s14
; %bb.3207:                             ;   in Loop: Header=BB8_1943 Depth=2
	v_bfe_u32 v16, v5, 16, 1
	s_delay_alu instid0(VALU_DEP_1)
	v_add3_u32 v23, v5, v16, 0x7fff
                                        ; implicit-def: $vgpr5
; %bb.3208:                             ;   in Loop: Header=BB8_1943 Depth=2
	s_and_not1_saveexec_b32 s14, s14
; %bb.3209:                             ;   in Loop: Header=BB8_1943 Depth=2
	v_and_b32_e32 v16, 0xffff, v5
	v_or_b32_e32 v17, 0x10000, v5
	s_delay_alu instid0(VALU_DEP_2) | instskip(NEXT) | instid1(VALU_DEP_2)
	v_cmp_eq_u32_e32 vcc_lo, 0, v16
	v_cndmask_b32_e32 v23, v17, v5, vcc_lo
; %bb.3210:                             ;   in Loop: Header=BB8_1943 Depth=2
	s_or_b32 exec_lo, exec_lo, s14
	v_and_b32_e32 v5, 0xffff0000, v18
	s_mov_b32 s14, exec_lo
                                        ; implicit-def: $vgpr18
	s_delay_alu instid0(VALU_DEP_1) | instskip(NEXT) | instid1(VALU_DEP_1)
	v_mul_f32_e32 v5, v21, v5
	v_and_b32_e32 v16, 0x7f800000, v5
	s_delay_alu instid0(VALU_DEP_1)
	v_cmpx_ne_u32_e32 0x7f800000, v16
	s_xor_b32 s14, exec_lo, s14
; %bb.3211:                             ;   in Loop: Header=BB8_1943 Depth=2
	v_bfe_u32 v16, v5, 16, 1
	s_delay_alu instid0(VALU_DEP_1)
	v_add3_u32 v18, v5, v16, 0x7fff
                                        ; implicit-def: $vgpr5
; %bb.3212:                             ;   in Loop: Header=BB8_1943 Depth=2
	s_and_not1_saveexec_b32 s14, s14
; %bb.3213:                             ;   in Loop: Header=BB8_1943 Depth=2
	v_and_b32_e32 v16, 0xffff, v5
	v_or_b32_e32 v17, 0x10000, v5
	s_delay_alu instid0(VALU_DEP_2) | instskip(NEXT) | instid1(VALU_DEP_2)
	v_cmp_eq_u32_e32 vcc_lo, 0, v16
	v_cndmask_b32_e32 v18, v17, v5, vcc_lo
; %bb.3214:                             ;   in Loop: Header=BB8_1943 Depth=2
	s_or_b32 exec_lo, exec_lo, s14
	v_lshlrev_b32_e32 v5, 16, v19
	s_mov_b32 s14, exec_lo
                                        ; implicit-def: $vgpr20
	s_delay_alu instid0(VALU_DEP_1) | instskip(NEXT) | instid1(VALU_DEP_1)
	v_mul_f32_e32 v5, v21, v5
	v_and_b32_e32 v16, 0x7f800000, v5
	s_delay_alu instid0(VALU_DEP_1)
	v_cmpx_ne_u32_e32 0x7f800000, v16
	s_xor_b32 s14, exec_lo, s14
; %bb.3215:                             ;   in Loop: Header=BB8_1943 Depth=2
	v_bfe_u32 v16, v5, 16, 1
	s_delay_alu instid0(VALU_DEP_1)
	v_add3_u32 v20, v5, v16, 0x7fff
                                        ; implicit-def: $vgpr5
; %bb.3216:                             ;   in Loop: Header=BB8_1943 Depth=2
	s_and_not1_saveexec_b32 s14, s14
; %bb.3217:                             ;   in Loop: Header=BB8_1943 Depth=2
	v_and_b32_e32 v16, 0xffff, v5
	v_or_b32_e32 v17, 0x10000, v5
	s_delay_alu instid0(VALU_DEP_2) | instskip(NEXT) | instid1(VALU_DEP_2)
	v_cmp_eq_u32_e32 vcc_lo, 0, v16
	v_cndmask_b32_e32 v20, v17, v5, vcc_lo
; %bb.3218:                             ;   in Loop: Header=BB8_1943 Depth=2
	s_or_b32 exec_lo, exec_lo, s14
	v_and_b32_e32 v5, 0xffff0000, v19
	s_mov_b32 s14, exec_lo
                                        ; implicit-def: $vgpr17
	s_delay_alu instid0(VALU_DEP_1) | instskip(NEXT) | instid1(VALU_DEP_1)
	v_mul_f32_e32 v5, v21, v5
	v_and_b32_e32 v16, 0x7f800000, v5
	s_delay_alu instid0(VALU_DEP_1)
	v_cmpx_ne_u32_e32 0x7f800000, v16
	s_xor_b32 s14, exec_lo, s14
; %bb.3219:                             ;   in Loop: Header=BB8_1943 Depth=2
	v_bfe_u32 v16, v5, 16, 1
	s_delay_alu instid0(VALU_DEP_1)
	v_add3_u32 v17, v5, v16, 0x7fff
                                        ; implicit-def: $vgpr5
; %bb.3220:                             ;   in Loop: Header=BB8_1943 Depth=2
	s_and_not1_saveexec_b32 s14, s14
; %bb.3221:                             ;   in Loop: Header=BB8_1943 Depth=2
	v_and_b32_e32 v16, 0xffff, v5
	v_or_b32_e32 v17, 0x10000, v5
	s_delay_alu instid0(VALU_DEP_2) | instskip(NEXT) | instid1(VALU_DEP_2)
	v_cmp_eq_u32_e32 vcc_lo, 0, v16
	v_cndmask_b32_e32 v17, v17, v5, vcc_lo
; %bb.3222:                             ;   in Loop: Header=BB8_1943 Depth=2
	s_or_b32 exec_lo, exec_lo, s14
	v_and_b32_e32 v4, 0xffff0000, v4
	v_lshlrev_b32_e32 v5, 16, v12
	s_mov_b32 s14, exec_lo
                                        ; implicit-def: $vgpr16
	s_delay_alu instid0(VALU_DEP_1) | instskip(NEXT) | instid1(VALU_DEP_1)
	v_add_f32_e32 v4, v5, v4
	v_and_b32_e32 v5, 0x7f800000, v4
	s_delay_alu instid0(VALU_DEP_1)
	v_cmpx_ne_u32_e32 0x7f800000, v5
	s_xor_b32 s14, exec_lo, s14
; %bb.3223:                             ;   in Loop: Header=BB8_1943 Depth=2
	v_bfe_u32 v5, v4, 16, 1
	s_delay_alu instid0(VALU_DEP_1)
	v_add3_u32 v16, v4, v5, 0x7fff
                                        ; implicit-def: $vgpr4
; %bb.3224:                             ;   in Loop: Header=BB8_1943 Depth=2
	s_and_not1_saveexec_b32 s14, s14
; %bb.3225:                             ;   in Loop: Header=BB8_1943 Depth=2
	v_and_b32_e32 v5, 0xffff, v4
	v_or_b32_e32 v16, 0x10000, v4
	s_delay_alu instid0(VALU_DEP_2) | instskip(NEXT) | instid1(VALU_DEP_2)
	v_cmp_eq_u32_e32 vcc_lo, 0, v5
	v_cndmask_b32_e32 v16, v16, v4, vcc_lo
; %bb.3226:                             ;   in Loop: Header=BB8_1943 Depth=2
	s_or_b32 exec_lo, exec_lo, s14
	v_and_b32_e32 v4, 0xffff0000, v12
	v_and_b32_e32 v5, 0xffff0000, v36
	s_delay_alu instid0(VALU_DEP_1) | instskip(NEXT) | instid1(VALU_DEP_1)
	v_add_f32_e32 v5, v4, v5
	v_and_b32_e32 v4, 0x7f800000, v5
	s_delay_alu instid0(VALU_DEP_1) | instskip(SKIP_1) | instid1(SALU_CYCLE_1)
	v_cmp_ne_u32_e32 vcc_lo, 0x7f800000, v4
                                        ; implicit-def: $vgpr4
	s_and_saveexec_b32 s14, vcc_lo
	s_xor_b32 s14, exec_lo, s14
; %bb.3227:                             ;   in Loop: Header=BB8_1943 Depth=2
	v_bfe_u32 v4, v5, 16, 1
	s_delay_alu instid0(VALU_DEP_1)
	v_add3_u32 v4, v5, v4, 0x7fff
                                        ; implicit-def: $vgpr5
; %bb.3228:                             ;   in Loop: Header=BB8_1943 Depth=2
	s_and_not1_saveexec_b32 s14, s14
; %bb.3229:                             ;   in Loop: Header=BB8_1943 Depth=2
	v_and_b32_e32 v4, 0xffff, v5
	v_or_b32_e32 v12, 0x10000, v5
	s_delay_alu instid0(VALU_DEP_2) | instskip(NEXT) | instid1(VALU_DEP_2)
	v_cmp_eq_u32_e32 vcc_lo, 0, v4
	v_cndmask_b32_e32 v4, v12, v5, vcc_lo
; %bb.3230:                             ;   in Loop: Header=BB8_1943 Depth=2
	s_or_b32 exec_lo, exec_lo, s14
	v_and_b32_e32 v5, 0xffff0000, v37
	v_lshlrev_b32_e32 v12, 16, v13
	s_delay_alu instid0(VALU_DEP_1) | instskip(NEXT) | instid1(VALU_DEP_1)
	v_add_f32_e32 v12, v12, v5
	v_and_b32_e32 v5, 0x7f800000, v12
	s_delay_alu instid0(VALU_DEP_1) | instskip(SKIP_1) | instid1(SALU_CYCLE_1)
	v_cmp_ne_u32_e32 vcc_lo, 0x7f800000, v5
                                        ; implicit-def: $vgpr5
	s_and_saveexec_b32 s14, vcc_lo
	s_xor_b32 s14, exec_lo, s14
; %bb.3231:                             ;   in Loop: Header=BB8_1943 Depth=2
	v_bfe_u32 v5, v12, 16, 1
	s_delay_alu instid0(VALU_DEP_1)
	v_add3_u32 v5, v12, v5, 0x7fff
                                        ; implicit-def: $vgpr12
; %bb.3232:                             ;   in Loop: Header=BB8_1943 Depth=2
	s_and_not1_saveexec_b32 s14, s14
; %bb.3233:                             ;   in Loop: Header=BB8_1943 Depth=2
	v_and_b32_e32 v5, 0xffff, v12
	v_or_b32_e32 v19, 0x10000, v12
	s_delay_alu instid0(VALU_DEP_2) | instskip(NEXT) | instid1(VALU_DEP_2)
	v_cmp_eq_u32_e32 vcc_lo, 0, v5
	v_cndmask_b32_e32 v5, v19, v12, vcc_lo
; %bb.3234:                             ;   in Loop: Header=BB8_1943 Depth=2
	s_or_b32 exec_lo, exec_lo, s14
	v_and_b32_e32 v12, 0xffff0000, v13
	v_and_b32_e32 v13, 0xffff0000, v32
	s_delay_alu instid0(VALU_DEP_1) | instskip(NEXT) | instid1(VALU_DEP_1)
	v_add_f32_e32 v13, v12, v13
	v_and_b32_e32 v12, 0x7f800000, v13
	s_delay_alu instid0(VALU_DEP_1) | instskip(SKIP_1) | instid1(SALU_CYCLE_1)
	v_cmp_ne_u32_e32 vcc_lo, 0x7f800000, v12
                                        ; implicit-def: $vgpr12
	s_and_saveexec_b32 s14, vcc_lo
	s_xor_b32 s14, exec_lo, s14
; %bb.3235:                             ;   in Loop: Header=BB8_1943 Depth=2
	v_bfe_u32 v12, v13, 16, 1
	s_delay_alu instid0(VALU_DEP_1)
	v_add3_u32 v12, v13, v12, 0x7fff
                                        ; implicit-def: $vgpr13
; %bb.3236:                             ;   in Loop: Header=BB8_1943 Depth=2
	s_and_not1_saveexec_b32 s14, s14
; %bb.3237:                             ;   in Loop: Header=BB8_1943 Depth=2
	v_and_b32_e32 v12, 0xffff, v13
	v_or_b32_e32 v19, 0x10000, v13
	s_delay_alu instid0(VALU_DEP_2) | instskip(NEXT) | instid1(VALU_DEP_2)
	v_cmp_eq_u32_e32 vcc_lo, 0, v12
	v_cndmask_b32_e32 v12, v19, v13, vcc_lo
; %bb.3238:                             ;   in Loop: Header=BB8_1943 Depth=2
	s_or_b32 exec_lo, exec_lo, s14
	v_and_b32_e32 v13, 0xffff0000, v33
	v_lshlrev_b32_e32 v19, 16, v14
	s_delay_alu instid0(VALU_DEP_1) | instskip(NEXT) | instid1(VALU_DEP_1)
	v_add_f32_e32 v19, v19, v13
	v_and_b32_e32 v13, 0x7f800000, v19
	s_delay_alu instid0(VALU_DEP_1) | instskip(SKIP_1) | instid1(SALU_CYCLE_1)
	v_cmp_ne_u32_e32 vcc_lo, 0x7f800000, v13
                                        ; implicit-def: $vgpr13
	s_and_saveexec_b32 s14, vcc_lo
	s_xor_b32 s14, exec_lo, s14
; %bb.3239:                             ;   in Loop: Header=BB8_1943 Depth=2
	v_bfe_u32 v13, v19, 16, 1
	s_delay_alu instid0(VALU_DEP_1)
	v_add3_u32 v13, v19, v13, 0x7fff
                                        ; implicit-def: $vgpr19
; %bb.3240:                             ;   in Loop: Header=BB8_1943 Depth=2
	s_and_not1_saveexec_b32 s14, s14
; %bb.3241:                             ;   in Loop: Header=BB8_1943 Depth=2
	v_and_b32_e32 v13, 0xffff, v19
	v_or_b32_e32 v21, 0x10000, v19
	s_delay_alu instid0(VALU_DEP_2) | instskip(NEXT) | instid1(VALU_DEP_2)
	v_cmp_eq_u32_e32 vcc_lo, 0, v13
	v_cndmask_b32_e32 v13, v21, v19, vcc_lo
; %bb.3242:                             ;   in Loop: Header=BB8_1943 Depth=2
	s_or_b32 exec_lo, exec_lo, s14
	v_and_b32_e32 v14, 0xffff0000, v14
	v_and_b32_e32 v19, 0xffff0000, v28
	s_delay_alu instid0(VALU_DEP_1) | instskip(NEXT) | instid1(VALU_DEP_1)
	v_add_f32_e32 v19, v14, v19
	v_and_b32_e32 v14, 0x7f800000, v19
	s_delay_alu instid0(VALU_DEP_1) | instskip(SKIP_1) | instid1(SALU_CYCLE_1)
	v_cmp_ne_u32_e32 vcc_lo, 0x7f800000, v14
                                        ; implicit-def: $vgpr14
	s_and_saveexec_b32 s14, vcc_lo
	s_xor_b32 s14, exec_lo, s14
; %bb.3243:                             ;   in Loop: Header=BB8_1943 Depth=2
	v_bfe_u32 v14, v19, 16, 1
	s_delay_alu instid0(VALU_DEP_1)
	v_add3_u32 v14, v19, v14, 0x7fff
                                        ; implicit-def: $vgpr19
; %bb.3244:                             ;   in Loop: Header=BB8_1943 Depth=2
	s_and_not1_saveexec_b32 s14, s14
; %bb.3245:                             ;   in Loop: Header=BB8_1943 Depth=2
	v_and_b32_e32 v14, 0xffff, v19
	v_or_b32_e32 v21, 0x10000, v19
	s_delay_alu instid0(VALU_DEP_2) | instskip(NEXT) | instid1(VALU_DEP_2)
	v_cmp_eq_u32_e32 vcc_lo, 0, v14
	v_cndmask_b32_e32 v14, v21, v19, vcc_lo
; %bb.3246:                             ;   in Loop: Header=BB8_1943 Depth=2
	s_or_b32 exec_lo, exec_lo, s14
	v_and_b32_e32 v19, 0xffff0000, v29
	v_lshlrev_b32_e32 v21, 16, v15
	s_delay_alu instid0(VALU_DEP_1) | instskip(NEXT) | instid1(VALU_DEP_1)
	v_add_f32_e32 v21, v21, v19
	v_and_b32_e32 v19, 0x7f800000, v21
	s_delay_alu instid0(VALU_DEP_1) | instskip(SKIP_1) | instid1(SALU_CYCLE_1)
	v_cmp_ne_u32_e32 vcc_lo, 0x7f800000, v19
                                        ; implicit-def: $vgpr19
	s_and_saveexec_b32 s14, vcc_lo
	s_xor_b32 s14, exec_lo, s14
; %bb.3247:                             ;   in Loop: Header=BB8_1943 Depth=2
	v_bfe_u32 v19, v21, 16, 1
	s_delay_alu instid0(VALU_DEP_1)
	v_add3_u32 v19, v21, v19, 0x7fff
                                        ; implicit-def: $vgpr21
; %bb.3248:                             ;   in Loop: Header=BB8_1943 Depth=2
	s_and_not1_saveexec_b32 s14, s14
; %bb.3249:                             ;   in Loop: Header=BB8_1943 Depth=2
	v_and_b32_e32 v19, 0xffff, v21
	v_or_b32_e32 v28, 0x10000, v21
	s_delay_alu instid0(VALU_DEP_2) | instskip(NEXT) | instid1(VALU_DEP_2)
	v_cmp_eq_u32_e32 vcc_lo, 0, v19
	v_cndmask_b32_e32 v19, v28, v21, vcc_lo
; %bb.3250:                             ;   in Loop: Header=BB8_1943 Depth=2
	s_or_b32 exec_lo, exec_lo, s14
	v_and_b32_e32 v15, 0xffff0000, v15
	v_and_b32_e32 v21, 0xffff0000, v26
	s_delay_alu instid0(VALU_DEP_1) | instskip(NEXT) | instid1(VALU_DEP_1)
	v_add_f32_e32 v21, v15, v21
	v_and_b32_e32 v15, 0x7f800000, v21
	s_delay_alu instid0(VALU_DEP_1) | instskip(SKIP_1) | instid1(SALU_CYCLE_1)
	v_cmp_ne_u32_e32 vcc_lo, 0x7f800000, v15
                                        ; implicit-def: $vgpr15
	s_and_saveexec_b32 s14, vcc_lo
	s_xor_b32 s14, exec_lo, s14
; %bb.3251:                             ;   in Loop: Header=BB8_1943 Depth=2
	v_bfe_u32 v15, v21, 16, 1
	s_delay_alu instid0(VALU_DEP_1)
	v_add3_u32 v15, v21, v15, 0x7fff
                                        ; implicit-def: $vgpr21
; %bb.3252:                             ;   in Loop: Header=BB8_1943 Depth=2
	s_and_not1_saveexec_b32 s14, s14
; %bb.3253:                             ;   in Loop: Header=BB8_1943 Depth=2
	v_and_b32_e32 v15, 0xffff, v21
	v_or_b32_e32 v26, 0x10000, v21
	s_delay_alu instid0(VALU_DEP_2) | instskip(NEXT) | instid1(VALU_DEP_2)
	v_cmp_eq_u32_e32 vcc_lo, 0, v15
	v_cndmask_b32_e32 v15, v26, v21, vcc_lo
; %bb.3254:                             ;   in Loop: Header=BB8_1943 Depth=2
	s_or_b32 exec_lo, exec_lo, s14
	v_and_b32_e32 v21, 0xffff0000, v27
	v_lshlrev_b32_e32 v26, 16, v8
	s_delay_alu instid0(VALU_DEP_1) | instskip(NEXT) | instid1(VALU_DEP_1)
	v_add_f32_e32 v26, v26, v21
	v_and_b32_e32 v21, 0x7f800000, v26
	s_delay_alu instid0(VALU_DEP_1) | instskip(SKIP_1) | instid1(SALU_CYCLE_1)
	v_cmp_ne_u32_e32 vcc_lo, 0x7f800000, v21
                                        ; implicit-def: $vgpr21
	s_and_saveexec_b32 s14, vcc_lo
	s_xor_b32 s14, exec_lo, s14
; %bb.3255:                             ;   in Loop: Header=BB8_1943 Depth=2
	v_bfe_u32 v21, v26, 16, 1
	s_delay_alu instid0(VALU_DEP_1)
	v_add3_u32 v21, v26, v21, 0x7fff
                                        ; implicit-def: $vgpr26
; %bb.3256:                             ;   in Loop: Header=BB8_1943 Depth=2
	s_and_not1_saveexec_b32 s14, s14
; %bb.3257:                             ;   in Loop: Header=BB8_1943 Depth=2
	v_and_b32_e32 v21, 0xffff, v26
	v_or_b32_e32 v27, 0x10000, v26
	s_delay_alu instid0(VALU_DEP_2) | instskip(NEXT) | instid1(VALU_DEP_2)
	v_cmp_eq_u32_e32 vcc_lo, 0, v21
	v_cndmask_b32_e32 v21, v27, v26, vcc_lo
; %bb.3258:                             ;   in Loop: Header=BB8_1943 Depth=2
	s_or_b32 exec_lo, exec_lo, s14
	v_and_b32_e32 v8, 0xffff0000, v8
	v_and_b32_e32 v24, 0xffff0000, v24
	s_delay_alu instid0(VALU_DEP_1) | instskip(NEXT) | instid1(VALU_DEP_1)
	v_add_f32_e32 v24, v8, v24
	v_and_b32_e32 v8, 0x7f800000, v24
	s_delay_alu instid0(VALU_DEP_1) | instskip(SKIP_1) | instid1(SALU_CYCLE_1)
	v_cmp_ne_u32_e32 vcc_lo, 0x7f800000, v8
                                        ; implicit-def: $vgpr8
	s_and_saveexec_b32 s14, vcc_lo
	s_xor_b32 s14, exec_lo, s14
; %bb.3259:                             ;   in Loop: Header=BB8_1943 Depth=2
	v_bfe_u32 v8, v24, 16, 1
	s_delay_alu instid0(VALU_DEP_1)
	v_add3_u32 v8, v24, v8, 0x7fff
                                        ; implicit-def: $vgpr24
; %bb.3260:                             ;   in Loop: Header=BB8_1943 Depth=2
	s_and_not1_saveexec_b32 s14, s14
; %bb.3261:                             ;   in Loop: Header=BB8_1943 Depth=2
	v_and_b32_e32 v8, 0xffff, v24
	v_or_b32_e32 v26, 0x10000, v24
	s_delay_alu instid0(VALU_DEP_2) | instskip(NEXT) | instid1(VALU_DEP_2)
	v_cmp_eq_u32_e32 vcc_lo, 0, v8
	v_cndmask_b32_e32 v8, v26, v24, vcc_lo
; %bb.3262:                             ;   in Loop: Header=BB8_1943 Depth=2
	s_or_b32 exec_lo, exec_lo, s14
	v_and_b32_e32 v24, 0xffff0000, v25
	v_lshlrev_b32_e32 v25, 16, v9
	s_delay_alu instid0(VALU_DEP_1) | instskip(NEXT) | instid1(VALU_DEP_1)
	v_add_f32_e32 v25, v25, v24
	v_and_b32_e32 v24, 0x7f800000, v25
	s_delay_alu instid0(VALU_DEP_1) | instskip(SKIP_1) | instid1(SALU_CYCLE_1)
	v_cmp_ne_u32_e32 vcc_lo, 0x7f800000, v24
                                        ; implicit-def: $vgpr24
	s_and_saveexec_b32 s14, vcc_lo
	s_xor_b32 s14, exec_lo, s14
; %bb.3263:                             ;   in Loop: Header=BB8_1943 Depth=2
	v_bfe_u32 v24, v25, 16, 1
	s_delay_alu instid0(VALU_DEP_1)
	v_add3_u32 v24, v25, v24, 0x7fff
                                        ; implicit-def: $vgpr25
; %bb.3264:                             ;   in Loop: Header=BB8_1943 Depth=2
	s_and_not1_saveexec_b32 s14, s14
; %bb.3265:                             ;   in Loop: Header=BB8_1943 Depth=2
	v_and_b32_e32 v24, 0xffff, v25
	v_or_b32_e32 v26, 0x10000, v25
	s_delay_alu instid0(VALU_DEP_2) | instskip(NEXT) | instid1(VALU_DEP_2)
	v_cmp_eq_u32_e32 vcc_lo, 0, v24
	v_cndmask_b32_e32 v24, v26, v25, vcc_lo
; %bb.3266:                             ;   in Loop: Header=BB8_1943 Depth=2
	s_or_b32 exec_lo, exec_lo, s14
	v_and_b32_e32 v9, 0xffff0000, v9
	v_and_b32_e32 v22, 0xffff0000, v22
	s_delay_alu instid0(VALU_DEP_1) | instskip(NEXT) | instid1(VALU_DEP_1)
	v_add_f32_e32 v22, v9, v22
	v_and_b32_e32 v9, 0x7f800000, v22
	s_delay_alu instid0(VALU_DEP_1) | instskip(SKIP_1) | instid1(SALU_CYCLE_1)
	v_cmp_ne_u32_e32 vcc_lo, 0x7f800000, v9
                                        ; implicit-def: $vgpr9
	s_and_saveexec_b32 s14, vcc_lo
	s_xor_b32 s14, exec_lo, s14
; %bb.3267:                             ;   in Loop: Header=BB8_1943 Depth=2
	v_bfe_u32 v9, v22, 16, 1
	s_delay_alu instid0(VALU_DEP_1)
	v_add3_u32 v9, v22, v9, 0x7fff
                                        ; implicit-def: $vgpr22
; %bb.3268:                             ;   in Loop: Header=BB8_1943 Depth=2
	s_and_not1_saveexec_b32 s14, s14
; %bb.3269:                             ;   in Loop: Header=BB8_1943 Depth=2
	v_and_b32_e32 v9, 0xffff, v22
	v_or_b32_e32 v25, 0x10000, v22
	s_delay_alu instid0(VALU_DEP_2) | instskip(NEXT) | instid1(VALU_DEP_2)
	v_cmp_eq_u32_e32 vcc_lo, 0, v9
	v_cndmask_b32_e32 v9, v25, v22, vcc_lo
; %bb.3270:                             ;   in Loop: Header=BB8_1943 Depth=2
	s_or_b32 exec_lo, exec_lo, s14
	v_and_b32_e32 v22, 0xffff0000, v23
	v_lshlrev_b32_e32 v23, 16, v10
	s_delay_alu instid0(VALU_DEP_1) | instskip(NEXT) | instid1(VALU_DEP_1)
	v_add_f32_e32 v23, v23, v22
	v_and_b32_e32 v22, 0x7f800000, v23
	s_delay_alu instid0(VALU_DEP_1) | instskip(SKIP_1) | instid1(SALU_CYCLE_1)
	v_cmp_ne_u32_e32 vcc_lo, 0x7f800000, v22
                                        ; implicit-def: $vgpr22
	s_and_saveexec_b32 s14, vcc_lo
	s_xor_b32 s14, exec_lo, s14
; %bb.3271:                             ;   in Loop: Header=BB8_1943 Depth=2
	v_bfe_u32 v22, v23, 16, 1
	s_delay_alu instid0(VALU_DEP_1)
	v_add3_u32 v22, v23, v22, 0x7fff
                                        ; implicit-def: $vgpr23
; %bb.3272:                             ;   in Loop: Header=BB8_1943 Depth=2
	s_and_not1_saveexec_b32 s14, s14
; %bb.3273:                             ;   in Loop: Header=BB8_1943 Depth=2
	v_and_b32_e32 v22, 0xffff, v23
	v_or_b32_e32 v25, 0x10000, v23
	s_delay_alu instid0(VALU_DEP_2) | instskip(NEXT) | instid1(VALU_DEP_2)
	v_cmp_eq_u32_e32 vcc_lo, 0, v22
	v_cndmask_b32_e32 v22, v25, v23, vcc_lo
; %bb.3274:                             ;   in Loop: Header=BB8_1943 Depth=2
	s_or_b32 exec_lo, exec_lo, s14
	v_and_b32_e32 v10, 0xffff0000, v10
	v_and_b32_e32 v18, 0xffff0000, v18
	s_delay_alu instid0(VALU_DEP_1) | instskip(NEXT) | instid1(VALU_DEP_1)
	v_add_f32_e32 v18, v10, v18
	v_and_b32_e32 v10, 0x7f800000, v18
	s_delay_alu instid0(VALU_DEP_1) | instskip(SKIP_1) | instid1(SALU_CYCLE_1)
	v_cmp_ne_u32_e32 vcc_lo, 0x7f800000, v10
                                        ; implicit-def: $vgpr10
	s_and_saveexec_b32 s14, vcc_lo
	s_xor_b32 s14, exec_lo, s14
; %bb.3275:                             ;   in Loop: Header=BB8_1943 Depth=2
	v_bfe_u32 v10, v18, 16, 1
	s_delay_alu instid0(VALU_DEP_1)
	v_add3_u32 v10, v18, v10, 0x7fff
                                        ; implicit-def: $vgpr18
; %bb.3276:                             ;   in Loop: Header=BB8_1943 Depth=2
	s_and_not1_saveexec_b32 s14, s14
; %bb.3277:                             ;   in Loop: Header=BB8_1943 Depth=2
	v_and_b32_e32 v10, 0xffff, v18
	v_or_b32_e32 v23, 0x10000, v18
	s_delay_alu instid0(VALU_DEP_2) | instskip(NEXT) | instid1(VALU_DEP_2)
	v_cmp_eq_u32_e32 vcc_lo, 0, v10
	v_cndmask_b32_e32 v10, v23, v18, vcc_lo
; %bb.3278:                             ;   in Loop: Header=BB8_1943 Depth=2
	s_or_b32 exec_lo, exec_lo, s14
	v_and_b32_e32 v18, 0xffff0000, v20
	v_lshlrev_b32_e32 v20, 16, v11
	s_delay_alu instid0(VALU_DEP_1) | instskip(NEXT) | instid1(VALU_DEP_1)
	v_add_f32_e32 v20, v20, v18
	v_and_b32_e32 v18, 0x7f800000, v20
	s_delay_alu instid0(VALU_DEP_1) | instskip(SKIP_1) | instid1(SALU_CYCLE_1)
	v_cmp_ne_u32_e32 vcc_lo, 0x7f800000, v18
                                        ; implicit-def: $vgpr18
	s_and_saveexec_b32 s14, vcc_lo
	s_xor_b32 s14, exec_lo, s14
; %bb.3279:                             ;   in Loop: Header=BB8_1943 Depth=2
	v_bfe_u32 v18, v20, 16, 1
	s_delay_alu instid0(VALU_DEP_1)
	v_add3_u32 v18, v20, v18, 0x7fff
                                        ; implicit-def: $vgpr20
; %bb.3280:                             ;   in Loop: Header=BB8_1943 Depth=2
	s_and_not1_saveexec_b32 s14, s14
; %bb.3281:                             ;   in Loop: Header=BB8_1943 Depth=2
	v_and_b32_e32 v18, 0xffff, v20
	v_or_b32_e32 v23, 0x10000, v20
	s_delay_alu instid0(VALU_DEP_2) | instskip(NEXT) | instid1(VALU_DEP_2)
	v_cmp_eq_u32_e32 vcc_lo, 0, v18
	v_cndmask_b32_e32 v18, v23, v20, vcc_lo
; %bb.3282:                             ;   in Loop: Header=BB8_1943 Depth=2
	s_or_b32 exec_lo, exec_lo, s14
	v_and_b32_e32 v11, 0xffff0000, v11
	v_and_b32_e32 v17, 0xffff0000, v17
	s_delay_alu instid0(VALU_DEP_1) | instskip(NEXT) | instid1(VALU_DEP_1)
	v_add_f32_e32 v17, v11, v17
	v_and_b32_e32 v11, 0x7f800000, v17
	s_delay_alu instid0(VALU_DEP_1) | instskip(SKIP_1) | instid1(SALU_CYCLE_1)
	v_cmp_ne_u32_e32 vcc_lo, 0x7f800000, v11
                                        ; implicit-def: $vgpr11
	s_and_saveexec_b32 s14, vcc_lo
	s_xor_b32 s14, exec_lo, s14
; %bb.3283:                             ;   in Loop: Header=BB8_1943 Depth=2
	v_bfe_u32 v11, v17, 16, 1
	s_delay_alu instid0(VALU_DEP_1)
	v_add3_u32 v11, v17, v11, 0x7fff
                                        ; implicit-def: $vgpr17
; %bb.3284:                             ;   in Loop: Header=BB8_1943 Depth=2
	s_and_not1_saveexec_b32 s14, s14
; %bb.3285:                             ;   in Loop: Header=BB8_1943 Depth=2
	v_and_b32_e32 v11, 0xffff, v17
	v_or_b32_e32 v20, 0x10000, v17
	s_delay_alu instid0(VALU_DEP_2) | instskip(NEXT) | instid1(VALU_DEP_2)
	v_cmp_eq_u32_e32 vcc_lo, 0, v11
	v_cndmask_b32_e32 v11, v20, v17, vcc_lo
; %bb.3286:                             ;   in Loop: Header=BB8_1943 Depth=2
	s_or_b32 exec_lo, exec_lo, s14
	v_dual_lshrrev_b32 v5, 16, v5 :: v_dual_lshrrev_b32 v16, 16, v16
	v_dual_lshrrev_b32 v17, 16, v13 :: v_dual_lshrrev_b32 v18, 16, v18
	s_delay_alu instid0(VALU_DEP_2) | instskip(NEXT) | instid1(VALU_DEP_3)
	v_and_or_b32 v13, 0xffff0000, v12, v5
	v_and_or_b32 v12, 0xffff0000, v4, v16
	v_lshrrev_b32_e32 v4, 16, v19
	s_delay_alu instid0(VALU_DEP_4) | instskip(SKIP_2) | instid1(VALU_DEP_4)
	v_and_or_b32 v14, 0xffff0000, v14, v17
	v_dual_lshrrev_b32 v5, 16, v24 :: v_dual_lshrrev_b32 v16, 16, v21
	v_lshrrev_b32_e32 v17, 16, v22
	v_and_or_b32 v15, 0xffff0000, v15, v4
	v_and_or_b32 v11, 0xffff0000, v11, v18
	s_delay_alu instid0(VALU_DEP_4)
	v_and_or_b32 v9, 0xffff0000, v9, v5
	v_and_or_b32 v8, 0xffff0000, v8, v16
	;; [unrolled: 1-line block ×3, first 2 shown]
	s_clause 0x1
	global_store_b128 v[90:91], v[12:15], off th:TH_STORE_NT
	global_store_b128 v[90:91], v[8:11], off offset:512 th:TH_STORE_NT
.LBB8_3287:                             ;   in Loop: Header=BB8_1943 Depth=2
	s_wait_xcnt 0x0
	s_or_b32 exec_lo, exec_lo, s13
	v_lshlrev_b32_e32 v20, 10, v75
	s_mov_b32 s77, exec_lo
                                        ; implicit-def: $vgpr18
                                        ; implicit-def: $vgpr4
                                        ; implicit-def: $vgpr19
	s_delay_alu instid0(VALU_DEP_1)
	v_cmpx_ne_u32_e64 v73, v20
	s_cbranch_execz .LBB8_3498
; %bb.3288:                             ;   in Loop: Header=BB8_1943 Depth=2
	v_dual_lshlrev_b32 v4, 5, v105 :: v_dual_sub_nc_u32 v10, v73, v20
	s_mov_b32 s15, 0
	s_mov_b32 s78, exec_lo
	s_delay_alu instid0(VALU_DEP_1) | instskip(NEXT) | instid1(VALU_DEP_1)
	v_dual_sub_nc_u32 v4, v109, v4 :: v_dual_ashrrev_i32 v9, 31, v10
	v_ashrrev_i32_e32 v5, 31, v4
	s_delay_alu instid0(VALU_DEP_1) | instskip(NEXT) | instid1(VALU_DEP_1)
	v_lshrrev_b32_e32 v5, 27, v5
	v_add_nc_u32_e32 v5, v4, v5
	s_delay_alu instid0(VALU_DEP_1) | instskip(NEXT) | instid1(VALU_DEP_1)
	v_and_b32_e32 v8, 0xffffffe0, v5
	v_dual_sub_nc_u32 v21, v4, v8 :: v_dual_ashrrev_i32 v5, 5, v5
	s_delay_alu instid0(VALU_DEP_1) | instskip(NEXT) | instid1(VALU_DEP_1)
	v_lshlrev_b32_e32 v8, 4, v21
	v_lshl_add_u32 v11, v5, 9, v8
	s_delay_alu instid0(VALU_DEP_1) | instskip(NEXT) | instid1(VALU_DEP_1)
	v_dual_lshrrev_b32 v4, 23, v9 :: v_dual_add_nc_u32 v8, v11, v20
	v_dual_add_nc_u32 v4, v10, v4 :: v_dual_sub_nc_u32 v25, v10, v11
	s_delay_alu instid0(VALU_DEP_1) | instskip(NEXT) | instid1(VALU_DEP_1)
	v_and_b32_e32 v22, 0xfffffe00, v4
	v_dual_ashrrev_i32 v4, 9, v4 :: v_dual_sub_nc_u32 v23, v10, v22
	s_delay_alu instid0(VALU_DEP_1) | instskip(NEXT) | instid1(VALU_DEP_1)
	v_cmp_lt_i32_e64 s13, 15, v23
	v_add_co_ci_u32_e64 v4, null, 0, v4, s13
	s_delay_alu instid0(VALU_DEP_1) | instskip(NEXT) | instid1(VALU_DEP_1)
	v_dual_ashrrev_i32 v9, 31, v8 :: v_dual_sub_nc_u32 v24, v4, v5
	v_add_nc_u64_e32 v[12:13], v[8:9], v[88:89]
	v_cmpx_lt_i32_e32 15, v25
	s_cbranch_execz .LBB8_3429
; %bb.3289:                             ;   in Loop: Header=BB8_1943 Depth=2
	s_trap 2
	ds_load_b64 v[4:5], v0
	ds_load_b32 v10, v0
	v_add_nc_u64_e32 v[14:15], v[8:9], v[78:79]
	s_mov_b32 s89, 0
	s_mov_b32 s79, 0
                                        ; implicit-def: $sgpr88
	s_wait_dscnt 0x1
	v_add_nc_u64_e32 v[16:17], v[4:5], v[8:9]
	s_wait_dscnt 0x0
	v_lshlrev_b32_e32 v26, 16, v10
	s_branch .LBB8_3291
.LBB8_3290:                             ;   in Loop: Header=BB8_3291 Depth=3
	s_or_b32 exec_lo, exec_lo, s14
	s_delay_alu instid0(VALU_DEP_1) | instskip(SKIP_3) | instid1(SALU_CYCLE_1)
	v_cmp_gt_i32_e32 vcc_lo, 16, v25
	s_or_b32 s79, vcc_lo, s79
	s_and_not1_b32 s14, s88, exec_lo
	s_and_b32 s15, s89, exec_lo
	s_or_b32 s88, s14, s15
	s_and_not1_b32 exec_lo, exec_lo, s79
	s_cbranch_execz .LBB8_3428
.LBB8_3291:                             ;   Parent Loop BB8_47 Depth=1
                                        ;     Parent Loop BB8_1943 Depth=2
                                        ; =>    This Loop Header: Depth=3
                                        ;         Child Loop BB8_3292 Depth 4
                                        ;         Child Loop BB8_3361 Depth 4
	s_add_co_i32 s14, s33, 0xc0
	s_mov_b64 s[40:41], 0
	s_mov_b32 s90, s14
	s_mov_b32 s91, -1
.LBB8_3292:                             ;   Parent Loop BB8_47 Depth=1
                                        ;     Parent Loop BB8_1943 Depth=2
                                        ;       Parent Loop BB8_3291 Depth=3
                                        ; =>      This Inner Loop Header: Depth=4
	s_cmp_eq_u32 s40, 1
	s_cselect_b32 vcc_lo, -1, 0
	s_cmp_eq_u32 s40, 0
	v_dual_cndmask_b32 v5, v15, v17 :: v_dual_cndmask_b32 v4, v14, v16
	s_cselect_b32 s14, -1, 0
	s_and_b32 s15, exec_lo, s91
	s_mov_b64 s[40:41], 1
	s_mov_b32 s91, 0
	global_load_b128 v[8:11], v[4:5], off th:TH_LOAD_NT
	s_wait_xcnt 0x0
	v_add_nc_u64_e32 v[4:5], 0x200, v[4:5]
	s_delay_alu instid0(VALU_DEP_1)
	v_dual_cndmask_b32 v15, v15, v5, s14 :: v_dual_cndmask_b32 v14, v14, v4, s14
	v_dual_cndmask_b32 v17, v17, v5 :: v_dual_cndmask_b32 v16, v16, v4
	s_mov_b32 vcc_lo, s15
	s_wait_loadcnt 0x0
	scratch_store_b128 off, v[8:11], s90
	s_wait_xcnt 0x0
	s_mov_b32 s90, s60
	s_cbranch_vccnz .LBB8_3292
; %bb.3293:                             ;   in Loop: Header=BB8_3291 Depth=3
	s_and_saveexec_b32 s14, s89
	s_cbranch_execz .LBB8_3359
; %bb.3294:                             ;   in Loop: Header=BB8_3291 Depth=3
	scratch_load_b128 v[8:11], off, s33 offset:224
	s_wait_loadcnt 0x0
	v_lshlrev_b32_e32 v4, 16, v8
	s_delay_alu instid0(VALU_DEP_1) | instskip(NEXT) | instid1(VALU_DEP_1)
	v_mul_f32_e32 v4, v26, v4
	v_and_b32_e32 v5, 0x7f800000, v4
	s_delay_alu instid0(VALU_DEP_1) | instskip(SKIP_2) | instid1(SALU_CYCLE_1)
	v_cmp_ne_u32_e32 vcc_lo, 0x7f800000, v5
                                        ; implicit-def: $vgpr5
	s_wait_xcnt 0x0
	s_and_saveexec_b32 s15, vcc_lo
	s_xor_b32 s15, exec_lo, s15
; %bb.3295:                             ;   in Loop: Header=BB8_3291 Depth=3
	v_bfe_u32 v5, v4, 16, 1
	s_delay_alu instid0(VALU_DEP_1)
	v_add3_u32 v5, v4, v5, 0x7fff
                                        ; implicit-def: $vgpr4
; %bb.3296:                             ;   in Loop: Header=BB8_3291 Depth=3
	s_and_not1_saveexec_b32 s15, s15
; %bb.3297:                             ;   in Loop: Header=BB8_3291 Depth=3
	v_and_b32_e32 v5, 0xffff, v4
	v_or_b32_e32 v18, 0x10000, v4
	s_delay_alu instid0(VALU_DEP_2) | instskip(NEXT) | instid1(VALU_DEP_2)
	v_cmp_eq_u32_e32 vcc_lo, 0, v5
	v_cndmask_b32_e32 v5, v18, v4, vcc_lo
; %bb.3298:                             ;   in Loop: Header=BB8_3291 Depth=3
	s_or_b32 exec_lo, exec_lo, s15
	v_and_b32_e32 v4, 0xffff0000, v8
	s_mov_b32 s15, exec_lo
                                        ; implicit-def: $vgpr18
	s_delay_alu instid0(VALU_DEP_1) | instskip(NEXT) | instid1(VALU_DEP_1)
	v_mul_f32_e32 v4, v26, v4
	v_and_b32_e32 v8, 0x7f800000, v4
	s_delay_alu instid0(VALU_DEP_1)
	v_cmpx_ne_u32_e32 0x7f800000, v8
	s_xor_b32 s15, exec_lo, s15
; %bb.3299:                             ;   in Loop: Header=BB8_3291 Depth=3
	v_bfe_u32 v8, v4, 16, 1
	s_delay_alu instid0(VALU_DEP_1)
	v_add3_u32 v18, v4, v8, 0x7fff
                                        ; implicit-def: $vgpr4
; %bb.3300:                             ;   in Loop: Header=BB8_3291 Depth=3
	s_and_not1_saveexec_b32 s15, s15
; %bb.3301:                             ;   in Loop: Header=BB8_3291 Depth=3
	v_and_b32_e32 v8, 0xffff, v4
	v_or_b32_e32 v18, 0x10000, v4
	s_delay_alu instid0(VALU_DEP_2) | instskip(NEXT) | instid1(VALU_DEP_2)
	v_cmp_eq_u32_e32 vcc_lo, 0, v8
	v_cndmask_b32_e32 v18, v18, v4, vcc_lo
; %bb.3302:                             ;   in Loop: Header=BB8_3291 Depth=3
	s_or_b32 exec_lo, exec_lo, s15
	v_lshlrev_b32_e32 v4, 16, v9
	s_mov_b32 s15, exec_lo
                                        ; implicit-def: $vgpr33
	s_delay_alu instid0(VALU_DEP_1) | instskip(NEXT) | instid1(VALU_DEP_1)
	v_mul_f32_e32 v4, v26, v4
	v_and_b32_e32 v8, 0x7f800000, v4
	s_delay_alu instid0(VALU_DEP_1)
	v_cmpx_ne_u32_e32 0x7f800000, v8
	s_xor_b32 s15, exec_lo, s15
; %bb.3303:                             ;   in Loop: Header=BB8_3291 Depth=3
	v_bfe_u32 v8, v4, 16, 1
	s_delay_alu instid0(VALU_DEP_1)
	v_add3_u32 v33, v4, v8, 0x7fff
                                        ; implicit-def: $vgpr4
; %bb.3304:                             ;   in Loop: Header=BB8_3291 Depth=3
	s_and_not1_saveexec_b32 s15, s15
; %bb.3305:                             ;   in Loop: Header=BB8_3291 Depth=3
	v_and_b32_e32 v8, 0xffff, v4
	v_or_b32_e32 v19, 0x10000, v4
	s_delay_alu instid0(VALU_DEP_2) | instskip(NEXT) | instid1(VALU_DEP_2)
	v_cmp_eq_u32_e32 vcc_lo, 0, v8
	v_cndmask_b32_e32 v33, v19, v4, vcc_lo
; %bb.3306:                             ;   in Loop: Header=BB8_3291 Depth=3
	s_or_b32 exec_lo, exec_lo, s15
	v_and_b32_e32 v4, 0xffff0000, v9
	s_mov_b32 s15, exec_lo
                                        ; implicit-def: $vgpr29
	s_delay_alu instid0(VALU_DEP_1) | instskip(NEXT) | instid1(VALU_DEP_1)
	v_mul_f32_e32 v4, v26, v4
	v_and_b32_e32 v8, 0x7f800000, v4
	s_delay_alu instid0(VALU_DEP_1)
	v_cmpx_ne_u32_e32 0x7f800000, v8
	s_xor_b32 s15, exec_lo, s15
; %bb.3307:                             ;   in Loop: Header=BB8_3291 Depth=3
	v_bfe_u32 v8, v4, 16, 1
	s_delay_alu instid0(VALU_DEP_1)
	v_add3_u32 v29, v4, v8, 0x7fff
                                        ; implicit-def: $vgpr4
; %bb.3308:                             ;   in Loop: Header=BB8_3291 Depth=3
	s_and_not1_saveexec_b32 s15, s15
; %bb.3309:                             ;   in Loop: Header=BB8_3291 Depth=3
	v_and_b32_e32 v8, 0xffff, v4
	v_or_b32_e32 v9, 0x10000, v4
	s_delay_alu instid0(VALU_DEP_2) | instskip(NEXT) | instid1(VALU_DEP_2)
	v_cmp_eq_u32_e32 vcc_lo, 0, v8
	v_cndmask_b32_e32 v29, v9, v4, vcc_lo
; %bb.3310:                             ;   in Loop: Header=BB8_3291 Depth=3
	s_or_b32 exec_lo, exec_lo, s15
	v_lshlrev_b32_e32 v4, 16, v10
	s_mov_b32 s15, exec_lo
                                        ; implicit-def: $vgpr32
	s_delay_alu instid0(VALU_DEP_1) | instskip(NEXT) | instid1(VALU_DEP_1)
	v_mul_f32_e32 v4, v26, v4
	v_and_b32_e32 v8, 0x7f800000, v4
	s_delay_alu instid0(VALU_DEP_1)
	v_cmpx_ne_u32_e32 0x7f800000, v8
	s_xor_b32 s15, exec_lo, s15
; %bb.3311:                             ;   in Loop: Header=BB8_3291 Depth=3
	v_bfe_u32 v8, v4, 16, 1
	s_delay_alu instid0(VALU_DEP_1)
	v_add3_u32 v32, v4, v8, 0x7fff
                                        ; implicit-def: $vgpr4
; %bb.3312:                             ;   in Loop: Header=BB8_3291 Depth=3
	s_and_not1_saveexec_b32 s15, s15
; %bb.3313:                             ;   in Loop: Header=BB8_3291 Depth=3
	v_and_b32_e32 v8, 0xffff, v4
	v_or_b32_e32 v9, 0x10000, v4
	s_delay_alu instid0(VALU_DEP_2) | instskip(NEXT) | instid1(VALU_DEP_2)
	v_cmp_eq_u32_e32 vcc_lo, 0, v8
	v_cndmask_b32_e32 v32, v9, v4, vcc_lo
; %bb.3314:                             ;   in Loop: Header=BB8_3291 Depth=3
	s_or_b32 exec_lo, exec_lo, s15
	v_and_b32_e32 v4, 0xffff0000, v10
	s_mov_b32 s15, exec_lo
                                        ; implicit-def: $vgpr27
	s_delay_alu instid0(VALU_DEP_1) | instskip(NEXT) | instid1(VALU_DEP_1)
	v_mul_f32_e32 v4, v26, v4
	v_and_b32_e32 v8, 0x7f800000, v4
	s_delay_alu instid0(VALU_DEP_1)
	v_cmpx_ne_u32_e32 0x7f800000, v8
	s_xor_b32 s15, exec_lo, s15
; %bb.3315:                             ;   in Loop: Header=BB8_3291 Depth=3
	v_bfe_u32 v8, v4, 16, 1
	s_delay_alu instid0(VALU_DEP_1)
	v_add3_u32 v27, v4, v8, 0x7fff
                                        ; implicit-def: $vgpr4
; %bb.3316:                             ;   in Loop: Header=BB8_3291 Depth=3
	s_and_not1_saveexec_b32 s15, s15
; %bb.3317:                             ;   in Loop: Header=BB8_3291 Depth=3
	v_and_b32_e32 v8, 0xffff, v4
	v_or_b32_e32 v9, 0x10000, v4
	s_delay_alu instid0(VALU_DEP_2) | instskip(NEXT) | instid1(VALU_DEP_2)
	v_cmp_eq_u32_e32 vcc_lo, 0, v8
	v_cndmask_b32_e32 v27, v9, v4, vcc_lo
; %bb.3318:                             ;   in Loop: Header=BB8_3291 Depth=3
	s_or_b32 exec_lo, exec_lo, s15
	v_lshlrev_b32_e32 v4, 16, v11
	s_mov_b32 s15, exec_lo
                                        ; implicit-def: $vgpr28
	s_delay_alu instid0(VALU_DEP_1) | instskip(NEXT) | instid1(VALU_DEP_1)
	v_mul_f32_e32 v4, v26, v4
	v_and_b32_e32 v8, 0x7f800000, v4
	s_delay_alu instid0(VALU_DEP_1)
	v_cmpx_ne_u32_e32 0x7f800000, v8
	s_xor_b32 s15, exec_lo, s15
; %bb.3319:                             ;   in Loop: Header=BB8_3291 Depth=3
	v_bfe_u32 v8, v4, 16, 1
	s_delay_alu instid0(VALU_DEP_1)
	v_add3_u32 v28, v4, v8, 0x7fff
                                        ; implicit-def: $vgpr4
; %bb.3320:                             ;   in Loop: Header=BB8_3291 Depth=3
	s_and_not1_saveexec_b32 s15, s15
; %bb.3321:                             ;   in Loop: Header=BB8_3291 Depth=3
	v_and_b32_e32 v8, 0xffff, v4
	v_or_b32_e32 v9, 0x10000, v4
	s_delay_alu instid0(VALU_DEP_2) | instskip(NEXT) | instid1(VALU_DEP_2)
	v_cmp_eq_u32_e32 vcc_lo, 0, v8
	v_cndmask_b32_e32 v28, v9, v4, vcc_lo
; %bb.3322:                             ;   in Loop: Header=BB8_3291 Depth=3
	s_or_b32 exec_lo, exec_lo, s15
	v_and_b32_e32 v4, 0xffff0000, v11
	s_delay_alu instid0(VALU_DEP_1) | instskip(NEXT) | instid1(VALU_DEP_1)
	v_mul_f32_e32 v8, v26, v4
	v_and_b32_e32 v4, 0x7f800000, v8
	s_delay_alu instid0(VALU_DEP_1) | instskip(SKIP_1) | instid1(SALU_CYCLE_1)
	v_cmp_ne_u32_e32 vcc_lo, 0x7f800000, v4
                                        ; implicit-def: $vgpr4
	s_and_saveexec_b32 s15, vcc_lo
	s_xor_b32 s15, exec_lo, s15
; %bb.3323:                             ;   in Loop: Header=BB8_3291 Depth=3
	v_bfe_u32 v4, v8, 16, 1
	s_delay_alu instid0(VALU_DEP_1)
	v_add3_u32 v4, v8, v4, 0x7fff
                                        ; implicit-def: $vgpr8
; %bb.3324:                             ;   in Loop: Header=BB8_3291 Depth=3
	s_and_not1_saveexec_b32 s15, s15
; %bb.3325:                             ;   in Loop: Header=BB8_3291 Depth=3
	v_and_b32_e32 v4, 0xffff, v8
	v_or_b32_e32 v9, 0x10000, v8
	s_delay_alu instid0(VALU_DEP_2) | instskip(NEXT) | instid1(VALU_DEP_2)
	v_cmp_eq_u32_e32 vcc_lo, 0, v4
	v_cndmask_b32_e32 v4, v9, v8, vcc_lo
; %bb.3326:                             ;   in Loop: Header=BB8_3291 Depth=3
	s_or_b32 exec_lo, exec_lo, s15
	scratch_load_b128 v[8:11], off, s33 offset:240
	v_and_b32_e32 v5, 0xffff0000, v5
	s_wait_loadcnt 0x0
	v_lshlrev_b32_e32 v19, 16, v8
	s_delay_alu instid0(VALU_DEP_1) | instskip(NEXT) | instid1(VALU_DEP_1)
	v_add_f32_e32 v19, v5, v19
	v_and_b32_e32 v5, 0x7f800000, v19
	s_delay_alu instid0(VALU_DEP_1) | instskip(SKIP_2) | instid1(SALU_CYCLE_1)
	v_cmp_ne_u32_e32 vcc_lo, 0x7f800000, v5
                                        ; implicit-def: $vgpr5
	s_wait_xcnt 0x0
	s_and_saveexec_b32 s15, vcc_lo
	s_xor_b32 s15, exec_lo, s15
; %bb.3327:                             ;   in Loop: Header=BB8_3291 Depth=3
	v_bfe_u32 v5, v19, 16, 1
	s_delay_alu instid0(VALU_DEP_1)
	v_add3_u32 v5, v19, v5, 0x7fff
                                        ; implicit-def: $vgpr19
; %bb.3328:                             ;   in Loop: Header=BB8_3291 Depth=3
	s_and_not1_saveexec_b32 s15, s15
; %bb.3329:                             ;   in Loop: Header=BB8_3291 Depth=3
	v_and_b32_e32 v5, 0xffff, v19
	v_or_b32_e32 v34, 0x10000, v19
	s_delay_alu instid0(VALU_DEP_2) | instskip(NEXT) | instid1(VALU_DEP_2)
	v_cmp_eq_u32_e32 vcc_lo, 0, v5
	v_cndmask_b32_e32 v5, v34, v19, vcc_lo
; %bb.3330:                             ;   in Loop: Header=BB8_3291 Depth=3
	s_or_b32 exec_lo, exec_lo, s15
	v_and_b32_e32 v19, 0xffff0000, v8
	v_and_b32_e32 v18, 0xffff0000, v18
	s_delay_alu instid0(VALU_DEP_2) | instskip(NEXT) | instid1(VALU_DEP_1)
	v_mov_b32_e32 v8, v19
	v_pk_add_f32 v[18:19], v[8:9], v[18:19]
	s_delay_alu instid0(VALU_DEP_1) | instskip(NEXT) | instid1(VALU_DEP_1)
	v_and_b32_e32 v8, 0x7f800000, v18
	v_cmp_ne_u32_e32 vcc_lo, 0x7f800000, v8
                                        ; implicit-def: $vgpr8
	s_and_saveexec_b32 s15, vcc_lo
	s_delay_alu instid0(SALU_CYCLE_1)
	s_xor_b32 s15, exec_lo, s15
; %bb.3331:                             ;   in Loop: Header=BB8_3291 Depth=3
	v_bfe_u32 v8, v18, 16, 1
	s_delay_alu instid0(VALU_DEP_1)
	v_add3_u32 v8, v18, v8, 0x7fff
                                        ; implicit-def: $vgpr18_vgpr19
; %bb.3332:                             ;   in Loop: Header=BB8_3291 Depth=3
	s_and_not1_saveexec_b32 s15, s15
; %bb.3333:                             ;   in Loop: Header=BB8_3291 Depth=3
	v_and_b32_e32 v8, 0xffff, v18
	v_or_b32_e32 v19, 0x10000, v18
	s_delay_alu instid0(VALU_DEP_2) | instskip(NEXT) | instid1(VALU_DEP_2)
	v_cmp_eq_u32_e32 vcc_lo, 0, v8
	v_cndmask_b32_e32 v8, v19, v18, vcc_lo
; %bb.3334:                             ;   in Loop: Header=BB8_3291 Depth=3
	s_or_b32 exec_lo, exec_lo, s15
	v_and_b32_e32 v18, 0xffff0000, v33
	v_lshlrev_b32_e32 v19, 16, v9
	s_delay_alu instid0(VALU_DEP_1) | instskip(NEXT) | instid1(VALU_DEP_1)
	v_add_f32_e32 v19, v18, v19
	v_and_b32_e32 v18, 0x7f800000, v19
	s_delay_alu instid0(VALU_DEP_1) | instskip(SKIP_1) | instid1(SALU_CYCLE_1)
	v_cmp_ne_u32_e32 vcc_lo, 0x7f800000, v18
                                        ; implicit-def: $vgpr18
	s_and_saveexec_b32 s15, vcc_lo
	s_xor_b32 s15, exec_lo, s15
; %bb.3335:                             ;   in Loop: Header=BB8_3291 Depth=3
	v_bfe_u32 v18, v19, 16, 1
	s_delay_alu instid0(VALU_DEP_1)
	v_add3_u32 v18, v19, v18, 0x7fff
                                        ; implicit-def: $vgpr19
; %bb.3336:                             ;   in Loop: Header=BB8_3291 Depth=3
	s_and_not1_saveexec_b32 s15, s15
; %bb.3337:                             ;   in Loop: Header=BB8_3291 Depth=3
	v_and_b32_e32 v18, 0xffff, v19
	v_or_b32_e32 v33, 0x10000, v19
	s_delay_alu instid0(VALU_DEP_2) | instskip(NEXT) | instid1(VALU_DEP_2)
	v_cmp_eq_u32_e32 vcc_lo, 0, v18
	v_cndmask_b32_e32 v18, v33, v19, vcc_lo
; %bb.3338:                             ;   in Loop: Header=BB8_3291 Depth=3
	s_or_b32 exec_lo, exec_lo, s15
	v_and_b32_e32 v9, 0xffff0000, v9
	v_and_b32_e32 v19, 0xffff0000, v29
	s_delay_alu instid0(VALU_DEP_1) | instskip(NEXT) | instid1(VALU_DEP_1)
	v_add_f32_e32 v19, v19, v9
	v_and_b32_e32 v9, 0x7f800000, v19
	s_delay_alu instid0(VALU_DEP_1) | instskip(SKIP_1) | instid1(SALU_CYCLE_1)
	v_cmp_ne_u32_e32 vcc_lo, 0x7f800000, v9
                                        ; implicit-def: $vgpr9
	s_and_saveexec_b32 s15, vcc_lo
	s_xor_b32 s15, exec_lo, s15
; %bb.3339:                             ;   in Loop: Header=BB8_3291 Depth=3
	v_bfe_u32 v9, v19, 16, 1
	s_delay_alu instid0(VALU_DEP_1)
	v_add3_u32 v9, v19, v9, 0x7fff
                                        ; implicit-def: $vgpr19
; %bb.3340:                             ;   in Loop: Header=BB8_3291 Depth=3
	s_and_not1_saveexec_b32 s15, s15
; %bb.3341:                             ;   in Loop: Header=BB8_3291 Depth=3
	v_and_b32_e32 v9, 0xffff, v19
	v_or_b32_e32 v29, 0x10000, v19
	s_delay_alu instid0(VALU_DEP_2) | instskip(NEXT) | instid1(VALU_DEP_2)
	v_cmp_eq_u32_e32 vcc_lo, 0, v9
	v_cndmask_b32_e32 v9, v29, v19, vcc_lo
; %bb.3342:                             ;   in Loop: Header=BB8_3291 Depth=3
	s_or_b32 exec_lo, exec_lo, s15
	v_and_b32_e32 v19, 0xffff0000, v32
	v_lshlrev_b32_e32 v29, 16, v10
	s_delay_alu instid0(VALU_DEP_1) | instskip(NEXT) | instid1(VALU_DEP_1)
	v_add_f32_e32 v29, v19, v29
	v_and_b32_e32 v19, 0x7f800000, v29
	s_delay_alu instid0(VALU_DEP_1) | instskip(SKIP_1) | instid1(SALU_CYCLE_1)
	v_cmp_ne_u32_e32 vcc_lo, 0x7f800000, v19
                                        ; implicit-def: $vgpr19
	s_and_saveexec_b32 s15, vcc_lo
	s_xor_b32 s15, exec_lo, s15
; %bb.3343:                             ;   in Loop: Header=BB8_3291 Depth=3
	v_bfe_u32 v19, v29, 16, 1
	s_delay_alu instid0(VALU_DEP_1)
	v_add3_u32 v19, v29, v19, 0x7fff
                                        ; implicit-def: $vgpr29
; %bb.3344:                             ;   in Loop: Header=BB8_3291 Depth=3
	s_and_not1_saveexec_b32 s15, s15
; %bb.3345:                             ;   in Loop: Header=BB8_3291 Depth=3
	v_and_b32_e32 v19, 0xffff, v29
	v_or_b32_e32 v32, 0x10000, v29
	s_delay_alu instid0(VALU_DEP_2) | instskip(NEXT) | instid1(VALU_DEP_2)
	v_cmp_eq_u32_e32 vcc_lo, 0, v19
	v_cndmask_b32_e32 v19, v32, v29, vcc_lo
; %bb.3346:                             ;   in Loop: Header=BB8_3291 Depth=3
	s_or_b32 exec_lo, exec_lo, s15
	v_and_b32_e32 v10, 0xffff0000, v10
	v_and_b32_e32 v27, 0xffff0000, v27
	s_delay_alu instid0(VALU_DEP_1) | instskip(NEXT) | instid1(VALU_DEP_1)
	v_add_f32_e32 v27, v27, v10
	v_and_b32_e32 v10, 0x7f800000, v27
	s_delay_alu instid0(VALU_DEP_1) | instskip(SKIP_1) | instid1(SALU_CYCLE_1)
	v_cmp_ne_u32_e32 vcc_lo, 0x7f800000, v10
                                        ; implicit-def: $vgpr10
	s_and_saveexec_b32 s15, vcc_lo
	s_xor_b32 s15, exec_lo, s15
; %bb.3347:                             ;   in Loop: Header=BB8_3291 Depth=3
	v_bfe_u32 v10, v27, 16, 1
	s_delay_alu instid0(VALU_DEP_1)
	v_add3_u32 v10, v27, v10, 0x7fff
                                        ; implicit-def: $vgpr27
; %bb.3348:                             ;   in Loop: Header=BB8_3291 Depth=3
	s_and_not1_saveexec_b32 s15, s15
; %bb.3349:                             ;   in Loop: Header=BB8_3291 Depth=3
	v_and_b32_e32 v10, 0xffff, v27
	v_or_b32_e32 v29, 0x10000, v27
	s_delay_alu instid0(VALU_DEP_2) | instskip(NEXT) | instid1(VALU_DEP_2)
	v_cmp_eq_u32_e32 vcc_lo, 0, v10
	v_cndmask_b32_e32 v10, v29, v27, vcc_lo
; %bb.3350:                             ;   in Loop: Header=BB8_3291 Depth=3
	s_or_b32 exec_lo, exec_lo, s15
	v_and_b32_e32 v27, 0xffff0000, v28
	v_lshlrev_b32_e32 v28, 16, v11
	s_delay_alu instid0(VALU_DEP_1) | instskip(NEXT) | instid1(VALU_DEP_1)
	v_add_f32_e32 v28, v27, v28
	v_and_b32_e32 v27, 0x7f800000, v28
	s_delay_alu instid0(VALU_DEP_1) | instskip(SKIP_1) | instid1(SALU_CYCLE_1)
	v_cmp_ne_u32_e32 vcc_lo, 0x7f800000, v27
                                        ; implicit-def: $vgpr27
	s_and_saveexec_b32 s15, vcc_lo
	s_xor_b32 s15, exec_lo, s15
; %bb.3351:                             ;   in Loop: Header=BB8_3291 Depth=3
	v_bfe_u32 v27, v28, 16, 1
	s_delay_alu instid0(VALU_DEP_1)
	v_add3_u32 v27, v28, v27, 0x7fff
                                        ; implicit-def: $vgpr28
; %bb.3352:                             ;   in Loop: Header=BB8_3291 Depth=3
	s_and_not1_saveexec_b32 s15, s15
; %bb.3353:                             ;   in Loop: Header=BB8_3291 Depth=3
	v_and_b32_e32 v27, 0xffff, v28
	v_or_b32_e32 v29, 0x10000, v28
	s_delay_alu instid0(VALU_DEP_2) | instskip(NEXT) | instid1(VALU_DEP_2)
	v_cmp_eq_u32_e32 vcc_lo, 0, v27
	v_cndmask_b32_e32 v27, v29, v28, vcc_lo
; %bb.3354:                             ;   in Loop: Header=BB8_3291 Depth=3
	s_or_b32 exec_lo, exec_lo, s15
	v_and_b32_e32 v11, 0xffff0000, v11
	v_and_b32_e32 v4, 0xffff0000, v4
	s_delay_alu instid0(VALU_DEP_1) | instskip(NEXT) | instid1(VALU_DEP_1)
	v_add_f32_e32 v11, v4, v11
	v_and_b32_e32 v4, 0x7f800000, v11
	s_delay_alu instid0(VALU_DEP_1) | instskip(SKIP_1) | instid1(SALU_CYCLE_1)
	v_cmp_ne_u32_e32 vcc_lo, 0x7f800000, v4
                                        ; implicit-def: $vgpr4
	s_and_saveexec_b32 s15, vcc_lo
	s_xor_b32 s15, exec_lo, s15
; %bb.3355:                             ;   in Loop: Header=BB8_3291 Depth=3
	v_bfe_u32 v4, v11, 16, 1
	s_delay_alu instid0(VALU_DEP_1)
	v_add3_u32 v4, v11, v4, 0x7fff
                                        ; implicit-def: $vgpr11
; %bb.3356:                             ;   in Loop: Header=BB8_3291 Depth=3
	s_and_not1_saveexec_b32 s15, s15
; %bb.3357:                             ;   in Loop: Header=BB8_3291 Depth=3
	v_and_b32_e32 v4, 0xffff, v11
	v_or_b32_e32 v28, 0x10000, v11
	s_delay_alu instid0(VALU_DEP_2) | instskip(NEXT) | instid1(VALU_DEP_2)
	v_cmp_eq_u32_e32 vcc_lo, 0, v4
	v_cndmask_b32_e32 v4, v28, v11, vcc_lo
; %bb.3358:                             ;   in Loop: Header=BB8_3291 Depth=3
	s_or_b32 exec_lo, exec_lo, s15
	v_dual_lshrrev_b32 v11, 16, v18 :: v_dual_lshrrev_b32 v5, 16, v5
	v_lshrrev_b32_e32 v18, 16, v19
	v_lshrrev_b32_e32 v19, 16, v27
	s_delay_alu instid0(VALU_DEP_3) | instskip(NEXT) | instid1(VALU_DEP_4)
	v_and_or_b32 v9, 0xffff0000, v9, v11
	v_and_or_b32 v8, 0xffff0000, v8, v5
	s_delay_alu instid0(VALU_DEP_4) | instskip(NEXT) | instid1(VALU_DEP_4)
	v_and_or_b32 v10, 0xffff0000, v10, v18
	v_and_or_b32 v11, 0xffff0000, v4, v19
	global_store_b128 v[12:13], v[8:11], off th:TH_STORE_NT
	s_wait_xcnt 0x0
	v_add_nc_u64_e32 v[12:13], v[44:45], v[12:13]
	scratch_store_b128 off, v[8:11], s33 offset:224
.LBB8_3359:                             ;   in Loop: Header=BB8_3291 Depth=3
	s_wait_xcnt 0x0
	s_or_b32 exec_lo, exec_lo, s14
	v_sub_nc_u32_e32 v25, v25, v122
	v_add_nc_u64_e32 v[14:15], v[14:15], v[116:117]
	v_add_nc_u64_e32 v[16:17], v[16:17], v[116:117]
	s_delay_alu instid0(VALU_DEP_3)
	v_cmp_lt_i32_e64 s89, 15, v25
	s_and_saveexec_b32 s90, s89
	s_cbranch_execz .LBB8_3362
; %bb.3360:                             ;   in Loop: Header=BB8_3291 Depth=3
	s_add_co_i32 s14, s33, 0xe0
	s_mov_b64 s[40:41], 0
	s_mov_b32 s91, s14
	s_mov_b32 s92, -1
.LBB8_3361:                             ;   Parent Loop BB8_47 Depth=1
                                        ;     Parent Loop BB8_1943 Depth=2
                                        ;       Parent Loop BB8_3291 Depth=3
                                        ; =>      This Inner Loop Header: Depth=4
	s_cmp_eq_u32 s40, 1
	s_cselect_b32 vcc_lo, -1, 0
	s_cmp_eq_u32 s40, 0
	v_dual_cndmask_b32 v5, v15, v17 :: v_dual_cndmask_b32 v4, v14, v16
	s_cselect_b32 s14, -1, 0
	s_and_b32 s15, exec_lo, s92
	s_mov_b64 s[40:41], 1
	s_mov_b32 s92, 0
	global_load_b128 v[8:11], v[4:5], off th:TH_LOAD_NT
	s_wait_xcnt 0x0
	v_add_nc_u64_e32 v[4:5], 0x200, v[4:5]
	s_delay_alu instid0(VALU_DEP_1)
	v_dual_cndmask_b32 v15, v15, v5, s14 :: v_dual_cndmask_b32 v14, v14, v4, s14
	v_dual_cndmask_b32 v17, v17, v5 :: v_dual_cndmask_b32 v16, v16, v4
	s_mov_b32 vcc_lo, s15
	s_wait_loadcnt 0x0
	scratch_store_b128 off, v[8:11], s91
	s_wait_xcnt 0x0
	s_mov_b32 s91, s59
	s_cbranch_vccnz .LBB8_3361
.LBB8_3362:                             ;   in Loop: Header=BB8_3291 Depth=3
	s_or_b32 exec_lo, exec_lo, s90
	scratch_load_b128 v[8:11], off, s33 offset:192
	s_wait_loadcnt 0x0
	v_lshlrev_b32_e32 v4, 16, v8
	s_delay_alu instid0(VALU_DEP_1) | instskip(NEXT) | instid1(VALU_DEP_1)
	v_mul_f32_e32 v5, v26, v4
	v_and_b32_e32 v4, 0x7f800000, v5
	s_delay_alu instid0(VALU_DEP_1) | instskip(SKIP_2) | instid1(SALU_CYCLE_1)
	v_cmp_ne_u32_e32 vcc_lo, 0x7f800000, v4
                                        ; implicit-def: $vgpr4
	s_wait_xcnt 0x0
	s_and_saveexec_b32 s14, vcc_lo
	s_xor_b32 s14, exec_lo, s14
; %bb.3363:                             ;   in Loop: Header=BB8_3291 Depth=3
	v_bfe_u32 v4, v5, 16, 1
	s_delay_alu instid0(VALU_DEP_1)
	v_add3_u32 v4, v5, v4, 0x7fff
                                        ; implicit-def: $vgpr5
; %bb.3364:                             ;   in Loop: Header=BB8_3291 Depth=3
	s_and_not1_saveexec_b32 s14, s14
; %bb.3365:                             ;   in Loop: Header=BB8_3291 Depth=3
	v_and_b32_e32 v4, 0xffff, v5
	v_or_b32_e32 v18, 0x10000, v5
	s_delay_alu instid0(VALU_DEP_2) | instskip(NEXT) | instid1(VALU_DEP_2)
	v_cmp_eq_u32_e32 vcc_lo, 0, v4
	v_cndmask_b32_e32 v4, v18, v5, vcc_lo
; %bb.3366:                             ;   in Loop: Header=BB8_3291 Depth=3
	s_or_b32 exec_lo, exec_lo, s14
	v_and_b32_e32 v5, 0xffff0000, v8
	s_mov_b32 s14, exec_lo
                                        ; implicit-def: $vgpr18
	s_delay_alu instid0(VALU_DEP_1) | instskip(NEXT) | instid1(VALU_DEP_1)
	v_mul_f32_e32 v5, v26, v5
	v_and_b32_e32 v8, 0x7f800000, v5
	s_delay_alu instid0(VALU_DEP_1)
	v_cmpx_ne_u32_e32 0x7f800000, v8
	s_xor_b32 s14, exec_lo, s14
; %bb.3367:                             ;   in Loop: Header=BB8_3291 Depth=3
	v_bfe_u32 v8, v5, 16, 1
	s_delay_alu instid0(VALU_DEP_1)
	v_add3_u32 v18, v5, v8, 0x7fff
                                        ; implicit-def: $vgpr5
; %bb.3368:                             ;   in Loop: Header=BB8_3291 Depth=3
	s_and_not1_saveexec_b32 s14, s14
; %bb.3369:                             ;   in Loop: Header=BB8_3291 Depth=3
	v_and_b32_e32 v8, 0xffff, v5
	v_or_b32_e32 v18, 0x10000, v5
	s_delay_alu instid0(VALU_DEP_2) | instskip(NEXT) | instid1(VALU_DEP_2)
	v_cmp_eq_u32_e32 vcc_lo, 0, v8
	v_cndmask_b32_e32 v18, v18, v5, vcc_lo
; %bb.3370:                             ;   in Loop: Header=BB8_3291 Depth=3
	s_or_b32 exec_lo, exec_lo, s14
	v_lshlrev_b32_e32 v5, 16, v9
	s_mov_b32 s14, exec_lo
                                        ; implicit-def: $vgpr33
	s_delay_alu instid0(VALU_DEP_1) | instskip(NEXT) | instid1(VALU_DEP_1)
	v_mul_f32_e32 v5, v26, v5
	v_and_b32_e32 v8, 0x7f800000, v5
	s_delay_alu instid0(VALU_DEP_1)
	v_cmpx_ne_u32_e32 0x7f800000, v8
	s_xor_b32 s14, exec_lo, s14
; %bb.3371:                             ;   in Loop: Header=BB8_3291 Depth=3
	v_bfe_u32 v8, v5, 16, 1
	s_delay_alu instid0(VALU_DEP_1)
	v_add3_u32 v33, v5, v8, 0x7fff
                                        ; implicit-def: $vgpr5
; %bb.3372:                             ;   in Loop: Header=BB8_3291 Depth=3
	s_and_not1_saveexec_b32 s14, s14
; %bb.3373:                             ;   in Loop: Header=BB8_3291 Depth=3
	v_and_b32_e32 v8, 0xffff, v5
	v_or_b32_e32 v19, 0x10000, v5
	s_delay_alu instid0(VALU_DEP_2) | instskip(NEXT) | instid1(VALU_DEP_2)
	v_cmp_eq_u32_e32 vcc_lo, 0, v8
	v_cndmask_b32_e32 v33, v19, v5, vcc_lo
; %bb.3374:                             ;   in Loop: Header=BB8_3291 Depth=3
	s_or_b32 exec_lo, exec_lo, s14
	v_and_b32_e32 v5, 0xffff0000, v9
	s_mov_b32 s14, exec_lo
                                        ; implicit-def: $vgpr29
	s_delay_alu instid0(VALU_DEP_1) | instskip(NEXT) | instid1(VALU_DEP_1)
	v_mul_f32_e32 v5, v26, v5
	v_and_b32_e32 v8, 0x7f800000, v5
	s_delay_alu instid0(VALU_DEP_1)
	v_cmpx_ne_u32_e32 0x7f800000, v8
	s_xor_b32 s14, exec_lo, s14
; %bb.3375:                             ;   in Loop: Header=BB8_3291 Depth=3
	v_bfe_u32 v8, v5, 16, 1
	s_delay_alu instid0(VALU_DEP_1)
	v_add3_u32 v29, v5, v8, 0x7fff
                                        ; implicit-def: $vgpr5
; %bb.3376:                             ;   in Loop: Header=BB8_3291 Depth=3
	s_and_not1_saveexec_b32 s14, s14
; %bb.3377:                             ;   in Loop: Header=BB8_3291 Depth=3
	v_and_b32_e32 v8, 0xffff, v5
	v_or_b32_e32 v9, 0x10000, v5
	s_delay_alu instid0(VALU_DEP_2) | instskip(NEXT) | instid1(VALU_DEP_2)
	v_cmp_eq_u32_e32 vcc_lo, 0, v8
	v_cndmask_b32_e32 v29, v9, v5, vcc_lo
; %bb.3378:                             ;   in Loop: Header=BB8_3291 Depth=3
	s_or_b32 exec_lo, exec_lo, s14
	v_lshlrev_b32_e32 v5, 16, v10
	s_mov_b32 s14, exec_lo
                                        ; implicit-def: $vgpr32
	s_delay_alu instid0(VALU_DEP_1) | instskip(NEXT) | instid1(VALU_DEP_1)
	v_mul_f32_e32 v5, v26, v5
	v_and_b32_e32 v8, 0x7f800000, v5
	s_delay_alu instid0(VALU_DEP_1)
	v_cmpx_ne_u32_e32 0x7f800000, v8
	s_xor_b32 s14, exec_lo, s14
; %bb.3379:                             ;   in Loop: Header=BB8_3291 Depth=3
	v_bfe_u32 v8, v5, 16, 1
	s_delay_alu instid0(VALU_DEP_1)
	v_add3_u32 v32, v5, v8, 0x7fff
                                        ; implicit-def: $vgpr5
; %bb.3380:                             ;   in Loop: Header=BB8_3291 Depth=3
	s_and_not1_saveexec_b32 s14, s14
; %bb.3381:                             ;   in Loop: Header=BB8_3291 Depth=3
	v_and_b32_e32 v8, 0xffff, v5
	v_or_b32_e32 v9, 0x10000, v5
	s_delay_alu instid0(VALU_DEP_2) | instskip(NEXT) | instid1(VALU_DEP_2)
	v_cmp_eq_u32_e32 vcc_lo, 0, v8
	v_cndmask_b32_e32 v32, v9, v5, vcc_lo
; %bb.3382:                             ;   in Loop: Header=BB8_3291 Depth=3
	s_or_b32 exec_lo, exec_lo, s14
	v_and_b32_e32 v5, 0xffff0000, v10
	s_mov_b32 s14, exec_lo
                                        ; implicit-def: $vgpr27
	s_delay_alu instid0(VALU_DEP_1) | instskip(NEXT) | instid1(VALU_DEP_1)
	v_mul_f32_e32 v5, v26, v5
	v_and_b32_e32 v8, 0x7f800000, v5
	s_delay_alu instid0(VALU_DEP_1)
	v_cmpx_ne_u32_e32 0x7f800000, v8
	s_xor_b32 s14, exec_lo, s14
; %bb.3383:                             ;   in Loop: Header=BB8_3291 Depth=3
	v_bfe_u32 v8, v5, 16, 1
	s_delay_alu instid0(VALU_DEP_1)
	v_add3_u32 v27, v5, v8, 0x7fff
                                        ; implicit-def: $vgpr5
; %bb.3384:                             ;   in Loop: Header=BB8_3291 Depth=3
	s_and_not1_saveexec_b32 s14, s14
; %bb.3385:                             ;   in Loop: Header=BB8_3291 Depth=3
	v_and_b32_e32 v8, 0xffff, v5
	v_or_b32_e32 v9, 0x10000, v5
	s_delay_alu instid0(VALU_DEP_2) | instskip(NEXT) | instid1(VALU_DEP_2)
	v_cmp_eq_u32_e32 vcc_lo, 0, v8
	v_cndmask_b32_e32 v27, v9, v5, vcc_lo
; %bb.3386:                             ;   in Loop: Header=BB8_3291 Depth=3
	s_or_b32 exec_lo, exec_lo, s14
	v_lshlrev_b32_e32 v5, 16, v11
	s_mov_b32 s14, exec_lo
                                        ; implicit-def: $vgpr28
	s_delay_alu instid0(VALU_DEP_1) | instskip(NEXT) | instid1(VALU_DEP_1)
	v_mul_f32_e32 v5, v26, v5
	v_and_b32_e32 v8, 0x7f800000, v5
	s_delay_alu instid0(VALU_DEP_1)
	v_cmpx_ne_u32_e32 0x7f800000, v8
	s_xor_b32 s14, exec_lo, s14
; %bb.3387:                             ;   in Loop: Header=BB8_3291 Depth=3
	v_bfe_u32 v8, v5, 16, 1
	s_delay_alu instid0(VALU_DEP_1)
	v_add3_u32 v28, v5, v8, 0x7fff
                                        ; implicit-def: $vgpr5
; %bb.3388:                             ;   in Loop: Header=BB8_3291 Depth=3
	s_and_not1_saveexec_b32 s14, s14
; %bb.3389:                             ;   in Loop: Header=BB8_3291 Depth=3
	v_and_b32_e32 v8, 0xffff, v5
	v_or_b32_e32 v9, 0x10000, v5
	s_delay_alu instid0(VALU_DEP_2) | instskip(NEXT) | instid1(VALU_DEP_2)
	v_cmp_eq_u32_e32 vcc_lo, 0, v8
	v_cndmask_b32_e32 v28, v9, v5, vcc_lo
; %bb.3390:                             ;   in Loop: Header=BB8_3291 Depth=3
	s_or_b32 exec_lo, exec_lo, s14
	v_and_b32_e32 v5, 0xffff0000, v11
	s_delay_alu instid0(VALU_DEP_1) | instskip(NEXT) | instid1(VALU_DEP_1)
	v_mul_f32_e32 v8, v26, v5
	v_and_b32_e32 v5, 0x7f800000, v8
	s_delay_alu instid0(VALU_DEP_1) | instskip(SKIP_1) | instid1(SALU_CYCLE_1)
	v_cmp_ne_u32_e32 vcc_lo, 0x7f800000, v5
                                        ; implicit-def: $vgpr5
	s_and_saveexec_b32 s14, vcc_lo
	s_xor_b32 s14, exec_lo, s14
; %bb.3391:                             ;   in Loop: Header=BB8_3291 Depth=3
	v_bfe_u32 v5, v8, 16, 1
	s_delay_alu instid0(VALU_DEP_1)
	v_add3_u32 v5, v8, v5, 0x7fff
                                        ; implicit-def: $vgpr8
; %bb.3392:                             ;   in Loop: Header=BB8_3291 Depth=3
	s_and_not1_saveexec_b32 s14, s14
; %bb.3393:                             ;   in Loop: Header=BB8_3291 Depth=3
	v_and_b32_e32 v5, 0xffff, v8
	v_or_b32_e32 v9, 0x10000, v8
	s_delay_alu instid0(VALU_DEP_2) | instskip(NEXT) | instid1(VALU_DEP_2)
	v_cmp_eq_u32_e32 vcc_lo, 0, v5
	v_cndmask_b32_e32 v5, v9, v8, vcc_lo
; %bb.3394:                             ;   in Loop: Header=BB8_3291 Depth=3
	s_or_b32 exec_lo, exec_lo, s14
	scratch_load_b128 v[8:11], off, s33 offset:208
	v_and_b32_e32 v4, 0xffff0000, v4
	s_wait_loadcnt 0x0
	v_lshlrev_b32_e32 v19, 16, v8
	s_delay_alu instid0(VALU_DEP_1) | instskip(NEXT) | instid1(VALU_DEP_1)
	v_add_f32_e32 v19, v4, v19
	v_and_b32_e32 v4, 0x7f800000, v19
	s_delay_alu instid0(VALU_DEP_1) | instskip(SKIP_2) | instid1(SALU_CYCLE_1)
	v_cmp_ne_u32_e32 vcc_lo, 0x7f800000, v4
                                        ; implicit-def: $vgpr4
	s_wait_xcnt 0x0
	s_and_saveexec_b32 s14, vcc_lo
	s_xor_b32 s14, exec_lo, s14
; %bb.3395:                             ;   in Loop: Header=BB8_3291 Depth=3
	v_bfe_u32 v4, v19, 16, 1
	s_delay_alu instid0(VALU_DEP_1)
	v_add3_u32 v4, v19, v4, 0x7fff
                                        ; implicit-def: $vgpr19
; %bb.3396:                             ;   in Loop: Header=BB8_3291 Depth=3
	s_and_not1_saveexec_b32 s14, s14
; %bb.3397:                             ;   in Loop: Header=BB8_3291 Depth=3
	v_and_b32_e32 v4, 0xffff, v19
	v_or_b32_e32 v34, 0x10000, v19
	s_delay_alu instid0(VALU_DEP_2) | instskip(NEXT) | instid1(VALU_DEP_2)
	v_cmp_eq_u32_e32 vcc_lo, 0, v4
	v_cndmask_b32_e32 v4, v34, v19, vcc_lo
; %bb.3398:                             ;   in Loop: Header=BB8_3291 Depth=3
	s_or_b32 exec_lo, exec_lo, s14
	v_and_b32_e32 v19, 0xffff0000, v8
	v_and_b32_e32 v18, 0xffff0000, v18
	s_delay_alu instid0(VALU_DEP_2) | instskip(NEXT) | instid1(VALU_DEP_1)
	v_mov_b32_e32 v8, v19
	v_pk_add_f32 v[18:19], v[8:9], v[18:19]
	s_delay_alu instid0(VALU_DEP_1) | instskip(NEXT) | instid1(VALU_DEP_1)
	v_and_b32_e32 v8, 0x7f800000, v18
	v_cmp_ne_u32_e32 vcc_lo, 0x7f800000, v8
                                        ; implicit-def: $vgpr8
	s_and_saveexec_b32 s14, vcc_lo
	s_delay_alu instid0(SALU_CYCLE_1)
	s_xor_b32 s14, exec_lo, s14
; %bb.3399:                             ;   in Loop: Header=BB8_3291 Depth=3
	v_bfe_u32 v8, v18, 16, 1
	s_delay_alu instid0(VALU_DEP_1)
	v_add3_u32 v8, v18, v8, 0x7fff
                                        ; implicit-def: $vgpr18_vgpr19
; %bb.3400:                             ;   in Loop: Header=BB8_3291 Depth=3
	s_and_not1_saveexec_b32 s14, s14
; %bb.3401:                             ;   in Loop: Header=BB8_3291 Depth=3
	v_and_b32_e32 v8, 0xffff, v18
	v_or_b32_e32 v19, 0x10000, v18
	s_delay_alu instid0(VALU_DEP_2) | instskip(NEXT) | instid1(VALU_DEP_2)
	v_cmp_eq_u32_e32 vcc_lo, 0, v8
	v_cndmask_b32_e32 v8, v19, v18, vcc_lo
; %bb.3402:                             ;   in Loop: Header=BB8_3291 Depth=3
	s_or_b32 exec_lo, exec_lo, s14
	v_and_b32_e32 v18, 0xffff0000, v33
	v_lshlrev_b32_e32 v19, 16, v9
	s_delay_alu instid0(VALU_DEP_1) | instskip(NEXT) | instid1(VALU_DEP_1)
	v_add_f32_e32 v19, v18, v19
	v_and_b32_e32 v18, 0x7f800000, v19
	s_delay_alu instid0(VALU_DEP_1) | instskip(SKIP_1) | instid1(SALU_CYCLE_1)
	v_cmp_ne_u32_e32 vcc_lo, 0x7f800000, v18
                                        ; implicit-def: $vgpr18
	s_and_saveexec_b32 s14, vcc_lo
	s_xor_b32 s14, exec_lo, s14
; %bb.3403:                             ;   in Loop: Header=BB8_3291 Depth=3
	v_bfe_u32 v18, v19, 16, 1
	s_delay_alu instid0(VALU_DEP_1)
	v_add3_u32 v18, v19, v18, 0x7fff
                                        ; implicit-def: $vgpr19
; %bb.3404:                             ;   in Loop: Header=BB8_3291 Depth=3
	s_and_not1_saveexec_b32 s14, s14
; %bb.3405:                             ;   in Loop: Header=BB8_3291 Depth=3
	v_and_b32_e32 v18, 0xffff, v19
	v_or_b32_e32 v33, 0x10000, v19
	s_delay_alu instid0(VALU_DEP_2) | instskip(NEXT) | instid1(VALU_DEP_2)
	v_cmp_eq_u32_e32 vcc_lo, 0, v18
	v_cndmask_b32_e32 v18, v33, v19, vcc_lo
; %bb.3406:                             ;   in Loop: Header=BB8_3291 Depth=3
	s_or_b32 exec_lo, exec_lo, s14
	v_and_b32_e32 v9, 0xffff0000, v9
	v_and_b32_e32 v19, 0xffff0000, v29
	s_delay_alu instid0(VALU_DEP_1) | instskip(NEXT) | instid1(VALU_DEP_1)
	v_add_f32_e32 v19, v19, v9
	v_and_b32_e32 v9, 0x7f800000, v19
	s_delay_alu instid0(VALU_DEP_1) | instskip(SKIP_1) | instid1(SALU_CYCLE_1)
	v_cmp_ne_u32_e32 vcc_lo, 0x7f800000, v9
                                        ; implicit-def: $vgpr9
	s_and_saveexec_b32 s14, vcc_lo
	s_xor_b32 s14, exec_lo, s14
; %bb.3407:                             ;   in Loop: Header=BB8_3291 Depth=3
	v_bfe_u32 v9, v19, 16, 1
	s_delay_alu instid0(VALU_DEP_1)
	v_add3_u32 v9, v19, v9, 0x7fff
                                        ; implicit-def: $vgpr19
; %bb.3408:                             ;   in Loop: Header=BB8_3291 Depth=3
	s_and_not1_saveexec_b32 s14, s14
; %bb.3409:                             ;   in Loop: Header=BB8_3291 Depth=3
	v_and_b32_e32 v9, 0xffff, v19
	v_or_b32_e32 v29, 0x10000, v19
	s_delay_alu instid0(VALU_DEP_2) | instskip(NEXT) | instid1(VALU_DEP_2)
	v_cmp_eq_u32_e32 vcc_lo, 0, v9
	v_cndmask_b32_e32 v9, v29, v19, vcc_lo
; %bb.3410:                             ;   in Loop: Header=BB8_3291 Depth=3
	s_or_b32 exec_lo, exec_lo, s14
	v_and_b32_e32 v19, 0xffff0000, v32
	v_lshlrev_b32_e32 v29, 16, v10
	s_delay_alu instid0(VALU_DEP_1) | instskip(NEXT) | instid1(VALU_DEP_1)
	v_add_f32_e32 v29, v19, v29
	v_and_b32_e32 v19, 0x7f800000, v29
	s_delay_alu instid0(VALU_DEP_1) | instskip(SKIP_1) | instid1(SALU_CYCLE_1)
	v_cmp_ne_u32_e32 vcc_lo, 0x7f800000, v19
                                        ; implicit-def: $vgpr19
	s_and_saveexec_b32 s14, vcc_lo
	s_xor_b32 s14, exec_lo, s14
; %bb.3411:                             ;   in Loop: Header=BB8_3291 Depth=3
	v_bfe_u32 v19, v29, 16, 1
	s_delay_alu instid0(VALU_DEP_1)
	v_add3_u32 v19, v29, v19, 0x7fff
                                        ; implicit-def: $vgpr29
; %bb.3412:                             ;   in Loop: Header=BB8_3291 Depth=3
	s_and_not1_saveexec_b32 s14, s14
; %bb.3413:                             ;   in Loop: Header=BB8_3291 Depth=3
	v_and_b32_e32 v19, 0xffff, v29
	v_or_b32_e32 v32, 0x10000, v29
	s_delay_alu instid0(VALU_DEP_2) | instskip(NEXT) | instid1(VALU_DEP_2)
	v_cmp_eq_u32_e32 vcc_lo, 0, v19
	v_cndmask_b32_e32 v19, v32, v29, vcc_lo
; %bb.3414:                             ;   in Loop: Header=BB8_3291 Depth=3
	s_or_b32 exec_lo, exec_lo, s14
	v_and_b32_e32 v10, 0xffff0000, v10
	v_and_b32_e32 v27, 0xffff0000, v27
	s_delay_alu instid0(VALU_DEP_1) | instskip(NEXT) | instid1(VALU_DEP_1)
	v_add_f32_e32 v27, v27, v10
	v_and_b32_e32 v10, 0x7f800000, v27
	s_delay_alu instid0(VALU_DEP_1) | instskip(SKIP_1) | instid1(SALU_CYCLE_1)
	v_cmp_ne_u32_e32 vcc_lo, 0x7f800000, v10
                                        ; implicit-def: $vgpr10
	s_and_saveexec_b32 s14, vcc_lo
	s_xor_b32 s14, exec_lo, s14
; %bb.3415:                             ;   in Loop: Header=BB8_3291 Depth=3
	v_bfe_u32 v10, v27, 16, 1
	s_delay_alu instid0(VALU_DEP_1)
	v_add3_u32 v10, v27, v10, 0x7fff
                                        ; implicit-def: $vgpr27
; %bb.3416:                             ;   in Loop: Header=BB8_3291 Depth=3
	s_and_not1_saveexec_b32 s14, s14
; %bb.3417:                             ;   in Loop: Header=BB8_3291 Depth=3
	v_and_b32_e32 v10, 0xffff, v27
	v_or_b32_e32 v29, 0x10000, v27
	s_delay_alu instid0(VALU_DEP_2) | instskip(NEXT) | instid1(VALU_DEP_2)
	v_cmp_eq_u32_e32 vcc_lo, 0, v10
	v_cndmask_b32_e32 v10, v29, v27, vcc_lo
; %bb.3418:                             ;   in Loop: Header=BB8_3291 Depth=3
	s_or_b32 exec_lo, exec_lo, s14
	v_and_b32_e32 v27, 0xffff0000, v28
	v_lshlrev_b32_e32 v28, 16, v11
	s_delay_alu instid0(VALU_DEP_1) | instskip(NEXT) | instid1(VALU_DEP_1)
	v_add_f32_e32 v28, v27, v28
	v_and_b32_e32 v27, 0x7f800000, v28
	s_delay_alu instid0(VALU_DEP_1) | instskip(SKIP_1) | instid1(SALU_CYCLE_1)
	v_cmp_ne_u32_e32 vcc_lo, 0x7f800000, v27
                                        ; implicit-def: $vgpr27
	s_and_saveexec_b32 s14, vcc_lo
	s_xor_b32 s14, exec_lo, s14
; %bb.3419:                             ;   in Loop: Header=BB8_3291 Depth=3
	v_bfe_u32 v27, v28, 16, 1
	s_delay_alu instid0(VALU_DEP_1)
	v_add3_u32 v27, v28, v27, 0x7fff
                                        ; implicit-def: $vgpr28
; %bb.3420:                             ;   in Loop: Header=BB8_3291 Depth=3
	s_and_not1_saveexec_b32 s14, s14
; %bb.3421:                             ;   in Loop: Header=BB8_3291 Depth=3
	v_and_b32_e32 v27, 0xffff, v28
	v_or_b32_e32 v29, 0x10000, v28
	s_delay_alu instid0(VALU_DEP_2) | instskip(NEXT) | instid1(VALU_DEP_2)
	v_cmp_eq_u32_e32 vcc_lo, 0, v27
	v_cndmask_b32_e32 v27, v29, v28, vcc_lo
; %bb.3422:                             ;   in Loop: Header=BB8_3291 Depth=3
	s_or_b32 exec_lo, exec_lo, s14
	v_and_b32_e32 v11, 0xffff0000, v11
	v_and_b32_e32 v5, 0xffff0000, v5
	s_delay_alu instid0(VALU_DEP_1) | instskip(NEXT) | instid1(VALU_DEP_1)
	v_add_f32_e32 v11, v5, v11
	v_and_b32_e32 v5, 0x7f800000, v11
	s_delay_alu instid0(VALU_DEP_1) | instskip(SKIP_1) | instid1(SALU_CYCLE_1)
	v_cmp_ne_u32_e32 vcc_lo, 0x7f800000, v5
                                        ; implicit-def: $vgpr5
	s_and_saveexec_b32 s14, vcc_lo
	s_xor_b32 s14, exec_lo, s14
; %bb.3423:                             ;   in Loop: Header=BB8_3291 Depth=3
	v_bfe_u32 v5, v11, 16, 1
	s_delay_alu instid0(VALU_DEP_1)
	v_add3_u32 v5, v11, v5, 0x7fff
                                        ; implicit-def: $vgpr11
; %bb.3424:                             ;   in Loop: Header=BB8_3291 Depth=3
	s_and_not1_saveexec_b32 s14, s14
; %bb.3425:                             ;   in Loop: Header=BB8_3291 Depth=3
	v_and_b32_e32 v5, 0xffff, v11
	v_or_b32_e32 v28, 0x10000, v11
	s_delay_alu instid0(VALU_DEP_2) | instskip(NEXT) | instid1(VALU_DEP_2)
	v_cmp_eq_u32_e32 vcc_lo, 0, v5
	v_cndmask_b32_e32 v5, v28, v11, vcc_lo
; %bb.3426:                             ;   in Loop: Header=BB8_3291 Depth=3
	s_or_b32 exec_lo, exec_lo, s14
	v_dual_lshrrev_b32 v11, 16, v18 :: v_dual_lshrrev_b32 v4, 16, v4
	v_dual_lshrrev_b32 v18, 16, v19 :: v_dual_sub_nc_u32 v24, v24, v84
	v_lshrrev_b32_e32 v19, 16, v27
	s_delay_alu instid0(VALU_DEP_3) | instskip(NEXT) | instid1(VALU_DEP_4)
	v_and_or_b32 v9, 0xffff0000, v9, v11
	v_and_or_b32 v8, 0xffff0000, v8, v4
	s_delay_alu instid0(VALU_DEP_4) | instskip(NEXT) | instid1(VALU_DEP_4)
	v_and_or_b32 v10, 0xffff0000, v10, v18
	v_and_or_b32 v11, 0xffff0000, v5, v19
	global_store_b128 v[12:13], v[8:11], off th:TH_STORE_NT
	s_wait_xcnt 0x0
	v_add_nc_u64_e32 v[12:13], 0x200, v[12:13]
	scratch_store_b128 off, v[8:11], s33 offset:192
	s_wait_xcnt 0x0
	s_and_saveexec_b32 s14, s89
	s_cbranch_execz .LBB8_3290
; %bb.3427:                             ;   in Loop: Header=BB8_3291 Depth=3
	v_add_nc_u64_e32 v[14:15], v[14:15], v[116:117]
	v_add_nc_u64_e32 v[16:17], v[16:17], v[116:117]
	;; [unrolled: 1-line block ×3, first 2 shown]
	v_dual_sub_nc_u32 v25, v25, v122 :: v_dual_sub_nc_u32 v24, v24, v84
	s_branch .LBB8_3290
.LBB8_3428:                             ;   in Loop: Header=BB8_1943 Depth=2
	s_or_b32 exec_lo, exec_lo, s79
	s_delay_alu instid0(SALU_CYCLE_1)
	s_and_b32 s15, s88, exec_lo
.LBB8_3429:                             ;   in Loop: Header=BB8_1943 Depth=2
	s_or_b32 exec_lo, exec_lo, s78
	s_and_saveexec_b32 s14, s15
	s_cbranch_execz .LBB8_3495
; %bb.3430:                             ;   in Loop: Header=BB8_1943 Depth=2
	s_trap 2
	scratch_load_b128 v[8:11], off, s33 offset:224
	ds_load_b32 v4, v0
	s_wait_dscnt 0x0
	v_lshlrev_b32_e32 v4, 16, v4
	s_wait_loadcnt 0x0
	v_lshlrev_b32_e32 v5, 16, v8
	s_delay_alu instid0(VALU_DEP_1) | instskip(NEXT) | instid1(VALU_DEP_1)
	v_mul_f32_e32 v14, v4, v5
	v_and_b32_e32 v5, 0x7f800000, v14
	s_delay_alu instid0(VALU_DEP_1) | instskip(SKIP_2) | instid1(SALU_CYCLE_1)
	v_cmp_ne_u32_e32 vcc_lo, 0x7f800000, v5
                                        ; implicit-def: $vgpr5
	s_wait_xcnt 0x0
	s_and_saveexec_b32 s15, vcc_lo
	s_xor_b32 s15, exec_lo, s15
; %bb.3431:                             ;   in Loop: Header=BB8_1943 Depth=2
	v_bfe_u32 v5, v14, 16, 1
	s_delay_alu instid0(VALU_DEP_1)
	v_add3_u32 v5, v14, v5, 0x7fff
                                        ; implicit-def: $vgpr14
; %bb.3432:                             ;   in Loop: Header=BB8_1943 Depth=2
	s_and_not1_saveexec_b32 s15, s15
; %bb.3433:                             ;   in Loop: Header=BB8_1943 Depth=2
	v_and_b32_e32 v5, 0xffff, v14
	v_or_b32_e32 v15, 0x10000, v14
	s_delay_alu instid0(VALU_DEP_2) | instskip(NEXT) | instid1(VALU_DEP_2)
	v_cmp_eq_u32_e32 vcc_lo, 0, v5
	v_cndmask_b32_e32 v5, v15, v14, vcc_lo
; %bb.3434:                             ;   in Loop: Header=BB8_1943 Depth=2
	s_or_b32 exec_lo, exec_lo, s15
	v_and_b32_e32 v8, 0xffff0000, v8
	s_delay_alu instid0(VALU_DEP_1) | instskip(NEXT) | instid1(VALU_DEP_1)
	v_mul_f32_e32 v8, v4, v8
	v_and_b32_e32 v14, 0x7f800000, v8
	s_delay_alu instid0(VALU_DEP_1) | instskip(SKIP_1) | instid1(SALU_CYCLE_1)
	v_cmp_ne_u32_e32 vcc_lo, 0x7f800000, v14
                                        ; implicit-def: $vgpr14
	s_and_saveexec_b32 s15, vcc_lo
	s_xor_b32 s15, exec_lo, s15
; %bb.3435:                             ;   in Loop: Header=BB8_1943 Depth=2
	v_bfe_u32 v14, v8, 16, 1
	s_delay_alu instid0(VALU_DEP_1)
	v_add3_u32 v14, v8, v14, 0x7fff
                                        ; implicit-def: $vgpr8
; %bb.3436:                             ;   in Loop: Header=BB8_1943 Depth=2
	s_and_not1_saveexec_b32 s15, s15
; %bb.3437:                             ;   in Loop: Header=BB8_1943 Depth=2
	v_and_b32_e32 v14, 0xffff, v8
	v_or_b32_e32 v15, 0x10000, v8
	s_delay_alu instid0(VALU_DEP_2) | instskip(NEXT) | instid1(VALU_DEP_2)
	v_cmp_eq_u32_e32 vcc_lo, 0, v14
	v_cndmask_b32_e32 v14, v15, v8, vcc_lo
; %bb.3438:                             ;   in Loop: Header=BB8_1943 Depth=2
	s_or_b32 exec_lo, exec_lo, s15
	v_lshlrev_b32_e32 v8, 16, v9
	s_mov_b32 s15, exec_lo
                                        ; implicit-def: $vgpr25
	s_delay_alu instid0(VALU_DEP_1) | instskip(NEXT) | instid1(VALU_DEP_1)
	v_mul_f32_e32 v8, v4, v8
	v_and_b32_e32 v15, 0x7f800000, v8
	s_delay_alu instid0(VALU_DEP_1)
	v_cmpx_ne_u32_e32 0x7f800000, v15
	s_xor_b32 s15, exec_lo, s15
; %bb.3439:                             ;   in Loop: Header=BB8_1943 Depth=2
	v_bfe_u32 v15, v8, 16, 1
	s_delay_alu instid0(VALU_DEP_1)
	v_add3_u32 v25, v8, v15, 0x7fff
                                        ; implicit-def: $vgpr8
; %bb.3440:                             ;   in Loop: Header=BB8_1943 Depth=2
	s_and_not1_saveexec_b32 s15, s15
; %bb.3441:                             ;   in Loop: Header=BB8_1943 Depth=2
	v_and_b32_e32 v15, 0xffff, v8
	v_or_b32_e32 v16, 0x10000, v8
	s_delay_alu instid0(VALU_DEP_2) | instskip(NEXT) | instid1(VALU_DEP_2)
	v_cmp_eq_u32_e32 vcc_lo, 0, v15
	v_cndmask_b32_e32 v25, v16, v8, vcc_lo
; %bb.3442:                             ;   in Loop: Header=BB8_1943 Depth=2
	s_or_b32 exec_lo, exec_lo, s15
	v_and_b32_e32 v8, 0xffff0000, v9
	s_mov_b32 s15, exec_lo
                                        ; implicit-def: $vgpr18
	s_delay_alu instid0(VALU_DEP_1) | instskip(NEXT) | instid1(VALU_DEP_1)
	v_mul_f32_e32 v8, v4, v8
	v_and_b32_e32 v9, 0x7f800000, v8
	s_delay_alu instid0(VALU_DEP_1)
	v_cmpx_ne_u32_e32 0x7f800000, v9
	s_xor_b32 s15, exec_lo, s15
; %bb.3443:                             ;   in Loop: Header=BB8_1943 Depth=2
	v_bfe_u32 v9, v8, 16, 1
	s_delay_alu instid0(VALU_DEP_1)
	v_add3_u32 v18, v8, v9, 0x7fff
                                        ; implicit-def: $vgpr8
; %bb.3444:                             ;   in Loop: Header=BB8_1943 Depth=2
	s_and_not1_saveexec_b32 s15, s15
; %bb.3445:                             ;   in Loop: Header=BB8_1943 Depth=2
	v_and_b32_e32 v9, 0xffff, v8
	v_or_b32_e32 v15, 0x10000, v8
	s_delay_alu instid0(VALU_DEP_2) | instskip(NEXT) | instid1(VALU_DEP_2)
	v_cmp_eq_u32_e32 vcc_lo, 0, v9
	v_cndmask_b32_e32 v18, v15, v8, vcc_lo
; %bb.3446:                             ;   in Loop: Header=BB8_1943 Depth=2
	s_or_b32 exec_lo, exec_lo, s15
	v_lshlrev_b32_e32 v8, 16, v10
	s_mov_b32 s15, exec_lo
                                        ; implicit-def: $vgpr19
	s_delay_alu instid0(VALU_DEP_1) | instskip(NEXT) | instid1(VALU_DEP_1)
	v_mul_f32_e32 v8, v4, v8
	v_and_b32_e32 v9, 0x7f800000, v8
	s_delay_alu instid0(VALU_DEP_1)
	v_cmpx_ne_u32_e32 0x7f800000, v9
	s_xor_b32 s15, exec_lo, s15
; %bb.3447:                             ;   in Loop: Header=BB8_1943 Depth=2
	v_bfe_u32 v9, v8, 16, 1
	s_delay_alu instid0(VALU_DEP_1)
	v_add3_u32 v19, v8, v9, 0x7fff
                                        ; implicit-def: $vgpr8
; %bb.3448:                             ;   in Loop: Header=BB8_1943 Depth=2
	s_and_not1_saveexec_b32 s15, s15
; %bb.3449:                             ;   in Loop: Header=BB8_1943 Depth=2
	v_and_b32_e32 v9, 0xffff, v8
	v_or_b32_e32 v15, 0x10000, v8
	s_delay_alu instid0(VALU_DEP_2) | instskip(NEXT) | instid1(VALU_DEP_2)
	v_cmp_eq_u32_e32 vcc_lo, 0, v9
	v_cndmask_b32_e32 v19, v15, v8, vcc_lo
; %bb.3450:                             ;   in Loop: Header=BB8_1943 Depth=2
	s_or_b32 exec_lo, exec_lo, s15
	v_and_b32_e32 v8, 0xffff0000, v10
	s_mov_b32 s15, exec_lo
                                        ; implicit-def: $vgpr16
	s_delay_alu instid0(VALU_DEP_1) | instskip(NEXT) | instid1(VALU_DEP_1)
	v_mul_f32_e32 v8, v4, v8
	v_and_b32_e32 v9, 0x7f800000, v8
	s_delay_alu instid0(VALU_DEP_1)
	v_cmpx_ne_u32_e32 0x7f800000, v9
	s_xor_b32 s15, exec_lo, s15
; %bb.3451:                             ;   in Loop: Header=BB8_1943 Depth=2
	v_bfe_u32 v9, v8, 16, 1
	s_delay_alu instid0(VALU_DEP_1)
	v_add3_u32 v16, v8, v9, 0x7fff
                                        ; implicit-def: $vgpr8
; %bb.3452:                             ;   in Loop: Header=BB8_1943 Depth=2
	s_and_not1_saveexec_b32 s15, s15
; %bb.3453:                             ;   in Loop: Header=BB8_1943 Depth=2
	v_and_b32_e32 v9, 0xffff, v8
	v_or_b32_e32 v10, 0x10000, v8
	s_delay_alu instid0(VALU_DEP_2) | instskip(NEXT) | instid1(VALU_DEP_2)
	v_cmp_eq_u32_e32 vcc_lo, 0, v9
	v_cndmask_b32_e32 v16, v10, v8, vcc_lo
; %bb.3454:                             ;   in Loop: Header=BB8_1943 Depth=2
	s_or_b32 exec_lo, exec_lo, s15
	v_lshlrev_b32_e32 v8, 16, v11
	s_mov_b32 s15, exec_lo
                                        ; implicit-def: $vgpr17
	s_delay_alu instid0(VALU_DEP_1) | instskip(NEXT) | instid1(VALU_DEP_1)
	v_mul_f32_e32 v8, v4, v8
	v_and_b32_e32 v9, 0x7f800000, v8
	s_delay_alu instid0(VALU_DEP_1)
	v_cmpx_ne_u32_e32 0x7f800000, v9
	s_xor_b32 s15, exec_lo, s15
; %bb.3455:                             ;   in Loop: Header=BB8_1943 Depth=2
	v_bfe_u32 v9, v8, 16, 1
	s_delay_alu instid0(VALU_DEP_1)
	v_add3_u32 v17, v8, v9, 0x7fff
                                        ; implicit-def: $vgpr8
; %bb.3456:                             ;   in Loop: Header=BB8_1943 Depth=2
	s_and_not1_saveexec_b32 s15, s15
; %bb.3457:                             ;   in Loop: Header=BB8_1943 Depth=2
	v_and_b32_e32 v9, 0xffff, v8
	v_or_b32_e32 v10, 0x10000, v8
	s_delay_alu instid0(VALU_DEP_2) | instskip(NEXT) | instid1(VALU_DEP_2)
	v_cmp_eq_u32_e32 vcc_lo, 0, v9
	v_cndmask_b32_e32 v17, v10, v8, vcc_lo
; %bb.3458:                             ;   in Loop: Header=BB8_1943 Depth=2
	s_or_b32 exec_lo, exec_lo, s15
	v_and_b32_e32 v8, 0xffff0000, v11
	s_delay_alu instid0(VALU_DEP_1) | instskip(NEXT) | instid1(VALU_DEP_1)
	v_mul_f32_e32 v8, v4, v8
	v_and_b32_e32 v4, 0x7f800000, v8
	s_delay_alu instid0(VALU_DEP_1) | instskip(SKIP_1) | instid1(SALU_CYCLE_1)
	v_cmp_ne_u32_e32 vcc_lo, 0x7f800000, v4
                                        ; implicit-def: $vgpr4
	s_and_saveexec_b32 s15, vcc_lo
	s_xor_b32 s15, exec_lo, s15
; %bb.3459:                             ;   in Loop: Header=BB8_1943 Depth=2
	v_bfe_u32 v4, v8, 16, 1
	s_delay_alu instid0(VALU_DEP_1)
	v_add3_u32 v4, v8, v4, 0x7fff
                                        ; implicit-def: $vgpr8
; %bb.3460:                             ;   in Loop: Header=BB8_1943 Depth=2
	s_and_not1_saveexec_b32 s15, s15
; %bb.3461:                             ;   in Loop: Header=BB8_1943 Depth=2
	v_and_b32_e32 v4, 0xffff, v8
	v_or_b32_e32 v9, 0x10000, v8
	s_delay_alu instid0(VALU_DEP_2) | instskip(NEXT) | instid1(VALU_DEP_2)
	v_cmp_eq_u32_e32 vcc_lo, 0, v4
	v_cndmask_b32_e32 v4, v9, v8, vcc_lo
; %bb.3462:                             ;   in Loop: Header=BB8_1943 Depth=2
	s_or_b32 exec_lo, exec_lo, s15
	scratch_load_b128 v[8:11], off, s33 offset:240
	v_and_b32_e32 v5, 0xffff0000, v5
	s_wait_loadcnt 0x0
	v_lshlrev_b32_e32 v15, 16, v8
	s_delay_alu instid0(VALU_DEP_1) | instskip(NEXT) | instid1(VALU_DEP_1)
	v_add_f32_e32 v15, v5, v15
	v_and_b32_e32 v5, 0x7f800000, v15
	s_delay_alu instid0(VALU_DEP_1) | instskip(SKIP_2) | instid1(SALU_CYCLE_1)
	v_cmp_ne_u32_e32 vcc_lo, 0x7f800000, v5
                                        ; implicit-def: $vgpr5
	s_wait_xcnt 0x0
	s_and_saveexec_b32 s15, vcc_lo
	s_xor_b32 s15, exec_lo, s15
; %bb.3463:                             ;   in Loop: Header=BB8_1943 Depth=2
	v_bfe_u32 v5, v15, 16, 1
	s_delay_alu instid0(VALU_DEP_1)
	v_add3_u32 v5, v15, v5, 0x7fff
                                        ; implicit-def: $vgpr15
; %bb.3464:                             ;   in Loop: Header=BB8_1943 Depth=2
	s_and_not1_saveexec_b32 s15, s15
; %bb.3465:                             ;   in Loop: Header=BB8_1943 Depth=2
	v_and_b32_e32 v5, 0xffff, v15
	v_or_b32_e32 v26, 0x10000, v15
	s_delay_alu instid0(VALU_DEP_2) | instskip(NEXT) | instid1(VALU_DEP_2)
	v_cmp_eq_u32_e32 vcc_lo, 0, v5
	v_cndmask_b32_e32 v5, v26, v15, vcc_lo
; %bb.3466:                             ;   in Loop: Header=BB8_1943 Depth=2
	s_or_b32 exec_lo, exec_lo, s15
	v_and_b32_e32 v15, 0xffff0000, v8
	v_and_b32_e32 v14, 0xffff0000, v14
	s_delay_alu instid0(VALU_DEP_2) | instskip(NEXT) | instid1(VALU_DEP_1)
	v_mov_b32_e32 v8, v15
	v_pk_add_f32 v[14:15], v[8:9], v[14:15]
	s_delay_alu instid0(VALU_DEP_1) | instskip(NEXT) | instid1(VALU_DEP_1)
	v_and_b32_e32 v8, 0x7f800000, v14
	v_cmp_ne_u32_e32 vcc_lo, 0x7f800000, v8
                                        ; implicit-def: $vgpr8
	s_and_saveexec_b32 s15, vcc_lo
	s_delay_alu instid0(SALU_CYCLE_1)
	s_xor_b32 s15, exec_lo, s15
; %bb.3467:                             ;   in Loop: Header=BB8_1943 Depth=2
	v_bfe_u32 v8, v14, 16, 1
	s_delay_alu instid0(VALU_DEP_1)
	v_add3_u32 v8, v14, v8, 0x7fff
                                        ; implicit-def: $vgpr14_vgpr15
; %bb.3468:                             ;   in Loop: Header=BB8_1943 Depth=2
	s_and_not1_saveexec_b32 s15, s15
; %bb.3469:                             ;   in Loop: Header=BB8_1943 Depth=2
	v_and_b32_e32 v8, 0xffff, v14
	v_or_b32_e32 v15, 0x10000, v14
	s_delay_alu instid0(VALU_DEP_2) | instskip(NEXT) | instid1(VALU_DEP_2)
	v_cmp_eq_u32_e32 vcc_lo, 0, v8
	v_cndmask_b32_e32 v8, v15, v14, vcc_lo
; %bb.3470:                             ;   in Loop: Header=BB8_1943 Depth=2
	s_or_b32 exec_lo, exec_lo, s15
	v_and_b32_e32 v14, 0xffff0000, v25
	v_lshlrev_b32_e32 v15, 16, v9
	s_delay_alu instid0(VALU_DEP_1) | instskip(NEXT) | instid1(VALU_DEP_1)
	v_add_f32_e32 v15, v14, v15
	v_and_b32_e32 v14, 0x7f800000, v15
	s_delay_alu instid0(VALU_DEP_1) | instskip(SKIP_1) | instid1(SALU_CYCLE_1)
	v_cmp_ne_u32_e32 vcc_lo, 0x7f800000, v14
                                        ; implicit-def: $vgpr14
	s_and_saveexec_b32 s15, vcc_lo
	s_xor_b32 s15, exec_lo, s15
; %bb.3471:                             ;   in Loop: Header=BB8_1943 Depth=2
	v_bfe_u32 v14, v15, 16, 1
	s_delay_alu instid0(VALU_DEP_1)
	v_add3_u32 v14, v15, v14, 0x7fff
                                        ; implicit-def: $vgpr15
; %bb.3472:                             ;   in Loop: Header=BB8_1943 Depth=2
	s_and_not1_saveexec_b32 s15, s15
; %bb.3473:                             ;   in Loop: Header=BB8_1943 Depth=2
	v_and_b32_e32 v14, 0xffff, v15
	v_or_b32_e32 v25, 0x10000, v15
	s_delay_alu instid0(VALU_DEP_2) | instskip(NEXT) | instid1(VALU_DEP_2)
	v_cmp_eq_u32_e32 vcc_lo, 0, v14
	v_cndmask_b32_e32 v14, v25, v15, vcc_lo
; %bb.3474:                             ;   in Loop: Header=BB8_1943 Depth=2
	s_or_b32 exec_lo, exec_lo, s15
	v_and_b32_e32 v9, 0xffff0000, v9
	v_and_b32_e32 v15, 0xffff0000, v18
	s_delay_alu instid0(VALU_DEP_1) | instskip(NEXT) | instid1(VALU_DEP_1)
	v_add_f32_e32 v15, v15, v9
	v_and_b32_e32 v9, 0x7f800000, v15
	s_delay_alu instid0(VALU_DEP_1) | instskip(SKIP_1) | instid1(SALU_CYCLE_1)
	v_cmp_ne_u32_e32 vcc_lo, 0x7f800000, v9
                                        ; implicit-def: $vgpr9
	s_and_saveexec_b32 s15, vcc_lo
	s_xor_b32 s15, exec_lo, s15
; %bb.3475:                             ;   in Loop: Header=BB8_1943 Depth=2
	v_bfe_u32 v9, v15, 16, 1
	s_delay_alu instid0(VALU_DEP_1)
	v_add3_u32 v9, v15, v9, 0x7fff
                                        ; implicit-def: $vgpr15
; %bb.3476:                             ;   in Loop: Header=BB8_1943 Depth=2
	s_and_not1_saveexec_b32 s15, s15
; %bb.3477:                             ;   in Loop: Header=BB8_1943 Depth=2
	v_and_b32_e32 v9, 0xffff, v15
	v_or_b32_e32 v18, 0x10000, v15
	s_delay_alu instid0(VALU_DEP_2) | instskip(NEXT) | instid1(VALU_DEP_2)
	v_cmp_eq_u32_e32 vcc_lo, 0, v9
	v_cndmask_b32_e32 v9, v18, v15, vcc_lo
; %bb.3478:                             ;   in Loop: Header=BB8_1943 Depth=2
	s_or_b32 exec_lo, exec_lo, s15
	v_and_b32_e32 v15, 0xffff0000, v19
	v_lshlrev_b32_e32 v18, 16, v10
	s_delay_alu instid0(VALU_DEP_1) | instskip(NEXT) | instid1(VALU_DEP_1)
	v_add_f32_e32 v18, v15, v18
	v_and_b32_e32 v15, 0x7f800000, v18
	s_delay_alu instid0(VALU_DEP_1) | instskip(SKIP_1) | instid1(SALU_CYCLE_1)
	v_cmp_ne_u32_e32 vcc_lo, 0x7f800000, v15
                                        ; implicit-def: $vgpr15
	s_and_saveexec_b32 s15, vcc_lo
	s_xor_b32 s15, exec_lo, s15
; %bb.3479:                             ;   in Loop: Header=BB8_1943 Depth=2
	v_bfe_u32 v15, v18, 16, 1
	s_delay_alu instid0(VALU_DEP_1)
	v_add3_u32 v15, v18, v15, 0x7fff
                                        ; implicit-def: $vgpr18
; %bb.3480:                             ;   in Loop: Header=BB8_1943 Depth=2
	s_and_not1_saveexec_b32 s15, s15
; %bb.3481:                             ;   in Loop: Header=BB8_1943 Depth=2
	v_and_b32_e32 v15, 0xffff, v18
	v_or_b32_e32 v19, 0x10000, v18
	s_delay_alu instid0(VALU_DEP_2) | instskip(NEXT) | instid1(VALU_DEP_2)
	v_cmp_eq_u32_e32 vcc_lo, 0, v15
	v_cndmask_b32_e32 v15, v19, v18, vcc_lo
; %bb.3482:                             ;   in Loop: Header=BB8_1943 Depth=2
	s_or_b32 exec_lo, exec_lo, s15
	v_and_b32_e32 v10, 0xffff0000, v10
	v_and_b32_e32 v16, 0xffff0000, v16
	s_delay_alu instid0(VALU_DEP_1) | instskip(NEXT) | instid1(VALU_DEP_1)
	v_add_f32_e32 v16, v16, v10
	v_and_b32_e32 v10, 0x7f800000, v16
	s_delay_alu instid0(VALU_DEP_1) | instskip(SKIP_1) | instid1(SALU_CYCLE_1)
	v_cmp_ne_u32_e32 vcc_lo, 0x7f800000, v10
                                        ; implicit-def: $vgpr10
	s_and_saveexec_b32 s15, vcc_lo
	s_xor_b32 s15, exec_lo, s15
; %bb.3483:                             ;   in Loop: Header=BB8_1943 Depth=2
	v_bfe_u32 v10, v16, 16, 1
	s_delay_alu instid0(VALU_DEP_1)
	v_add3_u32 v10, v16, v10, 0x7fff
                                        ; implicit-def: $vgpr16
; %bb.3484:                             ;   in Loop: Header=BB8_1943 Depth=2
	s_and_not1_saveexec_b32 s15, s15
; %bb.3485:                             ;   in Loop: Header=BB8_1943 Depth=2
	v_and_b32_e32 v10, 0xffff, v16
	v_or_b32_e32 v18, 0x10000, v16
	s_delay_alu instid0(VALU_DEP_2) | instskip(NEXT) | instid1(VALU_DEP_2)
	v_cmp_eq_u32_e32 vcc_lo, 0, v10
	v_cndmask_b32_e32 v10, v18, v16, vcc_lo
; %bb.3486:                             ;   in Loop: Header=BB8_1943 Depth=2
	s_or_b32 exec_lo, exec_lo, s15
	v_and_b32_e32 v16, 0xffff0000, v17
	v_lshlrev_b32_e32 v17, 16, v11
	s_delay_alu instid0(VALU_DEP_1) | instskip(NEXT) | instid1(VALU_DEP_1)
	v_add_f32_e32 v17, v16, v17
	v_and_b32_e32 v16, 0x7f800000, v17
	s_delay_alu instid0(VALU_DEP_1) | instskip(SKIP_1) | instid1(SALU_CYCLE_1)
	v_cmp_ne_u32_e32 vcc_lo, 0x7f800000, v16
                                        ; implicit-def: $vgpr16
	s_and_saveexec_b32 s15, vcc_lo
	s_xor_b32 s15, exec_lo, s15
; %bb.3487:                             ;   in Loop: Header=BB8_1943 Depth=2
	v_bfe_u32 v16, v17, 16, 1
	s_delay_alu instid0(VALU_DEP_1)
	v_add3_u32 v16, v17, v16, 0x7fff
                                        ; implicit-def: $vgpr17
; %bb.3488:                             ;   in Loop: Header=BB8_1943 Depth=2
	s_and_not1_saveexec_b32 s15, s15
; %bb.3489:                             ;   in Loop: Header=BB8_1943 Depth=2
	v_and_b32_e32 v16, 0xffff, v17
	v_or_b32_e32 v18, 0x10000, v17
	s_delay_alu instid0(VALU_DEP_2) | instskip(NEXT) | instid1(VALU_DEP_2)
	v_cmp_eq_u32_e32 vcc_lo, 0, v16
	v_cndmask_b32_e32 v16, v18, v17, vcc_lo
; %bb.3490:                             ;   in Loop: Header=BB8_1943 Depth=2
	s_or_b32 exec_lo, exec_lo, s15
	v_and_b32_e32 v11, 0xffff0000, v11
	v_and_b32_e32 v4, 0xffff0000, v4
	s_delay_alu instid0(VALU_DEP_1) | instskip(NEXT) | instid1(VALU_DEP_1)
	v_add_f32_e32 v11, v4, v11
	v_and_b32_e32 v4, 0x7f800000, v11
	s_delay_alu instid0(VALU_DEP_1) | instskip(SKIP_1) | instid1(SALU_CYCLE_1)
	v_cmp_ne_u32_e32 vcc_lo, 0x7f800000, v4
                                        ; implicit-def: $vgpr4
	s_and_saveexec_b32 s15, vcc_lo
	s_xor_b32 s15, exec_lo, s15
; %bb.3491:                             ;   in Loop: Header=BB8_1943 Depth=2
	v_bfe_u32 v4, v11, 16, 1
	s_delay_alu instid0(VALU_DEP_1)
	v_add3_u32 v4, v11, v4, 0x7fff
                                        ; implicit-def: $vgpr11
; %bb.3492:                             ;   in Loop: Header=BB8_1943 Depth=2
	s_and_not1_saveexec_b32 s15, s15
; %bb.3493:                             ;   in Loop: Header=BB8_1943 Depth=2
	v_and_b32_e32 v4, 0xffff, v11
	v_or_b32_e32 v17, 0x10000, v11
	s_delay_alu instid0(VALU_DEP_2) | instskip(NEXT) | instid1(VALU_DEP_2)
	v_cmp_eq_u32_e32 vcc_lo, 0, v4
	v_cndmask_b32_e32 v4, v17, v11, vcc_lo
; %bb.3494:                             ;   in Loop: Header=BB8_1943 Depth=2
	s_or_b32 exec_lo, exec_lo, s15
	v_dual_lshrrev_b32 v11, 16, v14 :: v_dual_lshrrev_b32 v5, 16, v5
	v_dual_lshrrev_b32 v14, 16, v15 :: v_dual_lshrrev_b32 v15, 16, v16
	s_delay_alu instid0(VALU_DEP_2) | instskip(NEXT) | instid1(VALU_DEP_3)
	v_and_or_b32 v9, 0xffff0000, v9, v11
	v_and_or_b32 v8, 0xffff0000, v8, v5
	s_delay_alu instid0(VALU_DEP_3) | instskip(NEXT) | instid1(VALU_DEP_4)
	v_and_or_b32 v10, 0xffff0000, v10, v14
	v_and_or_b32 v11, 0xffff0000, v4, v15
	global_store_b128 v[12:13], v[8:11], off th:TH_STORE_NT
.LBB8_3495:                             ;   in Loop: Header=BB8_1943 Depth=2
	s_wait_xcnt 0x0
	s_or_b32 exec_lo, exec_lo, s14
	v_and_b32_e32 v5, 14, v73
	s_mov_b32 s15, s76
	s_mov_b32 s14, exec_lo
                                        ; implicit-def: $vgpr18
                                        ; implicit-def: $vgpr4
                                        ; implicit-def: $vgpr19
	s_delay_alu instid0(VALU_DEP_1) | instskip(NEXT) | instid1(VALU_DEP_1)
	v_cndmask_b32_e64 v73, v23, v5, s13
	v_cmpx_ne_u32_e32 0, v73
	s_cbranch_execz .LBB8_3497
; %bb.3496:                             ;   in Loop: Header=BB8_1943 Depth=2
	v_cmp_lt_i32_e32 vcc_lo, 0, v24
	s_or_b32 s15, s76, exec_lo
	v_dual_cndmask_b32 v4, 0, v84 :: v_dual_sub_nc_u32 v5, v23, v5
	s_delay_alu instid0(VALU_DEP_1) | instskip(NEXT) | instid1(VALU_DEP_1)
	v_dual_cndmask_b32 v5, 0, v5, s13 :: v_dual_sub_nc_u32 v4, v4, v24
	v_add3_u32 v18, v22, v20, v5
	s_delay_alu instid0(VALU_DEP_2) | instskip(NEXT) | instid1(VALU_DEP_1)
	v_lshl_add_u32 v4, v4, 5, v21
	v_ashrrev_i32_e32 v8, 31, v4
	s_delay_alu instid0(VALU_DEP_1) | instskip(NEXT) | instid1(VALU_DEP_1)
	v_lshrrev_b32_e32 v8, 27, v8
	v_add_nc_u32_e32 v8, v4, v8
	s_delay_alu instid0(VALU_DEP_1) | instskip(NEXT) | instid1(VALU_DEP_1)
	v_and_b32_e32 v8, 0xffffffe0, v8
	v_sub_nc_u32_e32 v19, v4, v8
.LBB8_3497:                             ;   in Loop: Header=BB8_1943 Depth=2
	s_or_b32 exec_lo, exec_lo, s14
	s_delay_alu instid0(SALU_CYCLE_1) | instskip(SKIP_1) | instid1(SALU_CYCLE_1)
	s_and_not1_b32 s13, s76, exec_lo
	s_and_b32 s14, s15, exec_lo
	s_or_b32 s76, s13, s14
.LBB8_3498:                             ;   in Loop: Header=BB8_1943 Depth=2
	s_or_b32 exec_lo, exec_lo, s77
	s_and_saveexec_b32 s15, s76
	s_cbranch_execz .LBB8_3738
.LBB8_3499:                             ;   in Loop: Header=BB8_1943 Depth=2
	s_delay_alu instid0(VALU_DEP_1) | instskip(SKIP_2) | instid1(VALU_DEP_3)
	v_dual_ashrrev_i32 v5, 31, v4 :: v_dual_ashrrev_i32 v8, 31, v73
	v_dual_mov_b32 v34, 0 :: v_dual_mov_b32 v29, 0
	v_dual_mov_b32 v17, 0 :: v_dual_mov_b32 v16, 0
	v_dual_lshrrev_b32 v5, 27, v5 :: v_dual_mov_b32 v39, 0
	s_delay_alu instid0(VALU_DEP_4) | instskip(NEXT) | instid1(VALU_DEP_2)
	v_dual_lshrrev_b32 v8, 23, v8 :: v_dual_mov_b32 v38, 0
	v_dual_mov_b32 v36, 0 :: v_dual_add_nc_u32 v4, v4, v5
	s_delay_alu instid0(VALU_DEP_2) | instskip(SKIP_1) | instid1(VALU_DEP_3)
	v_dual_lshlrev_b32 v5, 1, v19 :: v_dual_add_nc_u32 v8, v73, v8
	v_dual_mov_b32 v11, 0 :: v_dual_mov_b32 v37, 0
	v_dual_ashrrev_i32 v4, 5, v4 :: v_dual_mov_b32 v28, 0
	s_delay_alu instid0(VALU_DEP_3) | instskip(SKIP_1) | instid1(VALU_DEP_2)
	v_ashrrev_i32_e32 v20, 9, v8
	s_mov_b32 s14, 0
	v_dual_mov_b32 v35, 0 :: v_dual_lshlrev_b32 v9, 9, v4
	s_delay_alu instid0(VALU_DEP_2) | instskip(SKIP_1) | instid1(VALU_DEP_3)
	v_dual_mov_b32 v15, 0 :: v_dual_sub_nc_u32 v33, v20, v4
	v_dual_mov_b32 v4, 0 :: v_dual_mov_b32 v10, 0
	v_add3_u32 v12, v18, v5, v9
	v_mov_b32_e32 v5, 0
	s_mov_b32 s13, exec_lo
	s_delay_alu instid0(VALU_DEP_2) | instskip(NEXT) | instid1(VALU_DEP_1)
	v_dual_mov_b32 v14, 0 :: v_dual_ashrrev_i32 v13, 31, v12
	v_add_nc_u64_e32 v[8:9], v[88:89], v[12:13]
	v_cmpx_lt_i32_e32 0, v33
	s_cbranch_execz .LBB8_3635
; %bb.3500:                             ;   in Loop: Header=BB8_1943 Depth=2
	s_trap 2
	ds_load_b64 v[4:5], v0
	v_add_nc_u64_e32 v[10:11], v[12:13], v[78:79]
	s_mov_b32 s41, 0
	s_mov_b32 s40, 0
                                        ; implicit-def: $sgpr14
                                        ; implicit-def: $vgpr105
                                        ; implicit-def: $vgpr52
                                        ; implicit-def: $vgpr95
                                        ; implicit-def: $vgpr93
                                        ; implicit-def: $vgpr90
                                        ; implicit-def: $vgpr51
                                        ; implicit-def: $vgpr49
                                        ; implicit-def: $vgpr48
                                        ; implicit-def: $vgpr21
                                        ; implicit-def: $vgpr22
                                        ; implicit-def: $vgpr23
                                        ; implicit-def: $vgpr24
                                        ; implicit-def: $vgpr25
                                        ; implicit-def: $vgpr26
                                        ; implicit-def: $vgpr27
                                        ; implicit-def: $vgpr32
	s_wait_dscnt 0x0
	v_add_nc_u64_e32 v[12:13], v[4:5], v[12:13]
	s_branch .LBB8_3502
.LBB8_3501:                             ;   in Loop: Header=BB8_3502 Depth=3
	s_or_b32 exec_lo, exec_lo, s76
	v_dual_cndmask_b32 v33, 0, v84, s41 :: v_dual_cndmask_b32 v55, 0, v45, s41
	v_add_nc_u64_e32 v[34:35], v[10:11], v[116:117]
	v_add_nc_u64_e32 v[36:37], v[12:13], v[116:117]
	v_cndmask_b32_e64 v54, 0x200, v44, s41
	s_delay_alu instid0(VALU_DEP_4)
	v_sub_nc_u32_e32 v33, v28, v33
	s_clause 0x7
	flat_store_d16_hi_b16 v[8:9], v4 th:TH_STORE_NT
	flat_store_d16_hi_b16 v[8:9], v15 offset:64 th:TH_STORE_NT
	flat_store_d16_hi_b16 v[8:9], v39 offset:128 th:TH_STORE_NT
	flat_store_d16_hi_b16 v[8:9], v29 offset:192 th:TH_STORE_NT
	flat_store_d16_hi_b16 v[8:9], v17 offset:256 th:TH_STORE_NT
	flat_store_d16_hi_b16 v[8:9], v16 offset:320 th:TH_STORE_NT
	flat_store_d16_hi_b16 v[8:9], v14 offset:384 th:TH_STORE_NT
	flat_store_d16_hi_b16 v[8:9], v5 offset:448 th:TH_STORE_NT
	v_cndmask_b32_e64 v11, v11, v35, s41
	v_cmp_gt_i32_e32 vcc_lo, 1, v33
	s_wait_xcnt 0x0
	v_add_nc_u64_e32 v[8:9], v[8:9], v[54:55]
	v_dual_cndmask_b32 v10, v10, v34, s41 :: v_dual_cndmask_b32 v13, v13, v37, s41
	v_cndmask_b32_e64 v12, v12, v36, s41
	s_or_b32 s40, vcc_lo, s40
	s_and_not1_b32 s14, s14, exec_lo
	s_and_b32 s76, s41, exec_lo
	s_delay_alu instid0(SALU_CYCLE_1)
	s_or_b32 s14, s14, s76
	s_and_not1_b32 exec_lo, exec_lo, s40
	s_cbranch_execz .LBB8_3634
.LBB8_3502:                             ;   Parent Loop BB8_47 Depth=1
                                        ;     Parent Loop BB8_1943 Depth=2
                                        ; =>    This Inner Loop Header: Depth=3
	s_clause 0x7
	flat_load_u16 v55, v[10:11] th:TH_LOAD_NT
	flat_load_u16 v54, v[10:11] offset:64 th:TH_LOAD_NT
	flat_load_u16 v106, v[10:11] offset:128 th:TH_LOAD_NT
	;; [unrolled: 1-line block ×7, first 2 shown]
	s_clause 0x7
	flat_load_u16 v75, v[12:13] th:TH_LOAD_NT
	flat_load_u16 v50, v[12:13] offset:64 th:TH_LOAD_NT
	flat_load_u16 v39, v[12:13] offset:128 th:TH_LOAD_NT
	;; [unrolled: 1-line block ×7, first 2 shown]
	s_wait_xcnt 0x0
	s_and_saveexec_b32 s76, s41
	s_cbranch_execz .LBB8_3568
; %bb.3503:                             ;   in Loop: Header=BB8_3502 Depth=3
	s_trap 2
	ds_load_b32 v4, v0
	s_wait_dscnt 0x0
	v_dual_lshlrev_b32 v14, 16, v105 :: v_dual_lshlrev_b32 v15, 16, v4
	s_delay_alu instid0(VALU_DEP_1) | instskip(NEXT) | instid1(VALU_DEP_1)
	v_mov_b32_e32 v4, v15
	v_pk_mul_f32 v[16:17], v[4:5], v[14:15]
	s_delay_alu instid0(VALU_DEP_1) | instskip(NEXT) | instid1(VALU_DEP_1)
	v_and_b32_e32 v4, 0x7f800000, v16
	v_cmp_ne_u32_e32 vcc_lo, 0x7f800000, v4
                                        ; implicit-def: $vgpr4
	s_and_saveexec_b32 s41, vcc_lo
	s_delay_alu instid0(SALU_CYCLE_1)
	s_xor_b32 s41, exec_lo, s41
; %bb.3504:                             ;   in Loop: Header=BB8_3502 Depth=3
	v_bfe_u32 v4, v16, 16, 1
	s_delay_alu instid0(VALU_DEP_1)
	v_add3_u32 v4, v16, v4, 0x7fff
                                        ; implicit-def: $vgpr16_vgpr17
; %bb.3505:                             ;   in Loop: Header=BB8_3502 Depth=3
	s_and_not1_saveexec_b32 s41, s41
; %bb.3506:                             ;   in Loop: Header=BB8_3502 Depth=3
	v_and_b32_e32 v4, 0xffff, v16
	v_or_b32_e32 v5, 0x10000, v16
	s_delay_alu instid0(VALU_DEP_2) | instskip(NEXT) | instid1(VALU_DEP_2)
	v_cmp_eq_u32_e32 vcc_lo, 0, v4
	v_cndmask_b32_e32 v4, v5, v16, vcc_lo
; %bb.3507:                             ;   in Loop: Header=BB8_3502 Depth=3
	s_or_b32 exec_lo, exec_lo, s41
	v_lshlrev_b32_e32 v5, 16, v52
	s_mov_b32 s41, exec_lo
                                        ; implicit-def: $vgpr52
	s_delay_alu instid0(VALU_DEP_1) | instskip(NEXT) | instid1(VALU_DEP_1)
	v_mul_f32_e32 v5, v15, v5
	v_and_b32_e32 v14, 0x7f800000, v5
	s_delay_alu instid0(VALU_DEP_1)
	v_cmpx_ne_u32_e32 0x7f800000, v14
	s_xor_b32 s41, exec_lo, s41
; %bb.3508:                             ;   in Loop: Header=BB8_3502 Depth=3
	v_bfe_u32 v14, v5, 16, 1
	s_delay_alu instid0(VALU_DEP_1)
	v_add3_u32 v52, v5, v14, 0x7fff
                                        ; implicit-def: $vgpr5
; %bb.3509:                             ;   in Loop: Header=BB8_3502 Depth=3
	s_and_not1_saveexec_b32 s41, s41
; %bb.3510:                             ;   in Loop: Header=BB8_3502 Depth=3
	v_and_b32_e32 v14, 0xffff, v5
	v_or_b32_e32 v16, 0x10000, v5
	s_delay_alu instid0(VALU_DEP_2) | instskip(NEXT) | instid1(VALU_DEP_2)
	v_cmp_eq_u32_e32 vcc_lo, 0, v14
	v_cndmask_b32_e32 v52, v16, v5, vcc_lo
; %bb.3511:                             ;   in Loop: Header=BB8_3502 Depth=3
	s_or_b32 exec_lo, exec_lo, s41
	v_lshlrev_b32_e32 v5, 16, v95
	s_mov_b32 s41, exec_lo
                                        ; implicit-def: $vgpr29
	s_delay_alu instid0(VALU_DEP_1) | instskip(NEXT) | instid1(VALU_DEP_1)
	v_mul_f32_e32 v5, v15, v5
	v_and_b32_e32 v14, 0x7f800000, v5
	s_delay_alu instid0(VALU_DEP_1)
	v_cmpx_ne_u32_e32 0x7f800000, v14
	s_xor_b32 s41, exec_lo, s41
; %bb.3512:                             ;   in Loop: Header=BB8_3502 Depth=3
	v_bfe_u32 v14, v5, 16, 1
	s_delay_alu instid0(VALU_DEP_1)
	v_add3_u32 v29, v5, v14, 0x7fff
                                        ; implicit-def: $vgpr5
; %bb.3513:                             ;   in Loop: Header=BB8_3502 Depth=3
	s_and_not1_saveexec_b32 s41, s41
; %bb.3514:                             ;   in Loop: Header=BB8_3502 Depth=3
	v_and_b32_e32 v14, 0xffff, v5
	v_or_b32_e32 v16, 0x10000, v5
	s_delay_alu instid0(VALU_DEP_2) | instskip(NEXT) | instid1(VALU_DEP_2)
	v_cmp_eq_u32_e32 vcc_lo, 0, v14
	v_cndmask_b32_e32 v29, v16, v5, vcc_lo
; %bb.3515:                             ;   in Loop: Header=BB8_3502 Depth=3
	s_or_b32 exec_lo, exec_lo, s41
	v_lshlrev_b32_e32 v5, 16, v93
	s_mov_b32 s41, exec_lo
                                        ; implicit-def: $vgpr28
	s_delay_alu instid0(VALU_DEP_1) | instskip(NEXT) | instid1(VALU_DEP_1)
	v_mul_f32_e32 v5, v15, v5
	v_and_b32_e32 v14, 0x7f800000, v5
	s_delay_alu instid0(VALU_DEP_1)
	v_cmpx_ne_u32_e32 0x7f800000, v14
	s_xor_b32 s41, exec_lo, s41
; %bb.3516:                             ;   in Loop: Header=BB8_3502 Depth=3
	v_bfe_u32 v14, v5, 16, 1
	s_delay_alu instid0(VALU_DEP_1)
	v_add3_u32 v28, v5, v14, 0x7fff
                                        ; implicit-def: $vgpr5
; %bb.3517:                             ;   in Loop: Header=BB8_3502 Depth=3
	s_and_not1_saveexec_b32 s41, s41
; %bb.3518:                             ;   in Loop: Header=BB8_3502 Depth=3
	v_and_b32_e32 v14, 0xffff, v5
	v_or_b32_e32 v16, 0x10000, v5
	s_delay_alu instid0(VALU_DEP_2) | instskip(NEXT) | instid1(VALU_DEP_2)
	v_cmp_eq_u32_e32 vcc_lo, 0, v14
	v_cndmask_b32_e32 v28, v16, v5, vcc_lo
; %bb.3519:                             ;   in Loop: Header=BB8_3502 Depth=3
	s_or_b32 exec_lo, exec_lo, s41
	v_lshlrev_b32_e32 v5, 16, v90
	s_mov_b32 s41, exec_lo
                                        ; implicit-def: $vgpr17
	s_delay_alu instid0(VALU_DEP_1) | instskip(NEXT) | instid1(VALU_DEP_1)
	v_mul_f32_e32 v5, v15, v5
	v_and_b32_e32 v14, 0x7f800000, v5
	s_delay_alu instid0(VALU_DEP_1)
	v_cmpx_ne_u32_e32 0x7f800000, v14
	s_xor_b32 s41, exec_lo, s41
; %bb.3520:                             ;   in Loop: Header=BB8_3502 Depth=3
	v_bfe_u32 v14, v5, 16, 1
	s_delay_alu instid0(VALU_DEP_1)
	v_add3_u32 v17, v5, v14, 0x7fff
                                        ; implicit-def: $vgpr5
; %bb.3521:                             ;   in Loop: Header=BB8_3502 Depth=3
	s_and_not1_saveexec_b32 s41, s41
; %bb.3522:                             ;   in Loop: Header=BB8_3502 Depth=3
	v_and_b32_e32 v14, 0xffff, v5
	v_or_b32_e32 v16, 0x10000, v5
	s_delay_alu instid0(VALU_DEP_2) | instskip(NEXT) | instid1(VALU_DEP_2)
	v_cmp_eq_u32_e32 vcc_lo, 0, v14
	v_cndmask_b32_e32 v17, v16, v5, vcc_lo
; %bb.3523:                             ;   in Loop: Header=BB8_3502 Depth=3
	s_or_b32 exec_lo, exec_lo, s41
	v_lshlrev_b32_e32 v5, 16, v51
	s_mov_b32 s41, exec_lo
                                        ; implicit-def: $vgpr16
	s_delay_alu instid0(VALU_DEP_1) | instskip(NEXT) | instid1(VALU_DEP_1)
	v_mul_f32_e32 v5, v15, v5
	v_and_b32_e32 v14, 0x7f800000, v5
	s_delay_alu instid0(VALU_DEP_1)
	v_cmpx_ne_u32_e32 0x7f800000, v14
	s_xor_b32 s41, exec_lo, s41
; %bb.3524:                             ;   in Loop: Header=BB8_3502 Depth=3
	v_bfe_u32 v14, v5, 16, 1
	s_delay_alu instid0(VALU_DEP_1)
	v_add3_u32 v16, v5, v14, 0x7fff
                                        ; implicit-def: $vgpr5
; %bb.3525:                             ;   in Loop: Header=BB8_3502 Depth=3
	s_and_not1_saveexec_b32 s41, s41
; %bb.3526:                             ;   in Loop: Header=BB8_3502 Depth=3
	v_and_b32_e32 v14, 0xffff, v5
	v_or_b32_e32 v16, 0x10000, v5
	s_delay_alu instid0(VALU_DEP_2) | instskip(NEXT) | instid1(VALU_DEP_2)
	v_cmp_eq_u32_e32 vcc_lo, 0, v14
	v_cndmask_b32_e32 v16, v16, v5, vcc_lo
; %bb.3527:                             ;   in Loop: Header=BB8_3502 Depth=3
	s_or_b32 exec_lo, exec_lo, s41
	v_lshlrev_b32_e32 v5, 16, v49
	s_delay_alu instid0(VALU_DEP_1) | instskip(NEXT) | instid1(VALU_DEP_1)
	v_mul_f32_e32 v5, v15, v5
	v_and_b32_e32 v14, 0x7f800000, v5
	s_delay_alu instid0(VALU_DEP_1) | instskip(SKIP_1) | instid1(SALU_CYCLE_1)
	v_cmp_ne_u32_e32 vcc_lo, 0x7f800000, v14
                                        ; implicit-def: $vgpr14
	s_and_saveexec_b32 s41, vcc_lo
	s_xor_b32 s41, exec_lo, s41
; %bb.3528:                             ;   in Loop: Header=BB8_3502 Depth=3
	v_bfe_u32 v14, v5, 16, 1
	s_delay_alu instid0(VALU_DEP_1)
	v_add3_u32 v14, v5, v14, 0x7fff
                                        ; implicit-def: $vgpr5
; %bb.3529:                             ;   in Loop: Header=BB8_3502 Depth=3
	s_and_not1_saveexec_b32 s41, s41
; %bb.3530:                             ;   in Loop: Header=BB8_3502 Depth=3
	v_and_b32_e32 v14, 0xffff, v5
	v_or_b32_e32 v49, 0x10000, v5
	s_delay_alu instid0(VALU_DEP_2) | instskip(NEXT) | instid1(VALU_DEP_2)
	v_cmp_eq_u32_e32 vcc_lo, 0, v14
	v_cndmask_b32_e32 v14, v49, v5, vcc_lo
; %bb.3531:                             ;   in Loop: Header=BB8_3502 Depth=3
	s_or_b32 exec_lo, exec_lo, s41
	v_lshlrev_b32_e32 v5, 16, v48
	s_delay_alu instid0(VALU_DEP_1) | instskip(NEXT) | instid1(VALU_DEP_1)
	v_mul_f32_e32 v15, v15, v5
	v_and_b32_e32 v5, 0x7f800000, v15
	s_delay_alu instid0(VALU_DEP_1) | instskip(SKIP_1) | instid1(SALU_CYCLE_1)
	v_cmp_ne_u32_e32 vcc_lo, 0x7f800000, v5
                                        ; implicit-def: $vgpr5
	s_and_saveexec_b32 s41, vcc_lo
	s_xor_b32 s41, exec_lo, s41
; %bb.3532:                             ;   in Loop: Header=BB8_3502 Depth=3
	v_bfe_u32 v5, v15, 16, 1
	s_delay_alu instid0(VALU_DEP_1)
	v_add3_u32 v5, v15, v5, 0x7fff
                                        ; implicit-def: $vgpr15
; %bb.3533:                             ;   in Loop: Header=BB8_3502 Depth=3
	s_and_not1_saveexec_b32 s41, s41
; %bb.3534:                             ;   in Loop: Header=BB8_3502 Depth=3
	v_and_b32_e32 v5, 0xffff, v15
	v_or_b32_e32 v48, 0x10000, v15
	s_delay_alu instid0(VALU_DEP_2) | instskip(NEXT) | instid1(VALU_DEP_2)
	v_cmp_eq_u32_e32 vcc_lo, 0, v5
	v_cndmask_b32_e32 v5, v48, v15, vcc_lo
; %bb.3535:                             ;   in Loop: Header=BB8_3502 Depth=3
	s_or_b32 exec_lo, exec_lo, s41
	v_and_b32_e32 v4, 0xffff0000, v4
	v_lshlrev_b32_e32 v15, 16, v21
	s_delay_alu instid0(VALU_DEP_1) | instskip(NEXT) | instid1(VALU_DEP_1)
	v_add_f32_e32 v15, v15, v4
	v_and_b32_e32 v4, 0x7f800000, v15
	s_delay_alu instid0(VALU_DEP_1) | instskip(SKIP_1) | instid1(SALU_CYCLE_1)
	v_cmp_ne_u32_e32 vcc_lo, 0x7f800000, v4
                                        ; implicit-def: $vgpr4
	s_and_saveexec_b32 s41, vcc_lo
	s_xor_b32 s41, exec_lo, s41
; %bb.3536:                             ;   in Loop: Header=BB8_3502 Depth=3
	v_bfe_u32 v4, v15, 16, 1
	s_delay_alu instid0(VALU_DEP_1)
	v_add3_u32 v4, v15, v4, 0x7fff
                                        ; implicit-def: $vgpr15
; %bb.3537:                             ;   in Loop: Header=BB8_3502 Depth=3
	s_and_not1_saveexec_b32 s41, s41
; %bb.3538:                             ;   in Loop: Header=BB8_3502 Depth=3
	v_and_b32_e32 v4, 0xffff, v15
	v_or_b32_e32 v48, 0x10000, v15
	s_delay_alu instid0(VALU_DEP_2) | instskip(NEXT) | instid1(VALU_DEP_2)
	v_cmp_eq_u32_e32 vcc_lo, 0, v4
	v_cndmask_b32_e32 v4, v48, v15, vcc_lo
; %bb.3539:                             ;   in Loop: Header=BB8_3502 Depth=3
	s_or_b32 exec_lo, exec_lo, s41
	v_and_b32_e32 v15, 0xffff0000, v52
	v_lshlrev_b32_e32 v48, 16, v22
	s_delay_alu instid0(VALU_DEP_1) | instskip(NEXT) | instid1(VALU_DEP_1)
	v_add_f32_e32 v48, v48, v15
	v_and_b32_e32 v15, 0x7f800000, v48
	s_delay_alu instid0(VALU_DEP_1) | instskip(SKIP_1) | instid1(SALU_CYCLE_1)
	v_cmp_ne_u32_e32 vcc_lo, 0x7f800000, v15
                                        ; implicit-def: $vgpr15
	s_and_saveexec_b32 s41, vcc_lo
	s_xor_b32 s41, exec_lo, s41
; %bb.3540:                             ;   in Loop: Header=BB8_3502 Depth=3
	v_bfe_u32 v15, v48, 16, 1
	s_delay_alu instid0(VALU_DEP_1)
	v_add3_u32 v15, v48, v15, 0x7fff
                                        ; implicit-def: $vgpr48
; %bb.3541:                             ;   in Loop: Header=BB8_3502 Depth=3
	s_and_not1_saveexec_b32 s41, s41
; %bb.3542:                             ;   in Loop: Header=BB8_3502 Depth=3
	v_and_b32_e32 v15, 0xffff, v48
	v_or_b32_e32 v49, 0x10000, v48
	s_delay_alu instid0(VALU_DEP_2) | instskip(NEXT) | instid1(VALU_DEP_2)
	v_cmp_eq_u32_e32 vcc_lo, 0, v15
	v_cndmask_b32_e32 v15, v49, v48, vcc_lo
; %bb.3543:                             ;   in Loop: Header=BB8_3502 Depth=3
	s_or_b32 exec_lo, exec_lo, s41
	v_and_b32_e32 v29, 0xffff0000, v29
	v_lshlrev_b32_e32 v48, 16, v23
	s_delay_alu instid0(VALU_DEP_1) | instskip(NEXT) | instid1(VALU_DEP_1)
	v_add_f32_e32 v48, v48, v29
	v_and_b32_e32 v29, 0x7f800000, v48
	s_delay_alu instid0(VALU_DEP_1) | instskip(SKIP_1) | instid1(SALU_CYCLE_1)
	v_cmp_ne_u32_e32 vcc_lo, 0x7f800000, v29
                                        ; implicit-def: $vgpr29
	s_and_saveexec_b32 s41, vcc_lo
	s_xor_b32 s41, exec_lo, s41
; %bb.3544:                             ;   in Loop: Header=BB8_3502 Depth=3
	v_bfe_u32 v29, v48, 16, 1
	s_delay_alu instid0(VALU_DEP_1)
	v_add3_u32 v29, v48, v29, 0x7fff
                                        ; implicit-def: $vgpr48
; %bb.3545:                             ;   in Loop: Header=BB8_3502 Depth=3
	s_and_not1_saveexec_b32 s41, s41
; %bb.3546:                             ;   in Loop: Header=BB8_3502 Depth=3
	v_and_b32_e32 v29, 0xffff, v48
	v_or_b32_e32 v49, 0x10000, v48
	s_delay_alu instid0(VALU_DEP_2) | instskip(NEXT) | instid1(VALU_DEP_2)
	v_cmp_eq_u32_e32 vcc_lo, 0, v29
	v_cndmask_b32_e32 v29, v49, v48, vcc_lo
; %bb.3547:                             ;   in Loop: Header=BB8_3502 Depth=3
	s_or_b32 exec_lo, exec_lo, s41
	v_and_b32_e32 v28, 0xffff0000, v28
	v_lshlrev_b32_e32 v48, 16, v24
	s_delay_alu instid0(VALU_DEP_1) | instskip(NEXT) | instid1(VALU_DEP_1)
	v_add_f32_e32 v48, v48, v28
	v_and_b32_e32 v28, 0x7f800000, v48
	s_delay_alu instid0(VALU_DEP_1) | instskip(SKIP_1) | instid1(SALU_CYCLE_1)
	v_cmp_ne_u32_e32 vcc_lo, 0x7f800000, v28
                                        ; implicit-def: $vgpr28
	s_and_saveexec_b32 s41, vcc_lo
	s_xor_b32 s41, exec_lo, s41
; %bb.3548:                             ;   in Loop: Header=BB8_3502 Depth=3
	v_bfe_u32 v28, v48, 16, 1
	s_delay_alu instid0(VALU_DEP_1)
	v_add3_u32 v28, v48, v28, 0x7fff
                                        ; implicit-def: $vgpr48
; %bb.3549:                             ;   in Loop: Header=BB8_3502 Depth=3
	s_and_not1_saveexec_b32 s41, s41
; %bb.3550:                             ;   in Loop: Header=BB8_3502 Depth=3
	v_and_b32_e32 v28, 0xffff, v48
	v_or_b32_e32 v49, 0x10000, v48
	s_delay_alu instid0(VALU_DEP_2) | instskip(NEXT) | instid1(VALU_DEP_2)
	v_cmp_eq_u32_e32 vcc_lo, 0, v28
	v_cndmask_b32_e32 v28, v49, v48, vcc_lo
; %bb.3551:                             ;   in Loop: Header=BB8_3502 Depth=3
	s_or_b32 exec_lo, exec_lo, s41
	v_and_b32_e32 v17, 0xffff0000, v17
	v_lshlrev_b32_e32 v48, 16, v25
	s_delay_alu instid0(VALU_DEP_1) | instskip(NEXT) | instid1(VALU_DEP_1)
	v_add_f32_e32 v48, v48, v17
	v_and_b32_e32 v17, 0x7f800000, v48
	s_delay_alu instid0(VALU_DEP_1) | instskip(SKIP_1) | instid1(SALU_CYCLE_1)
	v_cmp_ne_u32_e32 vcc_lo, 0x7f800000, v17
                                        ; implicit-def: $vgpr17
	s_and_saveexec_b32 s41, vcc_lo
	s_xor_b32 s41, exec_lo, s41
; %bb.3552:                             ;   in Loop: Header=BB8_3502 Depth=3
	v_bfe_u32 v17, v48, 16, 1
	s_delay_alu instid0(VALU_DEP_1)
	v_add3_u32 v17, v48, v17, 0x7fff
                                        ; implicit-def: $vgpr48
; %bb.3553:                             ;   in Loop: Header=BB8_3502 Depth=3
	s_and_not1_saveexec_b32 s41, s41
; %bb.3554:                             ;   in Loop: Header=BB8_3502 Depth=3
	v_and_b32_e32 v17, 0xffff, v48
	v_or_b32_e32 v49, 0x10000, v48
	s_delay_alu instid0(VALU_DEP_2) | instskip(NEXT) | instid1(VALU_DEP_2)
	v_cmp_eq_u32_e32 vcc_lo, 0, v17
	v_cndmask_b32_e32 v17, v49, v48, vcc_lo
; %bb.3555:                             ;   in Loop: Header=BB8_3502 Depth=3
	s_or_b32 exec_lo, exec_lo, s41
	v_and_b32_e32 v16, 0xffff0000, v16
	v_lshlrev_b32_e32 v48, 16, v26
	s_delay_alu instid0(VALU_DEP_1) | instskip(NEXT) | instid1(VALU_DEP_1)
	v_add_f32_e32 v48, v48, v16
	v_and_b32_e32 v16, 0x7f800000, v48
	s_delay_alu instid0(VALU_DEP_1) | instskip(SKIP_1) | instid1(SALU_CYCLE_1)
	v_cmp_ne_u32_e32 vcc_lo, 0x7f800000, v16
                                        ; implicit-def: $vgpr16
	s_and_saveexec_b32 s41, vcc_lo
	s_xor_b32 s41, exec_lo, s41
; %bb.3556:                             ;   in Loop: Header=BB8_3502 Depth=3
	v_bfe_u32 v16, v48, 16, 1
	s_delay_alu instid0(VALU_DEP_1)
	v_add3_u32 v16, v48, v16, 0x7fff
                                        ; implicit-def: $vgpr48
; %bb.3557:                             ;   in Loop: Header=BB8_3502 Depth=3
	s_and_not1_saveexec_b32 s41, s41
; %bb.3558:                             ;   in Loop: Header=BB8_3502 Depth=3
	v_and_b32_e32 v16, 0xffff, v48
	v_or_b32_e32 v49, 0x10000, v48
	s_delay_alu instid0(VALU_DEP_2) | instskip(NEXT) | instid1(VALU_DEP_2)
	v_cmp_eq_u32_e32 vcc_lo, 0, v16
	v_cndmask_b32_e32 v16, v49, v48, vcc_lo
; %bb.3559:                             ;   in Loop: Header=BB8_3502 Depth=3
	s_or_b32 exec_lo, exec_lo, s41
	v_and_b32_e32 v14, 0xffff0000, v14
	v_lshlrev_b32_e32 v48, 16, v27
	s_delay_alu instid0(VALU_DEP_1) | instskip(NEXT) | instid1(VALU_DEP_1)
	v_add_f32_e32 v48, v48, v14
	v_and_b32_e32 v14, 0x7f800000, v48
	s_delay_alu instid0(VALU_DEP_1) | instskip(SKIP_1) | instid1(SALU_CYCLE_1)
	v_cmp_ne_u32_e32 vcc_lo, 0x7f800000, v14
                                        ; implicit-def: $vgpr14
	s_and_saveexec_b32 s41, vcc_lo
	s_xor_b32 s41, exec_lo, s41
; %bb.3560:                             ;   in Loop: Header=BB8_3502 Depth=3
	v_bfe_u32 v14, v48, 16, 1
	s_delay_alu instid0(VALU_DEP_1)
	v_add3_u32 v14, v48, v14, 0x7fff
                                        ; implicit-def: $vgpr48
; %bb.3561:                             ;   in Loop: Header=BB8_3502 Depth=3
	s_and_not1_saveexec_b32 s41, s41
; %bb.3562:                             ;   in Loop: Header=BB8_3502 Depth=3
	v_and_b32_e32 v14, 0xffff, v48
	v_or_b32_e32 v49, 0x10000, v48
	s_delay_alu instid0(VALU_DEP_2) | instskip(NEXT) | instid1(VALU_DEP_2)
	v_cmp_eq_u32_e32 vcc_lo, 0, v14
	v_cndmask_b32_e32 v14, v49, v48, vcc_lo
; %bb.3563:                             ;   in Loop: Header=BB8_3502 Depth=3
	s_or_b32 exec_lo, exec_lo, s41
	v_and_b32_e32 v5, 0xffff0000, v5
	v_lshlrev_b32_e32 v48, 16, v32
	s_delay_alu instid0(VALU_DEP_1) | instskip(NEXT) | instid1(VALU_DEP_1)
	v_add_f32_e32 v48, v48, v5
	v_and_b32_e32 v5, 0x7f800000, v48
	s_delay_alu instid0(VALU_DEP_1) | instskip(SKIP_1) | instid1(SALU_CYCLE_1)
	v_cmp_ne_u32_e32 vcc_lo, 0x7f800000, v5
                                        ; implicit-def: $vgpr5
	s_and_saveexec_b32 s41, vcc_lo
	s_xor_b32 s41, exec_lo, s41
; %bb.3564:                             ;   in Loop: Header=BB8_3502 Depth=3
	v_bfe_u32 v5, v48, 16, 1
	s_delay_alu instid0(VALU_DEP_1)
	v_add3_u32 v5, v48, v5, 0x7fff
                                        ; implicit-def: $vgpr48
; %bb.3565:                             ;   in Loop: Header=BB8_3502 Depth=3
	s_and_not1_saveexec_b32 s41, s41
; %bb.3566:                             ;   in Loop: Header=BB8_3502 Depth=3
	v_and_b32_e32 v5, 0xffff, v48
	v_or_b32_e32 v49, 0x10000, v48
	s_delay_alu instid0(VALU_DEP_2) | instskip(NEXT) | instid1(VALU_DEP_2)
	v_cmp_eq_u32_e32 vcc_lo, 0, v5
	v_cndmask_b32_e32 v5, v49, v48, vcc_lo
; %bb.3567:                             ;   in Loop: Header=BB8_3502 Depth=3
	s_or_b32 exec_lo, exec_lo, s41
	v_dual_lshrrev_b32 v90, 16, v17 :: v_dual_lshrrev_b32 v105, 16, v4
	v_dual_lshrrev_b32 v52, 16, v15 :: v_dual_lshrrev_b32 v95, 16, v29
	s_delay_alu instid0(VALU_DEP_3)
	v_dual_lshrrev_b32 v93, 16, v28 :: v_dual_lshrrev_b32 v48, 16, v5
	v_dual_lshrrev_b32 v49, 16, v14 :: v_dual_lshrrev_b32 v51, 16, v16
	s_clause 0x7
	flat_store_b16 v[8:9], v105 th:TH_STORE_NT
	flat_store_b16 v[8:9], v52 offset:64 th:TH_STORE_NT
	flat_store_b16 v[8:9], v95 offset:128 th:TH_STORE_NT
	;; [unrolled: 1-line block ×7, first 2 shown]
	s_wait_xcnt 0x0
	v_add_nc_u64_e32 v[8:9], v[8:9], v[44:45]
.LBB8_3568:                             ;   in Loop: Header=BB8_3502 Depth=3
	s_or_b32 exec_lo, exec_lo, s76
	v_sub_nc_u32_e32 v28, v33, v84
	v_add_nc_u64_e32 v[10:11], v[10:11], v[44:45]
	v_add_nc_u64_e32 v[12:13], v[12:13], v[44:45]
	s_delay_alu instid0(VALU_DEP_3)
	v_cmp_lt_i32_e64 s41, 0, v28
	s_and_saveexec_b32 s76, s41
	s_cbranch_execz .LBB8_3570
; %bb.3569:                             ;   in Loop: Header=BB8_3502 Depth=3
	s_clause 0x7
	flat_load_u16 v105, v[10:11] th:TH_LOAD_NT
	flat_load_u16 v52, v[10:11] offset:64 th:TH_LOAD_NT
	flat_load_u16 v95, v[10:11] offset:128 th:TH_LOAD_NT
	;; [unrolled: 1-line block ×7, first 2 shown]
	s_clause 0x7
	flat_load_u16 v21, v[12:13] th:TH_LOAD_NT
	flat_load_u16 v22, v[12:13] offset:64 th:TH_LOAD_NT
	flat_load_u16 v23, v[12:13] offset:128 th:TH_LOAD_NT
	;; [unrolled: 1-line block ×7, first 2 shown]
	s_wait_xcnt 0x8
	v_add_nc_u64_e32 v[10:11], 0x200, v[10:11]
	s_wait_xcnt 0x0
	v_add_nc_u64_e32 v[12:13], 0x200, v[12:13]
.LBB8_3570:                             ;   in Loop: Header=BB8_3502 Depth=3
	s_or_b32 exec_lo, exec_lo, s76
	s_trap 2
	ds_load_b32 v4, v0
	s_wait_loadcnt_dscnt 0xf00
	v_dual_lshlrev_b32 v14, 16, v55 :: v_dual_lshlrev_b32 v15, 16, v4
	s_delay_alu instid0(VALU_DEP_1) | instskip(NEXT) | instid1(VALU_DEP_1)
	v_mov_b32_e32 v4, v15
	v_pk_mul_f32 v[16:17], v[4:5], v[14:15]
	s_delay_alu instid0(VALU_DEP_1) | instskip(NEXT) | instid1(VALU_DEP_1)
	v_and_b32_e32 v4, 0x7f800000, v16
	v_cmp_ne_u32_e32 vcc_lo, 0x7f800000, v4
                                        ; implicit-def: $vgpr4
	s_and_saveexec_b32 s76, vcc_lo
	s_delay_alu instid0(SALU_CYCLE_1)
	s_xor_b32 s76, exec_lo, s76
; %bb.3571:                             ;   in Loop: Header=BB8_3502 Depth=3
	v_bfe_u32 v4, v16, 16, 1
	s_delay_alu instid0(VALU_DEP_1)
	v_add3_u32 v4, v16, v4, 0x7fff
                                        ; implicit-def: $vgpr16_vgpr17
; %bb.3572:                             ;   in Loop: Header=BB8_3502 Depth=3
	s_and_not1_saveexec_b32 s76, s76
; %bb.3573:                             ;   in Loop: Header=BB8_3502 Depth=3
	v_and_b32_e32 v4, 0xffff, v16
	v_or_b32_e32 v5, 0x10000, v16
	s_delay_alu instid0(VALU_DEP_2) | instskip(NEXT) | instid1(VALU_DEP_2)
	v_cmp_eq_u32_e32 vcc_lo, 0, v4
	v_cndmask_b32_e32 v4, v5, v16, vcc_lo
; %bb.3574:                             ;   in Loop: Header=BB8_3502 Depth=3
	s_or_b32 exec_lo, exec_lo, s76
	s_wait_loadcnt 0xe
	v_lshlrev_b32_e32 v5, 16, v54
	s_mov_b32 s76, exec_lo
                                        ; implicit-def: $vgpr54
	s_delay_alu instid0(VALU_DEP_1) | instskip(NEXT) | instid1(VALU_DEP_1)
	v_mul_f32_e32 v5, v15, v5
	v_and_b32_e32 v14, 0x7f800000, v5
	s_delay_alu instid0(VALU_DEP_1)
	v_cmpx_ne_u32_e32 0x7f800000, v14
	s_xor_b32 s76, exec_lo, s76
; %bb.3575:                             ;   in Loop: Header=BB8_3502 Depth=3
	v_bfe_u32 v14, v5, 16, 1
	s_delay_alu instid0(VALU_DEP_1)
	v_add3_u32 v54, v5, v14, 0x7fff
                                        ; implicit-def: $vgpr5
; %bb.3576:                             ;   in Loop: Header=BB8_3502 Depth=3
	s_and_not1_saveexec_b32 s76, s76
; %bb.3577:                             ;   in Loop: Header=BB8_3502 Depth=3
	v_and_b32_e32 v14, 0xffff, v5
	v_or_b32_e32 v16, 0x10000, v5
	s_delay_alu instid0(VALU_DEP_2) | instskip(NEXT) | instid1(VALU_DEP_2)
	v_cmp_eq_u32_e32 vcc_lo, 0, v14
	v_cndmask_b32_e32 v54, v16, v5, vcc_lo
; %bb.3578:                             ;   in Loop: Header=BB8_3502 Depth=3
	s_or_b32 exec_lo, exec_lo, s76
	s_wait_loadcnt 0xd
	v_lshlrev_b32_e32 v5, 16, v106
	s_mov_b32 s76, exec_lo
                                        ; implicit-def: $vgpr33
	s_delay_alu instid0(VALU_DEP_1) | instskip(NEXT) | instid1(VALU_DEP_1)
	v_mul_f32_e32 v5, v15, v5
	v_and_b32_e32 v14, 0x7f800000, v5
	s_delay_alu instid0(VALU_DEP_1)
	v_cmpx_ne_u32_e32 0x7f800000, v14
	s_xor_b32 s76, exec_lo, s76
; %bb.3579:                             ;   in Loop: Header=BB8_3502 Depth=3
	v_bfe_u32 v14, v5, 16, 1
	s_delay_alu instid0(VALU_DEP_1)
	v_add3_u32 v33, v5, v14, 0x7fff
                                        ; implicit-def: $vgpr5
; %bb.3580:                             ;   in Loop: Header=BB8_3502 Depth=3
	s_and_not1_saveexec_b32 s76, s76
; %bb.3581:                             ;   in Loop: Header=BB8_3502 Depth=3
	v_and_b32_e32 v14, 0xffff, v5
	v_or_b32_e32 v16, 0x10000, v5
	s_delay_alu instid0(VALU_DEP_2) | instskip(NEXT) | instid1(VALU_DEP_2)
	v_cmp_eq_u32_e32 vcc_lo, 0, v14
	v_cndmask_b32_e32 v33, v16, v5, vcc_lo
; %bb.3582:                             ;   in Loop: Header=BB8_3502 Depth=3
	s_or_b32 exec_lo, exec_lo, s76
	s_wait_loadcnt 0xc
	v_lshlrev_b32_e32 v5, 16, v53
	s_mov_b32 s76, exec_lo
                                        ; implicit-def: $vgpr29
	s_delay_alu instid0(VALU_DEP_1) | instskip(NEXT) | instid1(VALU_DEP_1)
	v_mul_f32_e32 v5, v15, v5
	v_and_b32_e32 v14, 0x7f800000, v5
	s_delay_alu instid0(VALU_DEP_1)
	v_cmpx_ne_u32_e32 0x7f800000, v14
	s_xor_b32 s76, exec_lo, s76
; %bb.3583:                             ;   in Loop: Header=BB8_3502 Depth=3
	v_bfe_u32 v14, v5, 16, 1
	s_delay_alu instid0(VALU_DEP_1)
	v_add3_u32 v29, v5, v14, 0x7fff
                                        ; implicit-def: $vgpr5
; %bb.3584:                             ;   in Loop: Header=BB8_3502 Depth=3
	s_and_not1_saveexec_b32 s76, s76
; %bb.3585:                             ;   in Loop: Header=BB8_3502 Depth=3
	v_and_b32_e32 v14, 0xffff, v5
	v_or_b32_e32 v16, 0x10000, v5
	s_delay_alu instid0(VALU_DEP_2) | instskip(NEXT) | instid1(VALU_DEP_2)
	v_cmp_eq_u32_e32 vcc_lo, 0, v14
	v_cndmask_b32_e32 v29, v16, v5, vcc_lo
; %bb.3586:                             ;   in Loop: Header=BB8_3502 Depth=3
	s_or_b32 exec_lo, exec_lo, s76
	s_wait_loadcnt 0xb
	v_lshlrev_b32_e32 v5, 16, v104
	s_mov_b32 s76, exec_lo
                                        ; implicit-def: $vgpr17
	s_delay_alu instid0(VALU_DEP_1) | instskip(NEXT) | instid1(VALU_DEP_1)
	v_mul_f32_e32 v5, v15, v5
	v_and_b32_e32 v14, 0x7f800000, v5
	s_delay_alu instid0(VALU_DEP_1)
	v_cmpx_ne_u32_e32 0x7f800000, v14
	s_xor_b32 s76, exec_lo, s76
; %bb.3587:                             ;   in Loop: Header=BB8_3502 Depth=3
	v_bfe_u32 v14, v5, 16, 1
	s_delay_alu instid0(VALU_DEP_1)
	v_add3_u32 v17, v5, v14, 0x7fff
                                        ; implicit-def: $vgpr5
; %bb.3588:                             ;   in Loop: Header=BB8_3502 Depth=3
	s_and_not1_saveexec_b32 s76, s76
; %bb.3589:                             ;   in Loop: Header=BB8_3502 Depth=3
	v_and_b32_e32 v14, 0xffff, v5
	v_or_b32_e32 v16, 0x10000, v5
	s_delay_alu instid0(VALU_DEP_2) | instskip(NEXT) | instid1(VALU_DEP_2)
	v_cmp_eq_u32_e32 vcc_lo, 0, v14
	v_cndmask_b32_e32 v17, v16, v5, vcc_lo
; %bb.3590:                             ;   in Loop: Header=BB8_3502 Depth=3
	s_or_b32 exec_lo, exec_lo, s76
	s_wait_loadcnt 0xa
	v_lshlrev_b32_e32 v5, 16, v94
	s_mov_b32 s76, exec_lo
                                        ; implicit-def: $vgpr16
	s_delay_alu instid0(VALU_DEP_1) | instskip(NEXT) | instid1(VALU_DEP_1)
	v_mul_f32_e32 v5, v15, v5
	v_and_b32_e32 v14, 0x7f800000, v5
	s_delay_alu instid0(VALU_DEP_1)
	v_cmpx_ne_u32_e32 0x7f800000, v14
	s_xor_b32 s76, exec_lo, s76
; %bb.3591:                             ;   in Loop: Header=BB8_3502 Depth=3
	v_bfe_u32 v14, v5, 16, 1
	s_delay_alu instid0(VALU_DEP_1)
	v_add3_u32 v16, v5, v14, 0x7fff
                                        ; implicit-def: $vgpr5
; %bb.3592:                             ;   in Loop: Header=BB8_3502 Depth=3
	s_and_not1_saveexec_b32 s76, s76
; %bb.3593:                             ;   in Loop: Header=BB8_3502 Depth=3
	v_and_b32_e32 v14, 0xffff, v5
	v_or_b32_e32 v16, 0x10000, v5
	s_delay_alu instid0(VALU_DEP_2) | instskip(NEXT) | instid1(VALU_DEP_2)
	v_cmp_eq_u32_e32 vcc_lo, 0, v14
	v_cndmask_b32_e32 v16, v16, v5, vcc_lo
; %bb.3594:                             ;   in Loop: Header=BB8_3502 Depth=3
	s_or_b32 exec_lo, exec_lo, s76
	s_wait_loadcnt 0x9
	v_lshlrev_b32_e32 v5, 16, v92
	s_delay_alu instid0(VALU_DEP_1) | instskip(NEXT) | instid1(VALU_DEP_1)
	v_mul_f32_e32 v5, v15, v5
	v_and_b32_e32 v14, 0x7f800000, v5
	s_delay_alu instid0(VALU_DEP_1) | instskip(SKIP_1) | instid1(SALU_CYCLE_1)
	v_cmp_ne_u32_e32 vcc_lo, 0x7f800000, v14
                                        ; implicit-def: $vgpr14
	s_and_saveexec_b32 s76, vcc_lo
	s_xor_b32 s76, exec_lo, s76
; %bb.3595:                             ;   in Loop: Header=BB8_3502 Depth=3
	v_bfe_u32 v14, v5, 16, 1
	s_delay_alu instid0(VALU_DEP_1)
	v_add3_u32 v14, v5, v14, 0x7fff
                                        ; implicit-def: $vgpr5
; %bb.3596:                             ;   in Loop: Header=BB8_3502 Depth=3
	s_and_not1_saveexec_b32 s76, s76
; %bb.3597:                             ;   in Loop: Header=BB8_3502 Depth=3
	v_and_b32_e32 v14, 0xffff, v5
	v_or_b32_e32 v53, 0x10000, v5
	s_delay_alu instid0(VALU_DEP_2) | instskip(NEXT) | instid1(VALU_DEP_2)
	v_cmp_eq_u32_e32 vcc_lo, 0, v14
	v_cndmask_b32_e32 v14, v53, v5, vcc_lo
; %bb.3598:                             ;   in Loop: Header=BB8_3502 Depth=3
	s_or_b32 exec_lo, exec_lo, s76
	s_wait_loadcnt 0x8
	v_lshlrev_b32_e32 v5, 16, v91
	s_delay_alu instid0(VALU_DEP_1) | instskip(NEXT) | instid1(VALU_DEP_1)
	v_mul_f32_e32 v15, v15, v5
	v_and_b32_e32 v5, 0x7f800000, v15
	s_delay_alu instid0(VALU_DEP_1) | instskip(SKIP_1) | instid1(SALU_CYCLE_1)
	v_cmp_ne_u32_e32 vcc_lo, 0x7f800000, v5
                                        ; implicit-def: $vgpr5
	s_and_saveexec_b32 s76, vcc_lo
	s_xor_b32 s76, exec_lo, s76
; %bb.3599:                             ;   in Loop: Header=BB8_3502 Depth=3
	v_bfe_u32 v5, v15, 16, 1
	s_delay_alu instid0(VALU_DEP_1)
	v_add3_u32 v5, v15, v5, 0x7fff
                                        ; implicit-def: $vgpr15
; %bb.3600:                             ;   in Loop: Header=BB8_3502 Depth=3
	s_and_not1_saveexec_b32 s76, s76
; %bb.3601:                             ;   in Loop: Header=BB8_3502 Depth=3
	v_and_b32_e32 v5, 0xffff, v15
	v_or_b32_e32 v53, 0x10000, v15
	s_delay_alu instid0(VALU_DEP_2) | instskip(NEXT) | instid1(VALU_DEP_2)
	v_cmp_eq_u32_e32 vcc_lo, 0, v5
	v_cndmask_b32_e32 v5, v53, v15, vcc_lo
; %bb.3602:                             ;   in Loop: Header=BB8_3502 Depth=3
	s_or_b32 exec_lo, exec_lo, s76
	v_and_b32_e32 v4, 0xffff0000, v4
	s_wait_loadcnt 0x7
	v_lshlrev_b32_e32 v15, 16, v75
	s_delay_alu instid0(VALU_DEP_1) | instskip(NEXT) | instid1(VALU_DEP_1)
	v_add_f32_e32 v15, v15, v4
	v_and_b32_e32 v4, 0x7f800000, v15
	s_delay_alu instid0(VALU_DEP_1) | instskip(SKIP_1) | instid1(SALU_CYCLE_1)
	v_cmp_ne_u32_e32 vcc_lo, 0x7f800000, v4
                                        ; implicit-def: $vgpr4
	s_and_saveexec_b32 s76, vcc_lo
	s_xor_b32 s76, exec_lo, s76
; %bb.3603:                             ;   in Loop: Header=BB8_3502 Depth=3
	v_bfe_u32 v4, v15, 16, 1
	s_delay_alu instid0(VALU_DEP_1)
	v_add3_u32 v4, v15, v4, 0x7fff
                                        ; implicit-def: $vgpr15
; %bb.3604:                             ;   in Loop: Header=BB8_3502 Depth=3
	s_and_not1_saveexec_b32 s76, s76
; %bb.3605:                             ;   in Loop: Header=BB8_3502 Depth=3
	v_and_b32_e32 v4, 0xffff, v15
	v_or_b32_e32 v53, 0x10000, v15
	s_delay_alu instid0(VALU_DEP_2) | instskip(NEXT) | instid1(VALU_DEP_2)
	v_cmp_eq_u32_e32 vcc_lo, 0, v4
	v_cndmask_b32_e32 v4, v53, v15, vcc_lo
; %bb.3606:                             ;   in Loop: Header=BB8_3502 Depth=3
	s_or_b32 exec_lo, exec_lo, s76
	v_and_b32_e32 v15, 0xffff0000, v54
	s_wait_loadcnt 0x6
	v_lshlrev_b32_e32 v50, 16, v50
	s_delay_alu instid0(VALU_DEP_1) | instskip(NEXT) | instid1(VALU_DEP_1)
	v_add_f32_e32 v50, v50, v15
	v_and_b32_e32 v15, 0x7f800000, v50
	s_delay_alu instid0(VALU_DEP_1) | instskip(SKIP_1) | instid1(SALU_CYCLE_1)
	v_cmp_ne_u32_e32 vcc_lo, 0x7f800000, v15
                                        ; implicit-def: $vgpr15
	s_and_saveexec_b32 s76, vcc_lo
	s_xor_b32 s76, exec_lo, s76
; %bb.3607:                             ;   in Loop: Header=BB8_3502 Depth=3
	v_bfe_u32 v15, v50, 16, 1
	s_delay_alu instid0(VALU_DEP_1)
	v_add3_u32 v15, v50, v15, 0x7fff
                                        ; implicit-def: $vgpr50
; %bb.3608:                             ;   in Loop: Header=BB8_3502 Depth=3
	s_and_not1_saveexec_b32 s76, s76
; %bb.3609:                             ;   in Loop: Header=BB8_3502 Depth=3
	v_and_b32_e32 v15, 0xffff, v50
	v_or_b32_e32 v53, 0x10000, v50
	s_delay_alu instid0(VALU_DEP_2) | instskip(NEXT) | instid1(VALU_DEP_2)
	v_cmp_eq_u32_e32 vcc_lo, 0, v15
	v_cndmask_b32_e32 v15, v53, v50, vcc_lo
; %bb.3610:                             ;   in Loop: Header=BB8_3502 Depth=3
	s_or_b32 exec_lo, exec_lo, s76
	v_and_b32_e32 v33, 0xffff0000, v33
	s_wait_loadcnt 0x5
	v_lshlrev_b32_e32 v39, 16, v39
	s_delay_alu instid0(VALU_DEP_1) | instskip(NEXT) | instid1(VALU_DEP_1)
	v_add_f32_e32 v33, v39, v33
	v_and_b32_e32 v39, 0x7f800000, v33
	s_delay_alu instid0(VALU_DEP_1) | instskip(SKIP_1) | instid1(SALU_CYCLE_1)
	v_cmp_ne_u32_e32 vcc_lo, 0x7f800000, v39
                                        ; implicit-def: $vgpr39
	s_and_saveexec_b32 s76, vcc_lo
	s_xor_b32 s76, exec_lo, s76
; %bb.3611:                             ;   in Loop: Header=BB8_3502 Depth=3
	v_bfe_u32 v39, v33, 16, 1
	s_delay_alu instid0(VALU_DEP_1)
	v_add3_u32 v39, v33, v39, 0x7fff
                                        ; implicit-def: $vgpr33
; %bb.3612:                             ;   in Loop: Header=BB8_3502 Depth=3
	s_and_not1_saveexec_b32 s76, s76
; %bb.3613:                             ;   in Loop: Header=BB8_3502 Depth=3
	v_and_b32_e32 v39, 0xffff, v33
	v_or_b32_e32 v50, 0x10000, v33
	s_delay_alu instid0(VALU_DEP_2) | instskip(NEXT) | instid1(VALU_DEP_2)
	v_cmp_eq_u32_e32 vcc_lo, 0, v39
	v_cndmask_b32_e32 v39, v50, v33, vcc_lo
; %bb.3614:                             ;   in Loop: Header=BB8_3502 Depth=3
	s_or_b32 exec_lo, exec_lo, s76
	v_and_b32_e32 v29, 0xffff0000, v29
	s_wait_loadcnt 0x4
	v_lshlrev_b32_e32 v33, 16, v38
	s_delay_alu instid0(VALU_DEP_1) | instskip(NEXT) | instid1(VALU_DEP_1)
	v_add_f32_e32 v33, v33, v29
	v_and_b32_e32 v29, 0x7f800000, v33
	s_delay_alu instid0(VALU_DEP_1) | instskip(SKIP_1) | instid1(SALU_CYCLE_1)
	v_cmp_ne_u32_e32 vcc_lo, 0x7f800000, v29
                                        ; implicit-def: $vgpr29
	s_and_saveexec_b32 s76, vcc_lo
	s_xor_b32 s76, exec_lo, s76
; %bb.3615:                             ;   in Loop: Header=BB8_3502 Depth=3
	v_bfe_u32 v29, v33, 16, 1
	s_delay_alu instid0(VALU_DEP_1)
	v_add3_u32 v29, v33, v29, 0x7fff
                                        ; implicit-def: $vgpr33
; %bb.3616:                             ;   in Loop: Header=BB8_3502 Depth=3
	s_and_not1_saveexec_b32 s76, s76
; %bb.3617:                             ;   in Loop: Header=BB8_3502 Depth=3
	v_and_b32_e32 v29, 0xffff, v33
	v_or_b32_e32 v38, 0x10000, v33
	s_delay_alu instid0(VALU_DEP_2) | instskip(NEXT) | instid1(VALU_DEP_2)
	v_cmp_eq_u32_e32 vcc_lo, 0, v29
	v_cndmask_b32_e32 v29, v38, v33, vcc_lo
; %bb.3618:                             ;   in Loop: Header=BB8_3502 Depth=3
	s_or_b32 exec_lo, exec_lo, s76
	v_and_b32_e32 v17, 0xffff0000, v17
	s_wait_loadcnt 0x3
	v_lshlrev_b32_e32 v33, 16, v37
	s_delay_alu instid0(VALU_DEP_1) | instskip(NEXT) | instid1(VALU_DEP_1)
	v_add_f32_e32 v33, v33, v17
	v_and_b32_e32 v17, 0x7f800000, v33
	s_delay_alu instid0(VALU_DEP_1) | instskip(SKIP_1) | instid1(SALU_CYCLE_1)
	v_cmp_ne_u32_e32 vcc_lo, 0x7f800000, v17
                                        ; implicit-def: $vgpr17
	s_and_saveexec_b32 s76, vcc_lo
	s_xor_b32 s76, exec_lo, s76
; %bb.3619:                             ;   in Loop: Header=BB8_3502 Depth=3
	v_bfe_u32 v17, v33, 16, 1
	s_delay_alu instid0(VALU_DEP_1)
	v_add3_u32 v17, v33, v17, 0x7fff
                                        ; implicit-def: $vgpr33
; %bb.3620:                             ;   in Loop: Header=BB8_3502 Depth=3
	s_and_not1_saveexec_b32 s76, s76
; %bb.3621:                             ;   in Loop: Header=BB8_3502 Depth=3
	v_and_b32_e32 v17, 0xffff, v33
	v_or_b32_e32 v37, 0x10000, v33
	s_delay_alu instid0(VALU_DEP_2) | instskip(NEXT) | instid1(VALU_DEP_2)
	v_cmp_eq_u32_e32 vcc_lo, 0, v17
	v_cndmask_b32_e32 v17, v37, v33, vcc_lo
; %bb.3622:                             ;   in Loop: Header=BB8_3502 Depth=3
	s_or_b32 exec_lo, exec_lo, s76
	v_and_b32_e32 v16, 0xffff0000, v16
	s_wait_loadcnt 0x2
	v_lshlrev_b32_e32 v33, 16, v36
	s_delay_alu instid0(VALU_DEP_1) | instskip(NEXT) | instid1(VALU_DEP_1)
	v_add_f32_e32 v33, v33, v16
	v_and_b32_e32 v16, 0x7f800000, v33
	s_delay_alu instid0(VALU_DEP_1) | instskip(SKIP_1) | instid1(SALU_CYCLE_1)
	v_cmp_ne_u32_e32 vcc_lo, 0x7f800000, v16
                                        ; implicit-def: $vgpr16
	s_and_saveexec_b32 s76, vcc_lo
	s_xor_b32 s76, exec_lo, s76
; %bb.3623:                             ;   in Loop: Header=BB8_3502 Depth=3
	v_bfe_u32 v16, v33, 16, 1
	s_delay_alu instid0(VALU_DEP_1)
	v_add3_u32 v16, v33, v16, 0x7fff
                                        ; implicit-def: $vgpr33
; %bb.3624:                             ;   in Loop: Header=BB8_3502 Depth=3
	s_and_not1_saveexec_b32 s76, s76
; %bb.3625:                             ;   in Loop: Header=BB8_3502 Depth=3
	v_and_b32_e32 v16, 0xffff, v33
	v_or_b32_e32 v36, 0x10000, v33
	s_delay_alu instid0(VALU_DEP_2) | instskip(NEXT) | instid1(VALU_DEP_2)
	v_cmp_eq_u32_e32 vcc_lo, 0, v16
	v_cndmask_b32_e32 v16, v36, v33, vcc_lo
; %bb.3626:                             ;   in Loop: Header=BB8_3502 Depth=3
	s_or_b32 exec_lo, exec_lo, s76
	v_and_b32_e32 v14, 0xffff0000, v14
	s_wait_loadcnt 0x1
	v_lshlrev_b32_e32 v33, 16, v35
	s_delay_alu instid0(VALU_DEP_1) | instskip(NEXT) | instid1(VALU_DEP_1)
	v_add_f32_e32 v33, v33, v14
	v_and_b32_e32 v14, 0x7f800000, v33
	s_delay_alu instid0(VALU_DEP_1) | instskip(SKIP_1) | instid1(SALU_CYCLE_1)
	v_cmp_ne_u32_e32 vcc_lo, 0x7f800000, v14
                                        ; implicit-def: $vgpr14
	s_and_saveexec_b32 s76, vcc_lo
	s_xor_b32 s76, exec_lo, s76
; %bb.3627:                             ;   in Loop: Header=BB8_3502 Depth=3
	v_bfe_u32 v14, v33, 16, 1
	s_delay_alu instid0(VALU_DEP_1)
	v_add3_u32 v14, v33, v14, 0x7fff
                                        ; implicit-def: $vgpr33
; %bb.3628:                             ;   in Loop: Header=BB8_3502 Depth=3
	s_and_not1_saveexec_b32 s76, s76
; %bb.3629:                             ;   in Loop: Header=BB8_3502 Depth=3
	v_and_b32_e32 v14, 0xffff, v33
	v_or_b32_e32 v35, 0x10000, v33
	s_delay_alu instid0(VALU_DEP_2) | instskip(NEXT) | instid1(VALU_DEP_2)
	v_cmp_eq_u32_e32 vcc_lo, 0, v14
	v_cndmask_b32_e32 v14, v35, v33, vcc_lo
; %bb.3630:                             ;   in Loop: Header=BB8_3502 Depth=3
	s_or_b32 exec_lo, exec_lo, s76
	v_and_b32_e32 v5, 0xffff0000, v5
	s_wait_loadcnt 0x0
	v_lshlrev_b32_e32 v33, 16, v34
	s_delay_alu instid0(VALU_DEP_1) | instskip(NEXT) | instid1(VALU_DEP_1)
	v_add_f32_e32 v33, v33, v5
	v_and_b32_e32 v5, 0x7f800000, v33
	s_delay_alu instid0(VALU_DEP_1) | instskip(SKIP_1) | instid1(SALU_CYCLE_1)
	v_cmp_ne_u32_e32 vcc_lo, 0x7f800000, v5
                                        ; implicit-def: $vgpr5
	s_and_saveexec_b32 s76, vcc_lo
	s_xor_b32 s76, exec_lo, s76
; %bb.3631:                             ;   in Loop: Header=BB8_3502 Depth=3
	v_bfe_u32 v5, v33, 16, 1
	s_delay_alu instid0(VALU_DEP_1)
	v_add3_u32 v5, v33, v5, 0x7fff
                                        ; implicit-def: $vgpr33
; %bb.3632:                             ;   in Loop: Header=BB8_3502 Depth=3
	s_and_not1_saveexec_b32 s76, s76
	s_cbranch_execz .LBB8_3501
; %bb.3633:                             ;   in Loop: Header=BB8_3502 Depth=3
	v_and_b32_e32 v5, 0xffff, v33
	v_or_b32_e32 v34, 0x10000, v33
	s_delay_alu instid0(VALU_DEP_2) | instskip(NEXT) | instid1(VALU_DEP_2)
	v_cmp_eq_u32_e32 vcc_lo, 0, v5
	v_cndmask_b32_e32 v5, v34, v33, vcc_lo
	s_branch .LBB8_3501
.LBB8_3634:                             ;   in Loop: Header=BB8_1943 Depth=2
	s_or_b32 exec_lo, exec_lo, s40
	v_dual_lshlrev_b32 v39, 16, v105 :: v_dual_lshlrev_b32 v38, 16, v52
	v_dual_lshlrev_b32 v37, 16, v95 :: v_dual_lshlrev_b32 v36, 16, v93
	;; [unrolled: 1-line block ×8, first 2 shown]
	s_and_b32 s14, s14, exec_lo
.LBB8_3635:                             ;   in Loop: Header=BB8_1943 Depth=2
	s_or_b32 exec_lo, exec_lo, s13
	s_and_saveexec_b32 s13, s14
	s_cbranch_execz .LBB8_3701
; %bb.3636:                             ;   in Loop: Header=BB8_1943 Depth=2
	s_trap 2
	ds_load_b32 v12, v0
	s_wait_dscnt 0x0
	v_lshlrev_b32_e32 v12, 16, v12
	s_delay_alu instid0(VALU_DEP_1) | instskip(NEXT) | instid1(VALU_DEP_1)
	v_mul_f32_e32 v21, v39, v12
	v_and_b32_e32 v13, 0x7f800000, v21
	s_delay_alu instid0(VALU_DEP_1) | instskip(SKIP_1) | instid1(SALU_CYCLE_1)
	v_cmp_ne_u32_e32 vcc_lo, 0x7f800000, v13
                                        ; implicit-def: $vgpr13
	s_and_saveexec_b32 s14, vcc_lo
	s_xor_b32 s14, exec_lo, s14
; %bb.3637:                             ;   in Loop: Header=BB8_1943 Depth=2
	v_bfe_u32 v13, v21, 16, 1
	s_delay_alu instid0(VALU_DEP_1)
	v_add3_u32 v13, v21, v13, 0x7fff
                                        ; implicit-def: $vgpr21
; %bb.3638:                             ;   in Loop: Header=BB8_1943 Depth=2
	s_and_not1_saveexec_b32 s14, s14
; %bb.3639:                             ;   in Loop: Header=BB8_1943 Depth=2
	v_and_b32_e32 v13, 0xffff, v21
	v_or_b32_e32 v22, 0x10000, v21
	s_delay_alu instid0(VALU_DEP_2) | instskip(NEXT) | instid1(VALU_DEP_2)
	v_cmp_eq_u32_e32 vcc_lo, 0, v13
	v_cndmask_b32_e32 v13, v22, v21, vcc_lo
; %bb.3640:                             ;   in Loop: Header=BB8_1943 Depth=2
	s_or_b32 exec_lo, exec_lo, s14
	v_mul_f32_e32 v21, v38, v12
	s_mov_b32 s14, exec_lo
                                        ; implicit-def: $vgpr26
	s_delay_alu instid0(VALU_DEP_1) | instskip(NEXT) | instid1(VALU_DEP_1)
	v_and_b32_e32 v22, 0x7f800000, v21
	v_cmpx_ne_u32_e32 0x7f800000, v22
	s_xor_b32 s14, exec_lo, s14
; %bb.3641:                             ;   in Loop: Header=BB8_1943 Depth=2
	v_bfe_u32 v22, v21, 16, 1
	s_delay_alu instid0(VALU_DEP_1)
	v_add3_u32 v26, v21, v22, 0x7fff
                                        ; implicit-def: $vgpr21
; %bb.3642:                             ;   in Loop: Header=BB8_1943 Depth=2
	s_and_not1_saveexec_b32 s14, s14
; %bb.3643:                             ;   in Loop: Header=BB8_1943 Depth=2
	v_and_b32_e32 v22, 0xffff, v21
	v_or_b32_e32 v23, 0x10000, v21
	s_delay_alu instid0(VALU_DEP_2) | instskip(NEXT) | instid1(VALU_DEP_2)
	v_cmp_eq_u32_e32 vcc_lo, 0, v22
	v_cndmask_b32_e32 v26, v23, v21, vcc_lo
; %bb.3644:                             ;   in Loop: Header=BB8_1943 Depth=2
	s_or_b32 exec_lo, exec_lo, s14
	v_mul_f32_e32 v21, v37, v12
	s_mov_b32 s14, exec_lo
                                        ; implicit-def: $vgpr25
	s_delay_alu instid0(VALU_DEP_1) | instskip(NEXT) | instid1(VALU_DEP_1)
	v_and_b32_e32 v22, 0x7f800000, v21
	v_cmpx_ne_u32_e32 0x7f800000, v22
	s_xor_b32 s14, exec_lo, s14
; %bb.3645:                             ;   in Loop: Header=BB8_1943 Depth=2
	v_bfe_u32 v22, v21, 16, 1
	s_delay_alu instid0(VALU_DEP_1)
	v_add3_u32 v25, v21, v22, 0x7fff
                                        ; implicit-def: $vgpr21
; %bb.3646:                             ;   in Loop: Header=BB8_1943 Depth=2
	s_and_not1_saveexec_b32 s14, s14
; %bb.3647:                             ;   in Loop: Header=BB8_1943 Depth=2
	v_and_b32_e32 v22, 0xffff, v21
	v_or_b32_e32 v23, 0x10000, v21
	s_delay_alu instid0(VALU_DEP_2) | instskip(NEXT) | instid1(VALU_DEP_2)
	v_cmp_eq_u32_e32 vcc_lo, 0, v22
	v_cndmask_b32_e32 v25, v23, v21, vcc_lo
; %bb.3648:                             ;   in Loop: Header=BB8_1943 Depth=2
	s_or_b32 exec_lo, exec_lo, s14
	v_mul_f32_e32 v21, v36, v12
	s_mov_b32 s14, exec_lo
                                        ; implicit-def: $vgpr24
	s_delay_alu instid0(VALU_DEP_1) | instskip(NEXT) | instid1(VALU_DEP_1)
	v_and_b32_e32 v22, 0x7f800000, v21
	v_cmpx_ne_u32_e32 0x7f800000, v22
	s_xor_b32 s14, exec_lo, s14
; %bb.3649:                             ;   in Loop: Header=BB8_1943 Depth=2
	v_bfe_u32 v22, v21, 16, 1
	s_delay_alu instid0(VALU_DEP_1)
	v_add3_u32 v24, v21, v22, 0x7fff
                                        ; implicit-def: $vgpr21
; %bb.3650:                             ;   in Loop: Header=BB8_1943 Depth=2
	s_and_not1_saveexec_b32 s14, s14
; %bb.3651:                             ;   in Loop: Header=BB8_1943 Depth=2
	v_and_b32_e32 v22, 0xffff, v21
	v_or_b32_e32 v23, 0x10000, v21
	s_delay_alu instid0(VALU_DEP_2) | instskip(NEXT) | instid1(VALU_DEP_2)
	v_cmp_eq_u32_e32 vcc_lo, 0, v22
	v_cndmask_b32_e32 v24, v23, v21, vcc_lo
; %bb.3652:                             ;   in Loop: Header=BB8_1943 Depth=2
	s_or_b32 exec_lo, exec_lo, s14
	v_mul_f32_e32 v21, v35, v12
	s_mov_b32 s14, exec_lo
                                        ; implicit-def: $vgpr23
	s_delay_alu instid0(VALU_DEP_1) | instskip(NEXT) | instid1(VALU_DEP_1)
	v_and_b32_e32 v22, 0x7f800000, v21
	v_cmpx_ne_u32_e32 0x7f800000, v22
	s_xor_b32 s14, exec_lo, s14
; %bb.3653:                             ;   in Loop: Header=BB8_1943 Depth=2
	v_bfe_u32 v22, v21, 16, 1
	s_delay_alu instid0(VALU_DEP_1)
	v_add3_u32 v23, v21, v22, 0x7fff
                                        ; implicit-def: $vgpr21
; %bb.3654:                             ;   in Loop: Header=BB8_1943 Depth=2
	s_and_not1_saveexec_b32 s14, s14
; %bb.3655:                             ;   in Loop: Header=BB8_1943 Depth=2
	v_and_b32_e32 v22, 0xffff, v21
	v_or_b32_e32 v23, 0x10000, v21
	s_delay_alu instid0(VALU_DEP_2) | instskip(NEXT) | instid1(VALU_DEP_2)
	v_cmp_eq_u32_e32 vcc_lo, 0, v22
	v_cndmask_b32_e32 v23, v23, v21, vcc_lo
; %bb.3656:                             ;   in Loop: Header=BB8_1943 Depth=2
	s_or_b32 exec_lo, exec_lo, s14
	v_mul_f32_e32 v21, v34, v12
	s_delay_alu instid0(VALU_DEP_1) | instskip(NEXT) | instid1(VALU_DEP_1)
	v_and_b32_e32 v22, 0x7f800000, v21
	v_cmp_ne_u32_e32 vcc_lo, 0x7f800000, v22
                                        ; implicit-def: $vgpr22
	s_and_saveexec_b32 s14, vcc_lo
	s_delay_alu instid0(SALU_CYCLE_1)
	s_xor_b32 s14, exec_lo, s14
; %bb.3657:                             ;   in Loop: Header=BB8_1943 Depth=2
	v_bfe_u32 v22, v21, 16, 1
	s_delay_alu instid0(VALU_DEP_1)
	v_add3_u32 v22, v21, v22, 0x7fff
                                        ; implicit-def: $vgpr21
; %bb.3658:                             ;   in Loop: Header=BB8_1943 Depth=2
	s_and_not1_saveexec_b32 s14, s14
; %bb.3659:                             ;   in Loop: Header=BB8_1943 Depth=2
	v_and_b32_e32 v22, 0xffff, v21
	v_or_b32_e32 v27, 0x10000, v21
	s_delay_alu instid0(VALU_DEP_2) | instskip(NEXT) | instid1(VALU_DEP_2)
	v_cmp_eq_u32_e32 vcc_lo, 0, v22
	v_cndmask_b32_e32 v22, v27, v21, vcc_lo
; %bb.3660:                             ;   in Loop: Header=BB8_1943 Depth=2
	s_or_b32 exec_lo, exec_lo, s14
	v_mul_f32_e32 v27, v29, v12
	s_delay_alu instid0(VALU_DEP_1) | instskip(NEXT) | instid1(VALU_DEP_1)
	v_and_b32_e32 v21, 0x7f800000, v27
	v_cmp_ne_u32_e32 vcc_lo, 0x7f800000, v21
                                        ; implicit-def: $vgpr21
	s_and_saveexec_b32 s14, vcc_lo
	s_delay_alu instid0(SALU_CYCLE_1)
	s_xor_b32 s14, exec_lo, s14
; %bb.3661:                             ;   in Loop: Header=BB8_1943 Depth=2
	v_bfe_u32 v21, v27, 16, 1
	s_delay_alu instid0(VALU_DEP_1)
	v_add3_u32 v21, v27, v21, 0x7fff
                                        ; implicit-def: $vgpr27
; %bb.3662:                             ;   in Loop: Header=BB8_1943 Depth=2
	s_and_not1_saveexec_b32 s14, s14
; %bb.3663:                             ;   in Loop: Header=BB8_1943 Depth=2
	v_and_b32_e32 v21, 0xffff, v27
	v_or_b32_e32 v29, 0x10000, v27
	s_delay_alu instid0(VALU_DEP_2) | instskip(NEXT) | instid1(VALU_DEP_2)
	v_cmp_eq_u32_e32 vcc_lo, 0, v21
	v_cndmask_b32_e32 v21, v29, v27, vcc_lo
; %bb.3664:                             ;   in Loop: Header=BB8_1943 Depth=2
	s_or_b32 exec_lo, exec_lo, s14
	v_mul_f32_e32 v27, v28, v12
	s_delay_alu instid0(VALU_DEP_1) | instskip(NEXT) | instid1(VALU_DEP_1)
	v_and_b32_e32 v12, 0x7f800000, v27
	v_cmp_ne_u32_e32 vcc_lo, 0x7f800000, v12
                                        ; implicit-def: $vgpr12
	s_and_saveexec_b32 s14, vcc_lo
	s_delay_alu instid0(SALU_CYCLE_1)
	s_xor_b32 s14, exec_lo, s14
; %bb.3665:                             ;   in Loop: Header=BB8_1943 Depth=2
	v_bfe_u32 v12, v27, 16, 1
	s_delay_alu instid0(VALU_DEP_1)
	v_add3_u32 v12, v27, v12, 0x7fff
                                        ; implicit-def: $vgpr27
; %bb.3666:                             ;   in Loop: Header=BB8_1943 Depth=2
	s_and_not1_saveexec_b32 s14, s14
; %bb.3667:                             ;   in Loop: Header=BB8_1943 Depth=2
	v_and_b32_e32 v12, 0xffff, v27
	v_or_b32_e32 v28, 0x10000, v27
	s_delay_alu instid0(VALU_DEP_2) | instskip(NEXT) | instid1(VALU_DEP_2)
	v_cmp_eq_u32_e32 vcc_lo, 0, v12
	v_cndmask_b32_e32 v12, v28, v27, vcc_lo
; %bb.3668:                             ;   in Loop: Header=BB8_1943 Depth=2
	s_or_b32 exec_lo, exec_lo, s14
	v_and_b32_e32 v13, 0xffff0000, v13
	s_delay_alu instid0(VALU_DEP_1) | instskip(NEXT) | instid1(VALU_DEP_1)
	v_add_f32_e32 v17, v17, v13
	v_and_b32_e32 v13, 0x7f800000, v17
	s_delay_alu instid0(VALU_DEP_1) | instskip(SKIP_1) | instid1(SALU_CYCLE_1)
	v_cmp_ne_u32_e32 vcc_lo, 0x7f800000, v13
                                        ; implicit-def: $vgpr13
	s_and_saveexec_b32 s14, vcc_lo
	s_xor_b32 s14, exec_lo, s14
; %bb.3669:                             ;   in Loop: Header=BB8_1943 Depth=2
	v_bfe_u32 v13, v17, 16, 1
	s_delay_alu instid0(VALU_DEP_1)
	v_add3_u32 v13, v17, v13, 0x7fff
                                        ; implicit-def: $vgpr17
; %bb.3670:                             ;   in Loop: Header=BB8_1943 Depth=2
	s_and_not1_saveexec_b32 s14, s14
; %bb.3671:                             ;   in Loop: Header=BB8_1943 Depth=2
	v_and_b32_e32 v13, 0xffff, v17
	v_or_b32_e32 v27, 0x10000, v17
	s_delay_alu instid0(VALU_DEP_2) | instskip(NEXT) | instid1(VALU_DEP_2)
	v_cmp_eq_u32_e32 vcc_lo, 0, v13
	v_cndmask_b32_e32 v13, v27, v17, vcc_lo
; %bb.3672:                             ;   in Loop: Header=BB8_1943 Depth=2
	s_or_b32 exec_lo, exec_lo, s14
	v_and_b32_e32 v17, 0xffff0000, v26
	s_delay_alu instid0(VALU_DEP_1) | instskip(NEXT) | instid1(VALU_DEP_1)
	v_add_f32_e32 v17, v16, v17
	v_and_b32_e32 v16, 0x7f800000, v17
	s_delay_alu instid0(VALU_DEP_1) | instskip(SKIP_1) | instid1(SALU_CYCLE_1)
	v_cmp_ne_u32_e32 vcc_lo, 0x7f800000, v16
                                        ; implicit-def: $vgpr16
	s_and_saveexec_b32 s14, vcc_lo
	s_xor_b32 s14, exec_lo, s14
; %bb.3673:                             ;   in Loop: Header=BB8_1943 Depth=2
	v_bfe_u32 v16, v17, 16, 1
	s_delay_alu instid0(VALU_DEP_1)
	v_add3_u32 v16, v17, v16, 0x7fff
                                        ; implicit-def: $vgpr17
; %bb.3674:                             ;   in Loop: Header=BB8_1943 Depth=2
	s_and_not1_saveexec_b32 s14, s14
; %bb.3675:                             ;   in Loop: Header=BB8_1943 Depth=2
	v_and_b32_e32 v16, 0xffff, v17
	v_or_b32_e32 v26, 0x10000, v17
	s_delay_alu instid0(VALU_DEP_2) | instskip(NEXT) | instid1(VALU_DEP_2)
	v_cmp_eq_u32_e32 vcc_lo, 0, v16
	v_cndmask_b32_e32 v16, v26, v17, vcc_lo
; %bb.3676:                             ;   in Loop: Header=BB8_1943 Depth=2
	s_or_b32 exec_lo, exec_lo, s14
	v_and_b32_e32 v17, 0xffff0000, v25
	s_delay_alu instid0(VALU_DEP_1) | instskip(NEXT) | instid1(VALU_DEP_1)
	v_add_f32_e32 v17, v15, v17
	v_and_b32_e32 v15, 0x7f800000, v17
	s_delay_alu instid0(VALU_DEP_1) | instskip(SKIP_1) | instid1(SALU_CYCLE_1)
	v_cmp_ne_u32_e32 vcc_lo, 0x7f800000, v15
                                        ; implicit-def: $vgpr15
	s_and_saveexec_b32 s14, vcc_lo
	s_xor_b32 s14, exec_lo, s14
; %bb.3677:                             ;   in Loop: Header=BB8_1943 Depth=2
	v_bfe_u32 v15, v17, 16, 1
	s_delay_alu instid0(VALU_DEP_1)
	v_add3_u32 v15, v17, v15, 0x7fff
                                        ; implicit-def: $vgpr17
; %bb.3678:                             ;   in Loop: Header=BB8_1943 Depth=2
	s_and_not1_saveexec_b32 s14, s14
; %bb.3679:                             ;   in Loop: Header=BB8_1943 Depth=2
	v_and_b32_e32 v15, 0xffff, v17
	v_or_b32_e32 v25, 0x10000, v17
	s_delay_alu instid0(VALU_DEP_2) | instskip(NEXT) | instid1(VALU_DEP_2)
	v_cmp_eq_u32_e32 vcc_lo, 0, v15
	v_cndmask_b32_e32 v15, v25, v17, vcc_lo
; %bb.3680:                             ;   in Loop: Header=BB8_1943 Depth=2
	s_or_b32 exec_lo, exec_lo, s14
	v_and_b32_e32 v17, 0xffff0000, v24
	s_delay_alu instid0(VALU_DEP_1) | instskip(NEXT) | instid1(VALU_DEP_1)
	v_add_f32_e32 v17, v14, v17
	v_and_b32_e32 v14, 0x7f800000, v17
	s_delay_alu instid0(VALU_DEP_1) | instskip(SKIP_1) | instid1(SALU_CYCLE_1)
	v_cmp_ne_u32_e32 vcc_lo, 0x7f800000, v14
                                        ; implicit-def: $vgpr14
	s_and_saveexec_b32 s14, vcc_lo
	s_xor_b32 s14, exec_lo, s14
; %bb.3681:                             ;   in Loop: Header=BB8_1943 Depth=2
	v_bfe_u32 v14, v17, 16, 1
	s_delay_alu instid0(VALU_DEP_1)
	v_add3_u32 v14, v17, v14, 0x7fff
                                        ; implicit-def: $vgpr17
; %bb.3682:                             ;   in Loop: Header=BB8_1943 Depth=2
	s_and_not1_saveexec_b32 s14, s14
; %bb.3683:                             ;   in Loop: Header=BB8_1943 Depth=2
	v_and_b32_e32 v14, 0xffff, v17
	v_or_b32_e32 v24, 0x10000, v17
	s_delay_alu instid0(VALU_DEP_2) | instskip(NEXT) | instid1(VALU_DEP_2)
	v_cmp_eq_u32_e32 vcc_lo, 0, v14
	v_cndmask_b32_e32 v14, v24, v17, vcc_lo
; %bb.3684:                             ;   in Loop: Header=BB8_1943 Depth=2
	s_or_b32 exec_lo, exec_lo, s14
	v_and_b32_e32 v17, 0xffff0000, v23
	s_delay_alu instid0(VALU_DEP_1) | instskip(NEXT) | instid1(VALU_DEP_1)
	v_add_f32_e32 v17, v11, v17
	v_and_b32_e32 v11, 0x7f800000, v17
	s_delay_alu instid0(VALU_DEP_1) | instskip(SKIP_1) | instid1(SALU_CYCLE_1)
	v_cmp_ne_u32_e32 vcc_lo, 0x7f800000, v11
                                        ; implicit-def: $vgpr11
	s_and_saveexec_b32 s14, vcc_lo
	s_xor_b32 s14, exec_lo, s14
; %bb.3685:                             ;   in Loop: Header=BB8_1943 Depth=2
	v_bfe_u32 v11, v17, 16, 1
	s_delay_alu instid0(VALU_DEP_1)
	v_add3_u32 v11, v17, v11, 0x7fff
                                        ; implicit-def: $vgpr17
; %bb.3686:                             ;   in Loop: Header=BB8_1943 Depth=2
	s_and_not1_saveexec_b32 s14, s14
; %bb.3687:                             ;   in Loop: Header=BB8_1943 Depth=2
	v_and_b32_e32 v11, 0xffff, v17
	v_or_b32_e32 v23, 0x10000, v17
	s_delay_alu instid0(VALU_DEP_2) | instskip(NEXT) | instid1(VALU_DEP_2)
	v_cmp_eq_u32_e32 vcc_lo, 0, v11
	v_cndmask_b32_e32 v11, v23, v17, vcc_lo
; %bb.3688:                             ;   in Loop: Header=BB8_1943 Depth=2
	s_or_b32 exec_lo, exec_lo, s14
	v_and_b32_e32 v17, 0xffff0000, v22
	s_delay_alu instid0(VALU_DEP_1) | instskip(NEXT) | instid1(VALU_DEP_1)
	v_add_f32_e32 v17, v5, v17
	v_and_b32_e32 v5, 0x7f800000, v17
	s_delay_alu instid0(VALU_DEP_1) | instskip(SKIP_1) | instid1(SALU_CYCLE_1)
	v_cmp_ne_u32_e32 vcc_lo, 0x7f800000, v5
                                        ; implicit-def: $vgpr5
	s_and_saveexec_b32 s14, vcc_lo
	s_xor_b32 s14, exec_lo, s14
; %bb.3689:                             ;   in Loop: Header=BB8_1943 Depth=2
	v_bfe_u32 v5, v17, 16, 1
	s_delay_alu instid0(VALU_DEP_1)
	v_add3_u32 v5, v17, v5, 0x7fff
                                        ; implicit-def: $vgpr17
; %bb.3690:                             ;   in Loop: Header=BB8_1943 Depth=2
	s_and_not1_saveexec_b32 s14, s14
; %bb.3691:                             ;   in Loop: Header=BB8_1943 Depth=2
	v_and_b32_e32 v5, 0xffff, v17
	v_or_b32_e32 v22, 0x10000, v17
	s_delay_alu instid0(VALU_DEP_2) | instskip(NEXT) | instid1(VALU_DEP_2)
	v_cmp_eq_u32_e32 vcc_lo, 0, v5
	v_cndmask_b32_e32 v5, v22, v17, vcc_lo
; %bb.3692:                             ;   in Loop: Header=BB8_1943 Depth=2
	s_or_b32 exec_lo, exec_lo, s14
	v_and_b32_e32 v17, 0xffff0000, v21
	s_delay_alu instid0(VALU_DEP_1) | instskip(NEXT) | instid1(VALU_DEP_1)
	v_add_f32_e32 v17, v4, v17
	v_and_b32_e32 v4, 0x7f800000, v17
	s_delay_alu instid0(VALU_DEP_1) | instskip(SKIP_1) | instid1(SALU_CYCLE_1)
	v_cmp_ne_u32_e32 vcc_lo, 0x7f800000, v4
                                        ; implicit-def: $vgpr4
	s_and_saveexec_b32 s14, vcc_lo
	s_xor_b32 s14, exec_lo, s14
; %bb.3693:                             ;   in Loop: Header=BB8_1943 Depth=2
	v_bfe_u32 v4, v17, 16, 1
	s_delay_alu instid0(VALU_DEP_1)
	v_add3_u32 v4, v17, v4, 0x7fff
                                        ; implicit-def: $vgpr17
; %bb.3694:                             ;   in Loop: Header=BB8_1943 Depth=2
	s_and_not1_saveexec_b32 s14, s14
; %bb.3695:                             ;   in Loop: Header=BB8_1943 Depth=2
	v_and_b32_e32 v4, 0xffff, v17
	v_or_b32_e32 v21, 0x10000, v17
	s_delay_alu instid0(VALU_DEP_2) | instskip(NEXT) | instid1(VALU_DEP_2)
	v_cmp_eq_u32_e32 vcc_lo, 0, v4
	v_cndmask_b32_e32 v4, v21, v17, vcc_lo
; %bb.3696:                             ;   in Loop: Header=BB8_1943 Depth=2
	s_or_b32 exec_lo, exec_lo, s14
	v_and_b32_e32 v12, 0xffff0000, v12
	s_delay_alu instid0(VALU_DEP_1) | instskip(NEXT) | instid1(VALU_DEP_1)
	v_add_f32_e32 v12, v10, v12
	v_and_b32_e32 v10, 0x7f800000, v12
	s_delay_alu instid0(VALU_DEP_1) | instskip(SKIP_1) | instid1(SALU_CYCLE_1)
	v_cmp_ne_u32_e32 vcc_lo, 0x7f800000, v10
                                        ; implicit-def: $vgpr10
	s_and_saveexec_b32 s14, vcc_lo
	s_xor_b32 s14, exec_lo, s14
; %bb.3697:                             ;   in Loop: Header=BB8_1943 Depth=2
	v_bfe_u32 v10, v12, 16, 1
	s_delay_alu instid0(VALU_DEP_1)
	v_add3_u32 v10, v12, v10, 0x7fff
                                        ; implicit-def: $vgpr12
; %bb.3698:                             ;   in Loop: Header=BB8_1943 Depth=2
	s_and_not1_saveexec_b32 s14, s14
; %bb.3699:                             ;   in Loop: Header=BB8_1943 Depth=2
	v_and_b32_e32 v10, 0xffff, v12
	v_or_b32_e32 v17, 0x10000, v12
	s_delay_alu instid0(VALU_DEP_2) | instskip(NEXT) | instid1(VALU_DEP_2)
	v_cmp_eq_u32_e32 vcc_lo, 0, v10
	v_cndmask_b32_e32 v10, v17, v12, vcc_lo
; %bb.3700:                             ;   in Loop: Header=BB8_1943 Depth=2
	s_or_b32 exec_lo, exec_lo, s14
	s_clause 0x7
	flat_store_d16_hi_b16 v[8:9], v13 th:TH_STORE_NT
	flat_store_d16_hi_b16 v[8:9], v16 offset:64 th:TH_STORE_NT
	flat_store_d16_hi_b16 v[8:9], v15 offset:128 th:TH_STORE_NT
	;; [unrolled: 1-line block ×7, first 2 shown]
.LBB8_3701:                             ;   in Loop: Header=BB8_1943 Depth=2
	s_wait_xcnt 0x0
	s_or_b32 exec_lo, exec_lo, s13
	v_lshlrev_b32_e32 v4, 9, v20
	s_delay_alu instid0(VALU_DEP_1)
	v_cmp_ne_u32_e32 vcc_lo, v73, v4
	s_and_b32 exec_lo, exec_lo, vcc_lo
	s_cbranch_execz .LBB8_3738
; %bb.3702:                             ;   in Loop: Header=BB8_1943 Depth=2
	v_lshlrev_b32_e32 v5, 5, v33
	s_delay_alu instid0(VALU_DEP_1) | instskip(NEXT) | instid1(VALU_DEP_1)
	v_sub_nc_u32_e32 v5, v19, v5
	v_ashrrev_i32_e32 v8, 31, v5
	s_delay_alu instid0(VALU_DEP_1) | instskip(NEXT) | instid1(VALU_DEP_1)
	v_lshrrev_b32_e32 v8, 27, v8
	v_add_nc_u32_e32 v8, v5, v8
	s_delay_alu instid0(VALU_DEP_1) | instskip(NEXT) | instid1(VALU_DEP_1)
	v_and_b32_e32 v9, 0x7fffffe0, v8
	v_dual_lshlrev_b32 v8, 1, v8 :: v_dual_sub_nc_u32 v5, v5, v9
	s_delay_alu instid0(VALU_DEP_1) | instskip(NEXT) | instid1(VALU_DEP_2)
	v_and_b32_e32 v8, 0xffffffc0, v8
	v_lshlrev_b32_e32 v5, 1, v5
	s_delay_alu instid0(VALU_DEP_1) | instskip(NEXT) | instid1(VALU_DEP_1)
	v_add3_u32 v5, v8, v5, v4
	v_sub_nc_u32_e32 v4, v73, v5
	s_delay_alu instid0(VALU_DEP_1)
	v_cmp_lt_i32_e32 vcc_lo, 1, v4
	s_and_b32 exec_lo, exec_lo, vcc_lo
	s_cbranch_execz .LBB8_3738
; %bb.3703:                             ;   in Loop: Header=BB8_1943 Depth=2
	s_trap 2
	ds_load_b64 v[10:11], v0
	v_add_nc_u32_e32 v14, v5, v18
	s_mov_b32 s78, 0
	s_mov_b32 s76, 0
                                        ; implicit-def: $sgpr77
	s_delay_alu instid0(VALU_DEP_1) | instskip(NEXT) | instid1(VALU_DEP_1)
	v_ashrrev_i32_e32 v15, 31, v14
	v_add_nc_u64_e32 v[8:9], v[88:89], v[14:15]
	v_add_nc_u64_e32 v[12:13], v[14:15], v[78:79]
	s_wait_dscnt 0x0
	v_add_nc_u64_e32 v[10:11], v[10:11], v[14:15]
	s_branch .LBB8_3705
.LBB8_3704:                             ;   in Loop: Header=BB8_3705 Depth=3
	s_or_b32 exec_lo, exec_lo, s13
	s_delay_alu instid0(VALU_DEP_1) | instskip(SKIP_2) | instid1(VALU_DEP_3)
	v_dual_cndmask_b32 v18, 0, v123, s78 :: v_dual_lshrrev_b32 v5, 16, v5
	v_add_nc_u64_e32 v[14:15], v[10:11], v[118:119]
	v_dual_cndmask_b32 v17, 0, v47, s78 :: v_dual_cndmask_b32 v16, 64, v46, s78
	v_sub_nc_u32_e32 v4, v4, v18
	v_add_nc_u64_e32 v[18:19], v[12:13], v[118:119]
	flat_store_b16 v[8:9], v5 th:TH_STORE_NT
	scratch_store_b16 off, v5, s33 offset:192
	v_cndmask_b32_e64 v11, v11, v15, s78
	v_cmp_gt_i32_e32 vcc_lo, 2, v4
	s_wait_xcnt 0x1
	v_add_nc_u64_e32 v[8:9], v[8:9], v[16:17]
	v_dual_cndmask_b32 v10, v10, v14, s78 :: v_dual_cndmask_b32 v13, v13, v19, s78
	v_cndmask_b32_e64 v12, v12, v18, s78
	s_or_b32 s76, vcc_lo, s76
	s_and_not1_b32 s13, s77, exec_lo
	s_and_b32 s14, s78, exec_lo
	s_delay_alu instid0(SALU_CYCLE_1)
	s_or_b32 s77, s13, s14
	s_wait_xcnt 0x0
	s_and_not1_b32 exec_lo, exec_lo, s76
	s_cbranch_execz .LBB8_3728
.LBB8_3705:                             ;   Parent Loop BB8_47 Depth=1
                                        ;     Parent Loop BB8_1943 Depth=2
                                        ; =>    This Loop Header: Depth=3
                                        ;         Child Loop BB8_3706 Depth 4
                                        ;         Child Loop BB8_3719 Depth 4
	s_add_co_i32 s13, s33, 0xc0
	s_mov_b64 s[40:41], 0
	s_mov_b32 s79, s13
	s_mov_b32 s88, -1
.LBB8_3706:                             ;   Parent Loop BB8_47 Depth=1
                                        ;     Parent Loop BB8_1943 Depth=2
                                        ;       Parent Loop BB8_3705 Depth=3
                                        ; =>      This Inner Loop Header: Depth=4
	s_cmp_eq_u32 s40, 1
	s_cselect_b32 vcc_lo, -1, 0
	s_cmp_eq_u32 s40, 0
	v_dual_cndmask_b32 v15, v13, v11 :: v_dual_cndmask_b32 v14, v12, v10
	s_cselect_b32 s13, -1, 0
	s_and_b32 s14, exec_lo, s88
	s_mov_b64 s[40:41], 1
	s_mov_b32 s88, 0
	flat_load_u16 v5, v[14:15] th:TH_LOAD_NT
	s_wait_xcnt 0x0
	v_add_nc_u64_e32 v[14:15], 64, v[14:15]
	s_delay_alu instid0(VALU_DEP_1)
	v_dual_cndmask_b32 v11, v11, v15 :: v_dual_cndmask_b32 v10, v10, v14
	v_dual_cndmask_b32 v13, v13, v15, s13 :: v_dual_cndmask_b32 v12, v12, v14, s13
	s_add_co_i32 s13, s33, 0xe0
	s_mov_b32 vcc_lo, s14
	s_wait_loadcnt_dscnt 0x0
	scratch_store_b16 off, v5, s79
	s_wait_xcnt 0x0
	s_mov_b32 s79, s13
	s_cbranch_vccnz .LBB8_3706
; %bb.3707:                             ;   in Loop: Header=BB8_3705 Depth=3
	s_and_saveexec_b32 s13, s78
	s_cbranch_execz .LBB8_3717
; %bb.3708:                             ;   in Loop: Header=BB8_3705 Depth=3
	s_trap 2
	scratch_load_u16 v5, off, s33 offset:188
	ds_load_b32 v14, v0
	s_wait_loadcnt_dscnt 0x0
	v_dual_lshlrev_b32 v14, 16, v14 :: v_dual_lshlrev_b32 v5, 16, v5
	s_delay_alu instid0(VALU_DEP_1) | instskip(NEXT) | instid1(VALU_DEP_1)
	v_mul_f32_e32 v5, v14, v5
	v_and_b32_e32 v14, 0x7f800000, v5
	s_delay_alu instid0(VALU_DEP_1) | instskip(SKIP_2) | instid1(SALU_CYCLE_1)
	v_cmp_ne_u32_e32 vcc_lo, 0x7f800000, v14
                                        ; implicit-def: $vgpr14
	s_wait_xcnt 0x0
	s_and_saveexec_b32 s14, vcc_lo
	s_xor_b32 s14, exec_lo, s14
; %bb.3709:                             ;   in Loop: Header=BB8_3705 Depth=3
	v_bfe_u32 v14, v5, 16, 1
	s_delay_alu instid0(VALU_DEP_1)
	v_add3_u32 v14, v5, v14, 0x7fff
                                        ; implicit-def: $vgpr5
; %bb.3710:                             ;   in Loop: Header=BB8_3705 Depth=3
	s_and_not1_saveexec_b32 s14, s14
; %bb.3711:                             ;   in Loop: Header=BB8_3705 Depth=3
	v_and_b32_e32 v14, 0xffff, v5
	v_or_b32_e32 v15, 0x10000, v5
	s_delay_alu instid0(VALU_DEP_2) | instskip(NEXT) | instid1(VALU_DEP_2)
	v_cmp_eq_u32_e32 vcc_lo, 0, v14
	v_cndmask_b32_e32 v14, v15, v5, vcc_lo
; %bb.3712:                             ;   in Loop: Header=BB8_3705 Depth=3
	s_or_b32 exec_lo, exec_lo, s14
	scratch_load_u16 v5, off, s33 offset:190
	v_and_b32_e32 v14, 0xffff0000, v14
	s_wait_loadcnt 0x0
	v_lshlrev_b32_e32 v5, 16, v5
	s_delay_alu instid0(VALU_DEP_1) | instskip(NEXT) | instid1(VALU_DEP_1)
	v_add_f32_e32 v5, v14, v5
	v_and_b32_e32 v14, 0x7f800000, v5
	s_delay_alu instid0(VALU_DEP_1) | instskip(SKIP_2) | instid1(SALU_CYCLE_1)
	v_cmp_ne_u32_e32 vcc_lo, 0x7f800000, v14
                                        ; implicit-def: $vgpr14
	s_wait_xcnt 0x0
	s_and_saveexec_b32 s14, vcc_lo
	s_xor_b32 s14, exec_lo, s14
; %bb.3713:                             ;   in Loop: Header=BB8_3705 Depth=3
	v_bfe_u32 v14, v5, 16, 1
	s_delay_alu instid0(VALU_DEP_1)
	v_add3_u32 v14, v5, v14, 0x7fff
                                        ; implicit-def: $vgpr5
; %bb.3714:                             ;   in Loop: Header=BB8_3705 Depth=3
	s_and_not1_saveexec_b32 s14, s14
; %bb.3715:                             ;   in Loop: Header=BB8_3705 Depth=3
	v_and_b32_e32 v14, 0xffff, v5
	v_or_b32_e32 v15, 0x10000, v5
	s_delay_alu instid0(VALU_DEP_2) | instskip(NEXT) | instid1(VALU_DEP_2)
	v_cmp_eq_u32_e32 vcc_lo, 0, v14
	v_cndmask_b32_e32 v14, v15, v5, vcc_lo
; %bb.3716:                             ;   in Loop: Header=BB8_3705 Depth=3
	s_or_b32 exec_lo, exec_lo, s14
	s_delay_alu instid0(VALU_DEP_1)
	v_lshrrev_b32_e32 v5, 16, v14
	flat_store_b16 v[8:9], v5 th:TH_STORE_NT
	s_wait_xcnt 0x0
	v_add_nc_u64_e32 v[8:9], v[8:9], v[46:47]
	scratch_store_b16 off, v5, s33 offset:188
.LBB8_3717:                             ;   in Loop: Header=BB8_3705 Depth=3
	s_wait_xcnt 0x0
	s_or_b32 exec_lo, exec_lo, s13
	v_sub_nc_u32_e32 v4, v4, v123
	v_add_nc_u64_e32 v[12:13], v[12:13], v[118:119]
	v_add_nc_u64_e32 v[10:11], v[10:11], v[118:119]
	s_delay_alu instid0(VALU_DEP_3)
	v_cmp_lt_i32_e64 s78, 1, v4
	s_and_saveexec_b32 s79, s78
	s_cbranch_execz .LBB8_3720
; %bb.3718:                             ;   in Loop: Header=BB8_3705 Depth=3
	s_add_co_i32 s13, s33, 0xbc
	s_mov_b64 s[40:41], 0
	s_mov_b32 s88, s13
	s_mov_b32 s89, -1
.LBB8_3719:                             ;   Parent Loop BB8_47 Depth=1
                                        ;     Parent Loop BB8_1943 Depth=2
                                        ;       Parent Loop BB8_3705 Depth=3
                                        ; =>      This Inner Loop Header: Depth=4
	s_cmp_eq_u32 s40, 1
	s_cselect_b32 vcc_lo, -1, 0
	s_cmp_eq_u32 s40, 0
	v_dual_cndmask_b32 v15, v13, v11 :: v_dual_cndmask_b32 v14, v12, v10
	s_cselect_b32 s13, -1, 0
	s_and_b32 s14, exec_lo, s89
	s_mov_b64 s[40:41], 1
	s_mov_b32 s89, 0
	flat_load_u16 v5, v[14:15] th:TH_LOAD_NT
	s_wait_xcnt 0x0
	v_add_nc_u64_e32 v[14:15], 64, v[14:15]
	s_delay_alu instid0(VALU_DEP_1)
	v_dual_cndmask_b32 v13, v13, v15, s13 :: v_dual_cndmask_b32 v12, v12, v14, s13
	v_dual_cndmask_b32 v11, v11, v15 :: v_dual_cndmask_b32 v10, v10, v14
	s_add_co_i32 s13, s33, 0xbe
	s_mov_b32 vcc_lo, s14
	s_wait_loadcnt_dscnt 0x0
	scratch_store_b16 off, v5, s88
	s_wait_xcnt 0x0
	s_mov_b32 s88, s13
	s_cbranch_vccnz .LBB8_3719
.LBB8_3720:                             ;   in Loop: Header=BB8_3705 Depth=3
	s_or_b32 exec_lo, exec_lo, s79
	s_trap 2
	scratch_load_u16 v5, off, s33 offset:192
	ds_load_b32 v14, v0
	s_wait_loadcnt_dscnt 0x0
	v_dual_lshlrev_b32 v14, 16, v14 :: v_dual_lshlrev_b32 v5, 16, v5
	s_delay_alu instid0(VALU_DEP_1) | instskip(NEXT) | instid1(VALU_DEP_1)
	v_mul_f32_e32 v5, v14, v5
	v_and_b32_e32 v14, 0x7f800000, v5
	s_delay_alu instid0(VALU_DEP_1) | instskip(SKIP_2) | instid1(SALU_CYCLE_1)
	v_cmp_ne_u32_e32 vcc_lo, 0x7f800000, v14
                                        ; implicit-def: $vgpr14
	s_wait_xcnt 0x0
	s_and_saveexec_b32 s13, vcc_lo
	s_xor_b32 s13, exec_lo, s13
; %bb.3721:                             ;   in Loop: Header=BB8_3705 Depth=3
	v_bfe_u32 v14, v5, 16, 1
	s_delay_alu instid0(VALU_DEP_1)
	v_add3_u32 v14, v5, v14, 0x7fff
                                        ; implicit-def: $vgpr5
; %bb.3722:                             ;   in Loop: Header=BB8_3705 Depth=3
	s_and_not1_saveexec_b32 s13, s13
; %bb.3723:                             ;   in Loop: Header=BB8_3705 Depth=3
	v_and_b32_e32 v14, 0xffff, v5
	v_or_b32_e32 v15, 0x10000, v5
	s_delay_alu instid0(VALU_DEP_2) | instskip(NEXT) | instid1(VALU_DEP_2)
	v_cmp_eq_u32_e32 vcc_lo, 0, v14
	v_cndmask_b32_e32 v14, v15, v5, vcc_lo
; %bb.3724:                             ;   in Loop: Header=BB8_3705 Depth=3
	s_or_b32 exec_lo, exec_lo, s13
	scratch_load_u16 v5, off, s33 offset:224
	v_and_b32_e32 v14, 0xffff0000, v14
	s_wait_loadcnt 0x0
	v_lshlrev_b32_e32 v5, 16, v5
	s_delay_alu instid0(VALU_DEP_1) | instskip(NEXT) | instid1(VALU_DEP_1)
	v_add_f32_e32 v14, v14, v5
	v_and_b32_e32 v5, 0x7f800000, v14
	s_delay_alu instid0(VALU_DEP_1) | instskip(SKIP_2) | instid1(SALU_CYCLE_1)
	v_cmp_ne_u32_e32 vcc_lo, 0x7f800000, v5
                                        ; implicit-def: $vgpr5
	s_wait_xcnt 0x0
	s_and_saveexec_b32 s13, vcc_lo
	s_xor_b32 s13, exec_lo, s13
; %bb.3725:                             ;   in Loop: Header=BB8_3705 Depth=3
	v_bfe_u32 v5, v14, 16, 1
	s_delay_alu instid0(VALU_DEP_1)
	v_add3_u32 v5, v14, v5, 0x7fff
                                        ; implicit-def: $vgpr14
; %bb.3726:                             ;   in Loop: Header=BB8_3705 Depth=3
	s_and_not1_saveexec_b32 s13, s13
	s_cbranch_execz .LBB8_3704
; %bb.3727:                             ;   in Loop: Header=BB8_3705 Depth=3
	v_and_b32_e32 v5, 0xffff, v14
	v_or_b32_e32 v15, 0x10000, v14
	s_delay_alu instid0(VALU_DEP_2) | instskip(NEXT) | instid1(VALU_DEP_2)
	v_cmp_eq_u32_e32 vcc_lo, 0, v5
	v_cndmask_b32_e32 v5, v15, v14, vcc_lo
	s_branch .LBB8_3704
.LBB8_3728:                             ;   in Loop: Header=BB8_1943 Depth=2
	s_or_b32 exec_lo, exec_lo, s76
	s_delay_alu instid0(SALU_CYCLE_1)
	s_and_b32 exec_lo, exec_lo, s77
	s_cbranch_execz .LBB8_3738
; %bb.3729:                             ;   in Loop: Header=BB8_1943 Depth=2
	s_trap 2
	scratch_load_u16 v4, off, s33 offset:188
	ds_load_b32 v5, v0
	s_wait_loadcnt_dscnt 0x0
	v_dual_lshlrev_b32 v5, 16, v5 :: v_dual_lshlrev_b32 v4, 16, v4
	s_delay_alu instid0(VALU_DEP_1) | instskip(NEXT) | instid1(VALU_DEP_1)
	v_mul_f32_e32 v4, v5, v4
	v_and_b32_e32 v5, 0x7f800000, v4
	s_delay_alu instid0(VALU_DEP_1) | instskip(SKIP_2) | instid1(SALU_CYCLE_1)
	v_cmp_ne_u32_e32 vcc_lo, 0x7f800000, v5
                                        ; implicit-def: $vgpr5
	s_wait_xcnt 0x0
	s_and_saveexec_b32 s13, vcc_lo
	s_xor_b32 s13, exec_lo, s13
; %bb.3730:                             ;   in Loop: Header=BB8_1943 Depth=2
	v_bfe_u32 v5, v4, 16, 1
	s_delay_alu instid0(VALU_DEP_1)
	v_add3_u32 v5, v4, v5, 0x7fff
                                        ; implicit-def: $vgpr4
; %bb.3731:                             ;   in Loop: Header=BB8_1943 Depth=2
	s_and_not1_saveexec_b32 s13, s13
; %bb.3732:                             ;   in Loop: Header=BB8_1943 Depth=2
	v_and_b32_e32 v5, 0xffff, v4
	v_or_b32_e32 v10, 0x10000, v4
	s_delay_alu instid0(VALU_DEP_2) | instskip(NEXT) | instid1(VALU_DEP_2)
	v_cmp_eq_u32_e32 vcc_lo, 0, v5
	v_cndmask_b32_e32 v5, v10, v4, vcc_lo
; %bb.3733:                             ;   in Loop: Header=BB8_1943 Depth=2
	s_or_b32 exec_lo, exec_lo, s13
	scratch_load_u16 v4, off, s33 offset:190
	v_and_b32_e32 v5, 0xffff0000, v5
	s_wait_loadcnt 0x0
	v_lshlrev_b32_e32 v4, 16, v4
	s_delay_alu instid0(VALU_DEP_1) | instskip(NEXT) | instid1(VALU_DEP_1)
	v_add_f32_e32 v4, v5, v4
	v_and_b32_e32 v5, 0x7f800000, v4
	s_delay_alu instid0(VALU_DEP_1) | instskip(SKIP_2) | instid1(SALU_CYCLE_1)
	v_cmp_ne_u32_e32 vcc_lo, 0x7f800000, v5
                                        ; implicit-def: $vgpr5
	s_wait_xcnt 0x0
	s_and_saveexec_b32 s13, vcc_lo
	s_xor_b32 s13, exec_lo, s13
; %bb.3734:                             ;   in Loop: Header=BB8_1943 Depth=2
	v_bfe_u32 v5, v4, 16, 1
	s_delay_alu instid0(VALU_DEP_1)
	v_add3_u32 v5, v4, v5, 0x7fff
                                        ; implicit-def: $vgpr4
; %bb.3735:                             ;   in Loop: Header=BB8_1943 Depth=2
	s_and_not1_saveexec_b32 s13, s13
; %bb.3736:                             ;   in Loop: Header=BB8_1943 Depth=2
	v_and_b32_e32 v5, 0xffff, v4
	v_or_b32_e32 v10, 0x10000, v4
	s_delay_alu instid0(VALU_DEP_2) | instskip(NEXT) | instid1(VALU_DEP_2)
	v_cmp_eq_u32_e32 vcc_lo, 0, v5
	v_cndmask_b32_e32 v5, v10, v4, vcc_lo
; %bb.3737:                             ;   in Loop: Header=BB8_1943 Depth=2
	s_or_b32 exec_lo, exec_lo, s13
	flat_store_d16_hi_b16 v[8:9], v5 th:TH_STORE_NT
.LBB8_3738:                             ;   in Loop: Header=BB8_1943 Depth=2
	s_wait_xcnt 0x0
	s_or_b32 exec_lo, exec_lo, s15
	v_cmp_lt_i32_e64 s13, 0, v2
	s_and_saveexec_b32 s14, s2
	s_cbranch_execz .LBB8_3757
.LBB8_3739:                             ;   in Loop: Header=BB8_1943 Depth=2
	s_and_saveexec_b32 s15, s3
	s_delay_alu instid0(SALU_CYCLE_1)
	s_xor_b32 s15, exec_lo, s15
	s_cbranch_execz .LBB8_3754
; %bb.3740:                             ;   in Loop: Header=BB8_1943 Depth=2
	s_and_saveexec_b32 s40, s6
	s_cbranch_execz .LBB8_3753
; %bb.3741:                             ;   in Loop: Header=BB8_1943 Depth=2
	s_mov_b32 s76, exec_lo
	s_mov_b32 s41, exec_lo
	v_mbcnt_lo_u32_b32 v2, s76, 0
	global_wb scope:SCOPE_DEV
	s_wait_storecnt 0x0
	s_wait_loadcnt_dscnt 0x0
	global_inv scope:SCOPE_DEV
	v_cmpx_eq_u32_e32 0, v2
	s_cbranch_execz .LBB8_3743
; %bb.3742:                             ;   in Loop: Header=BB8_1943 Depth=2
	s_bcnt1_i32_b32 s76, s76
	s_delay_alu instid0(SALU_CYCLE_1)
	v_mov_b32_e32 v2, s76
	s_wait_loadcnt 0x0
	ds_add_u64 v0, v[2:3]
	s_trap 2
.LBB8_3743:                             ;   in Loop: Header=BB8_1943 Depth=2
	s_or_b32 exec_lo, exec_lo, s41
	s_trap 2
	ds_load_b64 v[4:5], v0
	s_wait_dscnt 0x0
	v_add_nc_u64_e32 v[80:81], v[80:81], v[84:85]
	s_mov_b32 s41, exec_lo
	s_delay_alu instid0(VALU_DEP_1)
	v_cmpx_lt_u64_e64 v[4:5], v[80:81]
	s_cbranch_execz .LBB8_3752
; %bb.3744:                             ;   in Loop: Header=BB8_1943 Depth=2
	s_mov_b32 s76, 0
	s_mov_b32 s79, 0
                                        ; implicit-def: $sgpr77
                                        ; implicit-def: $sgpr78
	s_branch .LBB8_3746
.LBB8_3745:                             ;   in Loop: Header=BB8_3746 Depth=3
	s_or_b32 exec_lo, exec_lo, s89
	s_delay_alu instid0(SALU_CYCLE_1) | instskip(NEXT) | instid1(SALU_CYCLE_1)
	s_and_b32 s88, exec_lo, s90
	s_or_b32 s76, s88, s76
	s_and_not1_b32 s77, s77, exec_lo
	s_and_b32 s88, s78, exec_lo
	s_delay_alu instid0(SALU_CYCLE_1)
	s_or_b32 s77, s77, s88
	s_and_not1_b32 exec_lo, exec_lo, s76
	s_cbranch_execz .LBB8_3750
.LBB8_3746:                             ;   Parent Loop BB8_47 Depth=1
                                        ;     Parent Loop BB8_1943 Depth=2
                                        ; =>    This Inner Loop Header: Depth=3
	s_add_co_i32 s79, s79, 1
	s_delay_alu instid0(SALU_CYCLE_1) | instskip(SKIP_1) | instid1(SALU_CYCLE_1)
	s_cmp_lg_u32 s79, 0x2710
	s_cselect_b32 s88, -1, 0
	s_and_b32 vcc_lo, exec_lo, s88
	s_cbranch_vccz .LBB8_3748
; %bb.3747:                             ;   in Loop: Header=BB8_3746 Depth=3
	s_mov_b32 s90, -1
	s_or_b32 s78, s78, exec_lo
	s_and_saveexec_b32 s89, s88
	s_cbranch_execz .LBB8_3745
	s_branch .LBB8_3749
.LBB8_3748:                             ;   in Loop: Header=BB8_3746 Depth=3
	s_trap 2
	ds_load_b64 v[4:5], v0
	s_and_not1_b32 s88, s88, exec_lo
	s_mov_b32 s79, 0
	s_wait_loadcnt_dscnt 0x0
	flat_load_b32 v2, v[4:5] scope:SCOPE_SYS
	s_wait_loadcnt_dscnt 0x0
	global_inv scope:SCOPE_SYS
	v_cmp_eq_u32_e32 vcc_lo, 0, v2
	s_and_b32 s89, vcc_lo, exec_lo
	s_delay_alu instid0(SALU_CYCLE_1)
	s_or_b32 s88, s88, s89
	s_mov_b32 s90, -1
	s_or_b32 s78, s78, exec_lo
	s_wait_xcnt 0x0
	s_and_saveexec_b32 s89, s88
	s_cbranch_execz .LBB8_3745
.LBB8_3749:                             ;   in Loop: Header=BB8_3746 Depth=3
	s_sleep 1
	s_trap 2
	ds_load_b64 v[4:5], v0
	s_wait_dscnt 0x0
	s_and_not1_b32 s78, s78, exec_lo
	v_cmp_ge_u64_e32 vcc_lo, v[4:5], v[80:81]
	s_or_not1_b32 s90, vcc_lo, exec_lo
	s_branch .LBB8_3745
.LBB8_3750:                             ;   in Loop: Header=BB8_1943 Depth=2
	s_or_b32 exec_lo, exec_lo, s76
	s_and_saveexec_b32 s76, s77
	s_delay_alu instid0(SALU_CYCLE_1)
	s_xor_b32 s76, exec_lo, s76
	s_cbranch_execz .LBB8_3752
; %bb.3751:                             ;   in Loop: Header=BB8_1943 Depth=2
	ds_store_b32 v0, v111
	s_trap 2
.LBB8_3752:                             ;   in Loop: Header=BB8_1943 Depth=2
	s_or_b32 exec_lo, exec_lo, s41
	;;#ASMSTART
	s_wakeup
	;;#ASMEND
.LBB8_3753:                             ;   in Loop: Header=BB8_1943 Depth=2
	s_or_b32 exec_lo, exec_lo, s40
.LBB8_3754:                             ;   in Loop: Header=BB8_1943 Depth=2
	s_and_not1_saveexec_b32 s15, s15
	s_cbranch_execz .LBB8_3756
; %bb.3755:                             ;   in Loop: Header=BB8_1943 Depth=2
	global_wb scope:SCOPE_DEV
	s_wait_storecnt 0x0
	s_wait_loadcnt_dscnt 0x0
	global_inv scope:SCOPE_DEV
	s_barrier_signal -1
	s_barrier_wait -1
.LBB8_3756:                             ;   in Loop: Header=BB8_1943 Depth=2
	s_or_b32 exec_lo, exec_lo, s15
.LBB8_3757:                             ;   in Loop: Header=BB8_1943 Depth=2
	s_delay_alu instid0(SALU_CYCLE_1) | instskip(SKIP_2) | instid1(SALU_CYCLE_1)
	s_or_b32 exec_lo, exec_lo, s14
	v_and_b32_e32 v4, 16, v30
	s_and_saveexec_b32 s14, s12
	s_xor_b32 s14, exec_lo, s14
	s_cbranch_execz .LBB8_3761
; %bb.3758:                             ;   in Loop: Header=BB8_1943 Depth=2
	v_and_b32_e32 v2, 16, v30
	v_and_b32_e32 v4, 16, v30
	s_delay_alu instid0(VALU_DEP_2) | instskip(SKIP_1) | instid1(SALU_CYCLE_1)
	v_cmp_ne_u32_e32 vcc_lo, 0, v2
	s_and_b32 s15, vcc_lo, s13
	s_and_saveexec_b32 s13, s15
	s_cbranch_execz .LBB8_3760
; %bb.3759:                             ;   in Loop: Header=BB8_1943 Depth=2
	v_mov_b32_e32 v4, 1
	global_wb scope:SCOPE_SYS
	s_wait_storecnt 0x0
	s_wait_loadcnt_dscnt 0x0
	global_inv scope:SCOPE_SYS
.LBB8_3760:                             ;   in Loop: Header=BB8_1943 Depth=2
	s_or_b32 exec_lo, exec_lo, s13
.LBB8_3761:                             ;   in Loop: Header=BB8_1943 Depth=2
	s_and_not1_saveexec_b32 s13, s14
	s_cbranch_execz .LBB8_3780
; %bb.3762:                             ;   in Loop: Header=BB8_1943 Depth=2
	s_and_saveexec_b32 s14, s3
	s_delay_alu instid0(SALU_CYCLE_1)
	s_xor_b32 s14, exec_lo, s14
	s_cbranch_execz .LBB8_3777
; %bb.3763:                             ;   in Loop: Header=BB8_1943 Depth=2
	s_and_saveexec_b32 s15, s6
	s_cbranch_execz .LBB8_3776
; %bb.3764:                             ;   in Loop: Header=BB8_1943 Depth=2
	s_mov_b32 s41, exec_lo
	s_mov_b32 s40, exec_lo
	v_mbcnt_lo_u32_b32 v2, s41, 0
	;;#ASMSTART
	s_waitcnt lgkmcnt(0) vmcnt(0)
	;;#ASMEND
	s_delay_alu instid0(VALU_DEP_1)
	v_cmpx_eq_u32_e32 0, v2
	s_cbranch_execz .LBB8_3766
; %bb.3765:                             ;   in Loop: Header=BB8_1943 Depth=2
	s_bcnt1_i32_b32 s41, s41
	s_delay_alu instid0(SALU_CYCLE_1)
	v_mov_b32_e32 v2, s41
	s_wait_storecnt 0x0
	s_wait_loadcnt_dscnt 0x0
	ds_add_u64 v0, v[2:3]
	s_trap 2
.LBB8_3766:                             ;   in Loop: Header=BB8_1943 Depth=2
	s_or_b32 exec_lo, exec_lo, s40
	s_trap 2
	ds_load_b64 v[8:9], v0
	s_wait_dscnt 0x0
	v_add_nc_u64_e32 v[80:81], v[80:81], v[84:85]
	s_mov_b32 s40, exec_lo
	s_delay_alu instid0(VALU_DEP_1)
	v_cmpx_lt_u64_e64 v[8:9], v[80:81]
	s_cbranch_execz .LBB8_3775
; %bb.3767:                             ;   in Loop: Header=BB8_1943 Depth=2
	s_mov_b32 s41, 0
	s_mov_b32 s78, 0
                                        ; implicit-def: $sgpr76
                                        ; implicit-def: $sgpr77
	s_branch .LBB8_3769
.LBB8_3768:                             ;   in Loop: Header=BB8_3769 Depth=3
	s_or_b32 exec_lo, exec_lo, s88
	s_delay_alu instid0(SALU_CYCLE_1) | instskip(NEXT) | instid1(SALU_CYCLE_1)
	s_and_b32 s79, exec_lo, s89
	s_or_b32 s41, s79, s41
	s_and_not1_b32 s76, s76, exec_lo
	s_and_b32 s79, s77, exec_lo
	s_delay_alu instid0(SALU_CYCLE_1)
	s_or_b32 s76, s76, s79
	s_and_not1_b32 exec_lo, exec_lo, s41
	s_cbranch_execz .LBB8_3773
.LBB8_3769:                             ;   Parent Loop BB8_47 Depth=1
                                        ;     Parent Loop BB8_1943 Depth=2
                                        ; =>    This Inner Loop Header: Depth=3
	s_add_co_i32 s78, s78, 1
	s_delay_alu instid0(SALU_CYCLE_1) | instskip(SKIP_1) | instid1(SALU_CYCLE_1)
	s_cmp_lg_u32 s78, 0x2710
	s_cselect_b32 s79, -1, 0
	s_and_b32 vcc_lo, exec_lo, s79
	s_cbranch_vccz .LBB8_3771
; %bb.3770:                             ;   in Loop: Header=BB8_3769 Depth=3
	s_mov_b32 s89, -1
	s_or_b32 s77, s77, exec_lo
	s_and_saveexec_b32 s88, s79
	s_cbranch_execz .LBB8_3768
	s_branch .LBB8_3772
.LBB8_3771:                             ;   in Loop: Header=BB8_3769 Depth=3
	s_trap 2
	ds_load_b64 v[8:9], v0
	s_and_not1_b32 s79, s79, exec_lo
	s_mov_b32 s78, 0
	s_wait_storecnt 0x0
	s_wait_loadcnt_dscnt 0x0
	flat_load_b32 v2, v[8:9] scope:SCOPE_SYS
	s_wait_loadcnt_dscnt 0x0
	global_inv scope:SCOPE_SYS
	v_cmp_eq_u32_e32 vcc_lo, 0, v2
	s_and_b32 s88, vcc_lo, exec_lo
	s_delay_alu instid0(SALU_CYCLE_1)
	s_or_b32 s79, s79, s88
	s_mov_b32 s89, -1
	s_or_b32 s77, s77, exec_lo
	s_wait_xcnt 0x0
	s_and_saveexec_b32 s88, s79
	s_cbranch_execz .LBB8_3768
.LBB8_3772:                             ;   in Loop: Header=BB8_3769 Depth=3
	s_sleep 1
	s_trap 2
	ds_load_b64 v[8:9], v0
	s_wait_dscnt 0x0
	s_and_not1_b32 s77, s77, exec_lo
	v_cmp_ge_u64_e32 vcc_lo, v[8:9], v[80:81]
	s_or_not1_b32 s89, vcc_lo, exec_lo
	s_branch .LBB8_3768
.LBB8_3773:                             ;   in Loop: Header=BB8_1943 Depth=2
	s_or_b32 exec_lo, exec_lo, s41
	s_and_saveexec_b32 s41, s76
	s_delay_alu instid0(SALU_CYCLE_1)
	s_xor_b32 s41, exec_lo, s41
	s_cbranch_execz .LBB8_3775
; %bb.3774:                             ;   in Loop: Header=BB8_1943 Depth=2
	ds_store_b32 v0, v111
	s_trap 2
.LBB8_3775:                             ;   in Loop: Header=BB8_1943 Depth=2
	s_or_b32 exec_lo, exec_lo, s40
	;;#ASMSTART
	s_wakeup
	;;#ASMEND
.LBB8_3776:                             ;   in Loop: Header=BB8_1943 Depth=2
	s_or_b32 exec_lo, exec_lo, s15
.LBB8_3777:                             ;   in Loop: Header=BB8_1943 Depth=2
	s_and_not1_saveexec_b32 s14, s14
	s_cbranch_execz .LBB8_3779
; %bb.3778:                             ;   in Loop: Header=BB8_1943 Depth=2
	;;#ASMSTART
	s_waitcnt lgkmcnt(0) vmcnt(0)
	;;#ASMEND
	s_barrier_signal -1
	s_barrier_wait -1
.LBB8_3779:                             ;   in Loop: Header=BB8_1943 Depth=2
	s_or_b32 exec_lo, exec_lo, s14
.LBB8_3780:                             ;   in Loop: Header=BB8_1943 Depth=2
	s_delay_alu instid0(SALU_CYCLE_1) | instskip(SKIP_2) | instid1(SALU_CYCLE_1)
	s_or_b32 exec_lo, exec_lo, s13
	v_cmp_ne_u32_e32 vcc_lo, 0, v4
	s_xor_b32 s13, s4, -1
	s_and_b32 s14, vcc_lo, s13
	s_delay_alu instid0(SALU_CYCLE_1)
	s_and_saveexec_b32 s13, s14
	s_cbranch_execz .LBB8_3782
; %bb.3781:                             ;   in Loop: Header=BB8_1943 Depth=2
	global_wb scope:SCOPE_SYS
	s_wait_storecnt 0x0
	s_wait_loadcnt_dscnt 0x0
	flat_store_b32 v[70:71], v111 scope:SCOPE_SYS
.LBB8_3782:                             ;   in Loop: Header=BB8_1943 Depth=2
	s_wait_xcnt 0x0
	s_or_b32 exec_lo, exec_lo, s13
	v_and_b32_e32 v2, 48, v30
	s_mov_b32 s13, exec_lo
	s_delay_alu instid0(VALU_DEP_1)
	v_cmpx_ne_u32_e32 0, v2
	s_cbranch_execz .LBB8_1942
; %bb.3783:                             ;   in Loop: Header=BB8_1943 Depth=2
	v_add_nc_u64_e32 v[58:59], 2, v[58:59]
	global_wb scope:SCOPE_SYS
	s_wait_storecnt 0x0
	s_wait_loadcnt_dscnt 0x0
	flat_store_b64 v[64:65], v[58:59] scope:SCOPE_SYS
	s_branch .LBB8_1942
.LBB8_3784:                             ;   in Loop: Header=BB8_47 Depth=1
	s_or_b32 exec_lo, exec_lo, s27
.LBB8_3785:                             ;   in Loop: Header=BB8_47 Depth=1
	s_delay_alu instid0(SALU_CYCLE_1) | instskip(NEXT) | instid1(SALU_CYCLE_1)
	s_or_b32 exec_lo, exec_lo, s18
	s_mov_b32 s14, exec_lo
	v_cmpx_gt_i32_e32 2, v2
	s_cbranch_execz .LBB8_3861
; %bb.3786:                             ;   in Loop: Header=BB8_47 Depth=1
	v_cmp_eq_u32_e64 s18, 0, v2
	s_mov_b32 s15, 0
	s_branch .LBB8_3788
.LBB8_3787:                             ;   in Loop: Header=BB8_3788 Depth=2
	s_wait_xcnt 0x0
	s_or_b32 exec_lo, exec_lo, s13
	v_add_nc_u32_e32 v74, v72, v74
	s_mov_b32 s18, 0
	s_and_not1_b32 exec_lo, exec_lo, s15
	s_cbranch_execz .LBB8_3860
.LBB8_3788:                             ;   Parent Loop BB8_47 Depth=1
                                        ; =>  This Loop Header: Depth=2
                                        ;       Child Loop BB8_3794 Depth 3
                                        ;       Child Loop BB8_3822 Depth 3
	;; [unrolled: 1-line block ×3, first 2 shown]
	s_delay_alu instid0(VALU_DEP_1) | instskip(SKIP_2) | instid1(VALU_DEP_2)
	v_sub_nc_u32_e32 v2, v124, v74
	v_and_b32_e32 v4, 12, v30
	s_mov_b32 s27, exec_lo
	v_min_i32_e32 v72, v72, v2
	s_delay_alu instid0(VALU_DEP_2)
	v_cmpx_ne_u32_e32 0, v4
	s_cbranch_execz .LBB8_3814
; %bb.3789:                             ;   in Loop: Header=BB8_3788 Depth=2
	v_and_b32_e32 v2, 8, v30
	v_add_nc_u64_e32 v[8:9], 2, v[58:59]
	s_mov_b32 s40, exec_lo
	s_wait_loadcnt_dscnt 0x1
	s_delay_alu instid0(VALU_DEP_2) | instskip(NEXT) | instid1(VALU_DEP_1)
	v_add_nc_u64_e32 v[4:5], v[82:83], v[2:3]
	v_cmpx_lt_u64_e64 v[4:5], v[8:9]
	s_cbranch_execz .LBB8_3801
; %bb.3790:                             ;   in Loop: Header=BB8_3788 Depth=2
	v_and_b32_e32 v4, 64, v30
	s_mov_b32 s41, 0
	s_mov_b32 s77, 0
                                        ; implicit-def: $sgpr74
                                        ; implicit-def: $sgpr75
                                        ; implicit-def: $sgpr76
	s_delay_alu instid0(VALU_DEP_1)
	v_cmp_eq_u32_e32 vcc_lo, 0, v4
	s_branch .LBB8_3794
.LBB8_3791:                             ;   in Loop: Header=BB8_3794 Depth=3
	s_wait_loadcnt_dscnt 0x0
	v_add_nc_u64_e32 v[10:11], v[82:83], v[2:3]
	s_or_b32 s88, s88, exec_lo
	s_delay_alu instid0(VALU_DEP_1)
	v_cmp_ge_u64_e64 s13, v[10:11], v[8:9]
	s_or_not1_b32 s79, s13, exec_lo
.LBB8_3792:                             ;   in Loop: Header=BB8_3794 Depth=3
	s_or_b32 exec_lo, exec_lo, s90
	s_delay_alu instid0(SALU_CYCLE_1)
	s_and_not1_b32 s13, s76, exec_lo
	s_and_b32 s76, s88, exec_lo
	s_and_not1_b32 s75, s75, exec_lo
	s_and_b32 s79, s79, exec_lo
	s_or_b32 s76, s13, s76
	s_or_b32 s75, s75, s79
.LBB8_3793:                             ;   in Loop: Header=BB8_3794 Depth=3
	s_or_b32 exec_lo, exec_lo, s78
	s_delay_alu instid0(SALU_CYCLE_1) | instskip(NEXT) | instid1(SALU_CYCLE_1)
	s_and_b32 s13, exec_lo, s75
	s_or_b32 s41, s13, s41
	s_and_not1_b32 s13, s74, exec_lo
	s_and_b32 s74, s76, exec_lo
	s_delay_alu instid0(SALU_CYCLE_1)
	s_or_b32 s74, s13, s74
	s_and_not1_b32 exec_lo, exec_lo, s41
	s_cbranch_execz .LBB8_3798
.LBB8_3794:                             ;   Parent Loop BB8_47 Depth=1
                                        ;     Parent Loop BB8_3788 Depth=2
                                        ; =>    This Inner Loop Header: Depth=3
	s_sleep 1
	s_wait_loadcnt_dscnt 0x0
	flat_load_b64 v[82:83], v[64:65] scope:SCOPE_SYS
	s_or_b32 s76, s76, exec_lo
	s_or_b32 s75, s75, exec_lo
                                        ; implicit-def: $vgpr4
	s_wait_xcnt 0x0
	s_and_saveexec_b32 s78, vcc_lo
	s_cbranch_execz .LBB8_3793
; %bb.3795:                             ;   in Loop: Header=BB8_3794 Depth=3
	s_cmp_lt_i32 s77, 0x270f
	s_mov_b32 s79, -1
	s_cselect_b32 s89, -1, 0
	s_cmp_gt_i32 s77, 0x270e
	s_cbranch_scc0 .LBB8_3797
; %bb.3796:                             ;   in Loop: Header=BB8_3794 Depth=3
	s_trap 2
	ds_load_b64 v[4:5], v0
	s_and_not1_b32 s77, s89, exec_lo
	s_mov_b32 s88, 0
	s_wait_storecnt 0x0
	s_wait_loadcnt_dscnt 0x0
	flat_load_b32 v4, v[4:5] scope:SCOPE_SYS
	s_wait_loadcnt_dscnt 0x0
	global_inv scope:SCOPE_SYS
	v_cmp_eq_u32_e64 s13, 0, v4
	s_and_b32 s13, s13, exec_lo
	s_delay_alu instid0(SALU_CYCLE_1)
	s_or_b32 s89, s77, s13
	s_mov_b32 s77, 0
	s_wait_xcnt 0x0
	s_and_saveexec_b32 s90, s89
	s_cbranch_execz .LBB8_3792
	s_branch .LBB8_3791
.LBB8_3797:                             ;   in Loop: Header=BB8_3794 Depth=3
	s_add_co_i32 s77, s77, 1
	s_mov_b32 s88, -1
                                        ; implicit-def: $vgpr4
	s_and_saveexec_b32 s90, s89
	s_cbranch_execz .LBB8_3792
	s_branch .LBB8_3791
.LBB8_3798:                             ;   in Loop: Header=BB8_3788 Depth=2
	s_or_b32 exec_lo, exec_lo, s41
	s_xor_b32 s13, s74, -1
	s_delay_alu instid0(SALU_CYCLE_1) | instskip(NEXT) | instid1(SALU_CYCLE_1)
	s_and_saveexec_b32 s41, s13
	s_xor_b32 s13, exec_lo, s41
	s_cbranch_execz .LBB8_3800
; %bb.3799:                             ;   in Loop: Header=BB8_3788 Depth=2
	v_or_b32_e32 v30, 64, v30
	s_wait_storecnt 0x0
	s_wait_loadcnt_dscnt 0x0
	ds_store_b32 v0, v4
	s_trap 2
.LBB8_3800:                             ;   in Loop: Header=BB8_3788 Depth=2
	s_or_b32 exec_lo, exec_lo, s13
.LBB8_3801:                             ;   in Loop: Header=BB8_3788 Depth=2
	s_delay_alu instid0(SALU_CYCLE_1) | instskip(SKIP_4) | instid1(VALU_DEP_2)
	s_or_b32 exec_lo, exec_lo, s40
	v_and_b32_e32 v4, 0x108, v30
	v_and_b32_e32 v10, 7, v58
	s_mov_b32 s13, exec_lo
	;;#ASMSTART
	s_wakeup
	;;#ASMEND
	v_cmpx_ne_u32_e32 0x108, v4
	s_xor_b32 s13, exec_lo, s13
; %bb.3802:                             ;   in Loop: Header=BB8_3788 Depth=2
	v_mov_b32_e32 v11, v3
; %bb.3803:                             ;   in Loop: Header=BB8_3788 Depth=2
	s_and_not1_saveexec_b32 s13, s13
	s_cbranch_execz .LBB8_3805
; %bb.3804:                             ;   in Loop: Header=BB8_3788 Depth=2
	v_dual_ashrrev_i32 v73, 31, v72 :: v_dual_mov_b32 v11, v3
	v_mad_nc_u64_u32 v[4:5], v10, 24, v[6:7]
	s_delay_alu instid0(VALU_DEP_2)
	v_lshlrev_b64_e32 v[12:13], 1, v[72:73]
	flat_store_b64 v[4:5], v[12:13] offset:8
.LBB8_3805:                             ;   in Loop: Header=BB8_3788 Depth=2
	s_wait_xcnt 0x0
	s_or_b32 exec_lo, exec_lo, s13
	v_and_b32_e32 v4, 0x100, v30
	s_mov_b32 s13, -1
	s_mov_b32 s40, exec_lo
                                        ; implicit-def: $vgpr12_vgpr13
	s_delay_alu instid0(VALU_DEP_1)
	v_cmpx_ne_u32_e32 0, v4
	s_cbranch_execz .LBB8_3809
; %bb.3806:                             ;   in Loop: Header=BB8_3788 Depth=2
	v_mad_nc_u64_u32 v[14:15], v10, 24, v[6:7]
	s_mov_b32 s41, exec_lo
                                        ; implicit-def: $vgpr12_vgpr13
	s_delay_alu instid0(VALU_DEP_1)
	v_mad_u32 v15, v11, 24, v15
	flat_load_b32 v4, v[14:15]
	s_wait_loadcnt_dscnt 0x0
	v_cmp_ne_u32_e32 vcc_lo, 1, v4
	s_wait_xcnt 0x0
	v_cmpx_eq_u32_e32 1, v4
	s_cbranch_execz .LBB8_3808
; %bb.3807:                             ;   in Loop: Header=BB8_3788 Depth=2
	flat_load_b32 v4, v[14:15] offset:4 scope:SCOPE_SYS
	s_wait_loadcnt_dscnt 0x0
	v_ashrrev_i32_e32 v5, 31, v4
	s_delay_alu instid0(VALU_DEP_1)
	v_lshrrev_b64 v[12:13], 1, v[4:5]
.LBB8_3808:                             ;   in Loop: Header=BB8_3788 Depth=2
	s_wait_xcnt 0x0
	s_or_b32 exec_lo, exec_lo, s41
	s_delay_alu instid0(SALU_CYCLE_1)
	s_or_not1_b32 s13, vcc_lo, exec_lo
.LBB8_3809:                             ;   in Loop: Header=BB8_3788 Depth=2
	s_or_b32 exec_lo, exec_lo, s40
	s_and_saveexec_b32 s40, s13
; %bb.3810:                             ;   in Loop: Header=BB8_3788 Depth=2
	v_mul_u64_e32 v[12:13], v[10:11], v[66:67]
; %bb.3811:                             ;   in Loop: Header=BB8_3788 Depth=2
	s_or_b32 exec_lo, exec_lo, s40
	v_cmp_eq_u32_e32 vcc_lo, 0, v2
	v_and_b32_e32 v10, 0x2000, v30
	s_delay_alu instid0(VALU_DEP_3) | instskip(SKIP_2) | instid1(VALU_DEP_1)
	v_lshl_add_u64 v[4:5], v[12:13], 1, v[68:69]
	s_mov_b32 s13, exec_lo
	v_cndmask_b32_e32 v2, 0xd0, v120, vcc_lo
	v_add_nc_u32_e32 v2, v0, v2
	ds_store_b64 v2, v[4:5] offset:584
	v_cmpx_ne_u32_e32 0, v10
	s_cbranch_execz .LBB8_3813
; %bb.3812:                             ;   in Loop: Header=BB8_3788 Depth=2
	ds_load_b64 v[4:5], v0 offset:872
	s_wait_dscnt 0x0
	v_add_nc_u64_e32 v[4:5], 1, v[4:5]
	ds_store_b64 v0, v[4:5] offset:872
.LBB8_3813:                             ;   in Loop: Header=BB8_3788 Depth=2
	s_or_b32 exec_lo, exec_lo, s13
	v_mov_b64_e32 v[58:59], v[8:9]
.LBB8_3814:                             ;   in Loop: Header=BB8_3788 Depth=2
	s_or_b32 exec_lo, exec_lo, s27
	s_xor_b32 s13, s18, -1
	s_delay_alu instid0(SALU_CYCLE_1) | instskip(NEXT) | instid1(SALU_CYCLE_1)
	s_and_b32 s13, exec_lo, s13
	s_or_b32 s15, s13, s15
	s_and_saveexec_b32 s13, s2
	s_cbranch_execz .LBB8_3833
; %bb.3815:                             ;   in Loop: Header=BB8_3788 Depth=2
	s_and_saveexec_b32 s18, s3
	s_delay_alu instid0(SALU_CYCLE_1)
	s_xor_b32 s18, exec_lo, s18
	s_cbranch_execz .LBB8_3830
; %bb.3816:                             ;   in Loop: Header=BB8_3788 Depth=2
	s_and_saveexec_b32 s27, s6
	s_cbranch_execz .LBB8_3829
; %bb.3817:                             ;   in Loop: Header=BB8_3788 Depth=2
	s_mov_b32 s41, exec_lo
	s_mov_b32 s40, exec_lo
	v_mbcnt_lo_u32_b32 v2, s41, 0
	global_wb scope:SCOPE_DEV
	s_wait_storecnt 0x0
	s_wait_loadcnt_dscnt 0x0
	global_inv scope:SCOPE_DEV
	v_cmpx_eq_u32_e32 0, v2
	s_cbranch_execz .LBB8_3819
; %bb.3818:                             ;   in Loop: Header=BB8_3788 Depth=2
	s_bcnt1_i32_b32 s41, s41
	s_delay_alu instid0(SALU_CYCLE_1)
	v_mov_b32_e32 v2, s41
	s_wait_loadcnt 0x0
	ds_add_u64 v0, v[2:3]
	s_trap 2
.LBB8_3819:                             ;   in Loop: Header=BB8_3788 Depth=2
	s_or_b32 exec_lo, exec_lo, s40
	s_trap 2
	ds_load_b64 v[4:5], v0
	s_wait_dscnt 0x0
	v_add_nc_u64_e32 v[80:81], v[80:81], v[84:85]
	s_mov_b32 s40, exec_lo
	s_delay_alu instid0(VALU_DEP_1)
	v_cmpx_lt_u64_e64 v[4:5], v[80:81]
	s_cbranch_execz .LBB8_3828
; %bb.3820:                             ;   in Loop: Header=BB8_3788 Depth=2
	s_mov_b32 s41, 0
	s_mov_b32 s76, 0
                                        ; implicit-def: $sgpr74
                                        ; implicit-def: $sgpr75
	s_branch .LBB8_3822
.LBB8_3821:                             ;   in Loop: Header=BB8_3822 Depth=3
	s_or_b32 exec_lo, exec_lo, s78
	s_delay_alu instid0(SALU_CYCLE_1) | instskip(NEXT) | instid1(SALU_CYCLE_1)
	s_and_b32 s77, exec_lo, s79
	s_or_b32 s41, s77, s41
	s_and_not1_b32 s74, s74, exec_lo
	s_and_b32 s77, s75, exec_lo
	s_delay_alu instid0(SALU_CYCLE_1)
	s_or_b32 s74, s74, s77
	s_and_not1_b32 exec_lo, exec_lo, s41
	s_cbranch_execz .LBB8_3826
.LBB8_3822:                             ;   Parent Loop BB8_47 Depth=1
                                        ;     Parent Loop BB8_3788 Depth=2
                                        ; =>    This Inner Loop Header: Depth=3
	s_add_co_i32 s76, s76, 1
	s_delay_alu instid0(SALU_CYCLE_1) | instskip(SKIP_1) | instid1(SALU_CYCLE_1)
	s_cmp_lg_u32 s76, 0x2710
	s_cselect_b32 s77, -1, 0
	s_and_b32 vcc_lo, exec_lo, s77
	s_cbranch_vccz .LBB8_3824
; %bb.3823:                             ;   in Loop: Header=BB8_3822 Depth=3
	s_mov_b32 s79, -1
	s_or_b32 s75, s75, exec_lo
	s_and_saveexec_b32 s78, s77
	s_cbranch_execz .LBB8_3821
	s_branch .LBB8_3825
.LBB8_3824:                             ;   in Loop: Header=BB8_3822 Depth=3
	s_trap 2
	ds_load_b64 v[4:5], v0
	s_and_not1_b32 s77, s77, exec_lo
	s_mov_b32 s76, 0
	s_wait_loadcnt_dscnt 0x0
	flat_load_b32 v2, v[4:5] scope:SCOPE_SYS
	s_wait_loadcnt_dscnt 0x0
	global_inv scope:SCOPE_SYS
	v_cmp_eq_u32_e32 vcc_lo, 0, v2
	s_and_b32 s78, vcc_lo, exec_lo
	s_delay_alu instid0(SALU_CYCLE_1)
	s_or_b32 s77, s77, s78
	s_mov_b32 s79, -1
	s_or_b32 s75, s75, exec_lo
	s_wait_xcnt 0x0
	s_and_saveexec_b32 s78, s77
	s_cbranch_execz .LBB8_3821
.LBB8_3825:                             ;   in Loop: Header=BB8_3822 Depth=3
	s_sleep 1
	s_trap 2
	ds_load_b64 v[4:5], v0
	s_wait_dscnt 0x0
	s_and_not1_b32 s75, s75, exec_lo
	v_cmp_ge_u64_e32 vcc_lo, v[4:5], v[80:81]
	s_or_not1_b32 s79, vcc_lo, exec_lo
	s_branch .LBB8_3821
.LBB8_3826:                             ;   in Loop: Header=BB8_3788 Depth=2
	s_or_b32 exec_lo, exec_lo, s41
	s_and_saveexec_b32 s41, s74
	s_delay_alu instid0(SALU_CYCLE_1)
	s_xor_b32 s41, exec_lo, s41
	s_cbranch_execz .LBB8_3828
; %bb.3827:                             ;   in Loop: Header=BB8_3788 Depth=2
	ds_store_b32 v0, v111
	s_trap 2
.LBB8_3828:                             ;   in Loop: Header=BB8_3788 Depth=2
	s_or_b32 exec_lo, exec_lo, s40
	;;#ASMSTART
	s_wakeup
	;;#ASMEND
.LBB8_3829:                             ;   in Loop: Header=BB8_3788 Depth=2
	s_or_b32 exec_lo, exec_lo, s27
.LBB8_3830:                             ;   in Loop: Header=BB8_3788 Depth=2
	s_and_not1_saveexec_b32 s18, s18
	s_cbranch_execz .LBB8_3832
; %bb.3831:                             ;   in Loop: Header=BB8_3788 Depth=2
	global_wb scope:SCOPE_DEV
	s_wait_storecnt 0x0
	s_wait_loadcnt_dscnt 0x0
	global_inv scope:SCOPE_DEV
	s_barrier_signal -1
	s_barrier_wait -1
.LBB8_3832:                             ;   in Loop: Header=BB8_3788 Depth=2
	s_or_b32 exec_lo, exec_lo, s18
.LBB8_3833:                             ;   in Loop: Header=BB8_3788 Depth=2
	s_delay_alu instid0(SALU_CYCLE_1) | instskip(SKIP_2) | instid1(SALU_CYCLE_1)
	s_or_b32 exec_lo, exec_lo, s13
	v_and_b32_e32 v4, 16, v30
	s_and_saveexec_b32 s13, s12
	s_xor_b32 s18, exec_lo, s13
	s_cbranch_execz .LBB8_3837
; %bb.3834:                             ;   in Loop: Header=BB8_3788 Depth=2
	s_trap 2
	ds_load_b32 v2, v0
	v_cmp_lt_i32_e32 vcc_lo, 0, v72
	v_and_b32_e32 v4, 16, v30
	s_wait_dscnt 0x0
	v_readfirstlane_b32 s13, v2
	v_and_b32_e32 v2, 16, v30
	s_cmp_eq_u32 s13, 0
	s_delay_alu instid0(VALU_DEP_1) | instskip(SKIP_1) | instid1(SALU_CYCLE_1)
	v_cmp_ne_u32_e64 s13, 0, v2
	s_cselect_b32 s27, -1, 0
	s_and_b32 s27, vcc_lo, s27
	s_delay_alu instid0(SALU_CYCLE_1) | instskip(NEXT) | instid1(SALU_CYCLE_1)
	s_and_b32 s27, s13, s27
	s_and_saveexec_b32 s13, s27
	s_cbranch_execz .LBB8_3836
; %bb.3835:                             ;   in Loop: Header=BB8_3788 Depth=2
	v_mov_b32_e32 v4, 1
	global_wb scope:SCOPE_SYS
	s_wait_loadcnt 0x0
	s_wait_storecnt 0x0
	global_inv scope:SCOPE_SYS
.LBB8_3836:                             ;   in Loop: Header=BB8_3788 Depth=2
	s_or_b32 exec_lo, exec_lo, s13
.LBB8_3837:                             ;   in Loop: Header=BB8_3788 Depth=2
	s_and_not1_saveexec_b32 s13, s18
	s_cbranch_execz .LBB8_3856
; %bb.3838:                             ;   in Loop: Header=BB8_3788 Depth=2
	s_and_saveexec_b32 s18, s3
	s_delay_alu instid0(SALU_CYCLE_1)
	s_xor_b32 s18, exec_lo, s18
	s_cbranch_execz .LBB8_3853
; %bb.3839:                             ;   in Loop: Header=BB8_3788 Depth=2
	s_and_saveexec_b32 s27, s6
	s_cbranch_execz .LBB8_3852
; %bb.3840:                             ;   in Loop: Header=BB8_3788 Depth=2
	s_mov_b32 s41, exec_lo
	s_mov_b32 s40, exec_lo
	v_mbcnt_lo_u32_b32 v2, s41, 0
	;;#ASMSTART
	s_waitcnt lgkmcnt(0) vmcnt(0)
	;;#ASMEND
	s_delay_alu instid0(VALU_DEP_1)
	v_cmpx_eq_u32_e32 0, v2
	s_cbranch_execz .LBB8_3842
; %bb.3841:                             ;   in Loop: Header=BB8_3788 Depth=2
	s_bcnt1_i32_b32 s41, s41
	s_delay_alu instid0(SALU_CYCLE_1)
	v_mov_b32_e32 v2, s41
	s_wait_storecnt 0x0
	s_wait_loadcnt_dscnt 0x0
	ds_add_u64 v0, v[2:3]
	s_trap 2
.LBB8_3842:                             ;   in Loop: Header=BB8_3788 Depth=2
	s_or_b32 exec_lo, exec_lo, s40
	s_trap 2
	ds_load_b64 v[8:9], v0
	s_wait_dscnt 0x0
	v_add_nc_u64_e32 v[80:81], v[80:81], v[84:85]
	s_mov_b32 s40, exec_lo
	s_delay_alu instid0(VALU_DEP_1)
	v_cmpx_lt_u64_e64 v[8:9], v[80:81]
	s_cbranch_execz .LBB8_3851
; %bb.3843:                             ;   in Loop: Header=BB8_3788 Depth=2
	s_mov_b32 s41, 0
	s_mov_b32 s76, 0
                                        ; implicit-def: $sgpr74
                                        ; implicit-def: $sgpr75
	s_branch .LBB8_3845
.LBB8_3844:                             ;   in Loop: Header=BB8_3845 Depth=3
	s_or_b32 exec_lo, exec_lo, s78
	s_delay_alu instid0(SALU_CYCLE_1) | instskip(NEXT) | instid1(SALU_CYCLE_1)
	s_and_b32 s77, exec_lo, s79
	s_or_b32 s41, s77, s41
	s_and_not1_b32 s74, s74, exec_lo
	s_and_b32 s77, s75, exec_lo
	s_delay_alu instid0(SALU_CYCLE_1)
	s_or_b32 s74, s74, s77
	s_and_not1_b32 exec_lo, exec_lo, s41
	s_cbranch_execz .LBB8_3849
.LBB8_3845:                             ;   Parent Loop BB8_47 Depth=1
                                        ;     Parent Loop BB8_3788 Depth=2
                                        ; =>    This Inner Loop Header: Depth=3
	s_add_co_i32 s76, s76, 1
	s_delay_alu instid0(SALU_CYCLE_1) | instskip(SKIP_1) | instid1(SALU_CYCLE_1)
	s_cmp_lg_u32 s76, 0x2710
	s_cselect_b32 s77, -1, 0
	s_and_b32 vcc_lo, exec_lo, s77
	s_cbranch_vccz .LBB8_3847
; %bb.3846:                             ;   in Loop: Header=BB8_3845 Depth=3
	s_mov_b32 s79, -1
	s_or_b32 s75, s75, exec_lo
	s_and_saveexec_b32 s78, s77
	s_cbranch_execz .LBB8_3844
	s_branch .LBB8_3848
.LBB8_3847:                             ;   in Loop: Header=BB8_3845 Depth=3
	s_trap 2
	ds_load_b64 v[8:9], v0
	s_and_not1_b32 s77, s77, exec_lo
	s_mov_b32 s76, 0
	s_wait_storecnt 0x0
	s_wait_loadcnt_dscnt 0x0
	flat_load_b32 v2, v[8:9] scope:SCOPE_SYS
	s_wait_loadcnt_dscnt 0x0
	global_inv scope:SCOPE_SYS
	v_cmp_eq_u32_e32 vcc_lo, 0, v2
	s_and_b32 s78, vcc_lo, exec_lo
	s_delay_alu instid0(SALU_CYCLE_1)
	s_or_b32 s77, s77, s78
	s_mov_b32 s79, -1
	s_or_b32 s75, s75, exec_lo
	s_wait_xcnt 0x0
	s_and_saveexec_b32 s78, s77
	s_cbranch_execz .LBB8_3844
.LBB8_3848:                             ;   in Loop: Header=BB8_3845 Depth=3
	s_sleep 1
	s_trap 2
	ds_load_b64 v[8:9], v0
	s_wait_dscnt 0x0
	s_and_not1_b32 s75, s75, exec_lo
	v_cmp_ge_u64_e32 vcc_lo, v[8:9], v[80:81]
	s_or_not1_b32 s79, vcc_lo, exec_lo
	s_branch .LBB8_3844
.LBB8_3849:                             ;   in Loop: Header=BB8_3788 Depth=2
	s_or_b32 exec_lo, exec_lo, s41
	s_and_saveexec_b32 s41, s74
	s_delay_alu instid0(SALU_CYCLE_1)
	s_xor_b32 s41, exec_lo, s41
	s_cbranch_execz .LBB8_3851
; %bb.3850:                             ;   in Loop: Header=BB8_3788 Depth=2
	ds_store_b32 v0, v111
	s_trap 2
.LBB8_3851:                             ;   in Loop: Header=BB8_3788 Depth=2
	s_or_b32 exec_lo, exec_lo, s40
	;;#ASMSTART
	s_wakeup
	;;#ASMEND
.LBB8_3852:                             ;   in Loop: Header=BB8_3788 Depth=2
	s_or_b32 exec_lo, exec_lo, s27
.LBB8_3853:                             ;   in Loop: Header=BB8_3788 Depth=2
	s_and_not1_saveexec_b32 s18, s18
	s_cbranch_execz .LBB8_3855
; %bb.3854:                             ;   in Loop: Header=BB8_3788 Depth=2
	;;#ASMSTART
	s_waitcnt lgkmcnt(0) vmcnt(0)
	;;#ASMEND
	s_barrier_signal -1
	s_barrier_wait -1
.LBB8_3855:                             ;   in Loop: Header=BB8_3788 Depth=2
	s_or_b32 exec_lo, exec_lo, s18
.LBB8_3856:                             ;   in Loop: Header=BB8_3788 Depth=2
	s_delay_alu instid0(SALU_CYCLE_1) | instskip(SKIP_2) | instid1(SALU_CYCLE_1)
	s_or_b32 exec_lo, exec_lo, s13
	v_cmp_ne_u32_e32 vcc_lo, 0, v4
	s_xor_b32 s13, s4, -1
	s_and_b32 s18, vcc_lo, s13
	s_delay_alu instid0(SALU_CYCLE_1)
	s_and_saveexec_b32 s13, s18
	s_cbranch_execz .LBB8_3858
; %bb.3857:                             ;   in Loop: Header=BB8_3788 Depth=2
	global_wb scope:SCOPE_SYS
	s_wait_storecnt 0x0
	s_wait_loadcnt_dscnt 0x0
	flat_store_b32 v[70:71], v111 scope:SCOPE_SYS
.LBB8_3858:                             ;   in Loop: Header=BB8_3788 Depth=2
	s_wait_xcnt 0x0
	s_or_b32 exec_lo, exec_lo, s13
	v_and_b32_e32 v2, 48, v30
	s_mov_b32 s13, exec_lo
	s_delay_alu instid0(VALU_DEP_1)
	v_cmpx_ne_u32_e32 0, v2
	s_cbranch_execz .LBB8_3787
; %bb.3859:                             ;   in Loop: Header=BB8_3788 Depth=2
	v_add_nc_u64_e32 v[58:59], 2, v[58:59]
	global_wb scope:SCOPE_SYS
	s_wait_storecnt 0x0
	s_wait_loadcnt_dscnt 0x0
	flat_store_b64 v[64:65], v[58:59] scope:SCOPE_SYS
	s_branch .LBB8_3787
.LBB8_3860:                             ;   in Loop: Header=BB8_47 Depth=1
	s_or_b32 exec_lo, exec_lo, s15
.LBB8_3861:                             ;   in Loop: Header=BB8_47 Depth=1
	s_delay_alu instid0(SALU_CYCLE_1) | instskip(NEXT) | instid1(SALU_CYCLE_1)
	s_or_b32 exec_lo, exec_lo, s14
	s_and_not1_b32 vcc_lo, exec_lo, s46
	s_cbranch_vccnz .LBB8_4184
; %bb.3862:                             ;   in Loop: Header=BB8_47 Depth=1
	s_mov_b32 s18, 1
.LBB8_3863:                             ;   Parent Loop BB8_47 Depth=1
                                        ; =>  This Loop Header: Depth=2
                                        ;       Child Loop BB8_3866 Depth 3
                                        ;         Child Loop BB8_3874 Depth 4
                                        ;         Child Loop BB8_3902 Depth 4
	;; [unrolled: 1-line block ×5, first 2 shown]
                                        ;           Child Loop BB8_3964 Depth 5
                                        ;           Child Loop BB8_3969 Depth 5
                                        ;         Child Loop BB8_3975 Depth 4
                                        ;         Child Loop BB8_3983 Depth 4
	;; [unrolled: 1-line block ×3, first 2 shown]
                                        ;           Child Loop BB8_3995 Depth 5
                                        ;           Child Loop BB8_4000 Depth 5
                                        ;         Child Loop BB8_4004 Depth 4
                                        ;         Child Loop BB8_4016 Depth 4
	;; [unrolled: 1-line block ×7, first 2 shown]
                                        ;       Child Loop BB8_4109 Depth 3
                                        ;         Child Loop BB8_4115 Depth 4
                                        ;         Child Loop BB8_4143 Depth 4
	;; [unrolled: 1-line block ×3, first 2 shown]
	s_delay_alu instid0(SALU_CYCLE_1) | instskip(SKIP_4) | instid1(SALU_CYCLE_1)
	s_sub_co_i32 s13, s44, s18
	s_mov_b32 s74, 0
	s_cmp_ge_i32 s13, s16
	v_mov_b32_e32 v74, 0
	s_cselect_b32 s14, s16, 0
	s_sub_co_i32 s14, s13, s14
	s_delay_alu instid0(SALU_CYCLE_1) | instskip(NEXT) | instid1(SALU_CYCLE_1)
	s_ashr_i32 s15, s14, 31
	v_mul_u64_e32 v[8:9], s[14:15], v[56:57]
	s_delay_alu instid0(VALU_DEP_1) | instskip(NEXT) | instid1(VALU_DEP_1)
	v_sub_nc_u64_e32 v[4:5], v[60:61], v[8:9]
	v_min_i64 v[4:5], v[56:57], v[4:5]
	s_delay_alu instid0(VALU_DEP_1) | instskip(SKIP_1) | instid1(VALU_DEP_2)
	v_max_i32_e32 v104, 0, v4
	v_cmp_lt_i32_e32 vcc_lo, 0, v4
	v_add_nc_u32_e32 v2, 31, v104
	s_and_b32 s13, s63, vcc_lo
	s_delay_alu instid0(VALU_DEP_1) | instskip(NEXT) | instid1(VALU_DEP_1)
	v_lshrrev_b32_e32 v2, 1, v2
	v_and_b32_e32 v5, 0x3ffffff0, v2
	s_delay_alu instid0(VALU_DEP_1)
	v_dual_mov_b32 v2, 0 :: v_dual_max_i32 v72, s45, v5
	s_and_saveexec_b32 s27, s13
	s_cbranch_execz .LBB8_4106
; %bb.3864:                             ;   in Loop: Header=BB8_3863 Depth=2
	v_add_nc_u64_e32 v[4:5], v[8:9], v[62:63]
	v_mov_b32_e32 v74, 0
	s_mov_b32 s76, 1
	s_mov_b32 s75, -1
	s_delay_alu instid0(VALU_DEP_2)
	v_lshlrev_b64_e32 v[76:77], 1, v[4:5]
	s_branch .LBB8_3866
.LBB8_3865:                             ;   in Loop: Header=BB8_3866 Depth=3
	s_wait_xcnt 0x0
	s_or_b32 exec_lo, exec_lo, s13
	v_dual_add_nc_u32 v74, v72, v74 :: v_dual_mov_b32 v2, s76
	s_xor_b32 s13, s75, -1
	s_mov_b32 s75, 0
	s_mov_b32 s76, 2
	s_delay_alu instid0(VALU_DEP_1) | instskip(SKIP_1) | instid1(SALU_CYCLE_1)
	v_cmp_ge_i32_e32 vcc_lo, v74, v104
	s_or_b32 s13, s13, vcc_lo
	s_and_b32 s13, exec_lo, s13
	s_delay_alu instid0(SALU_CYCLE_1) | instskip(NEXT) | instid1(SALU_CYCLE_1)
	s_or_b32 s74, s13, s74
	s_and_not1_b32 exec_lo, exec_lo, s74
	s_cbranch_execz .LBB8_4105
.LBB8_3866:                             ;   Parent Loop BB8_47 Depth=1
                                        ;     Parent Loop BB8_3863 Depth=2
                                        ; =>    This Loop Header: Depth=3
                                        ;         Child Loop BB8_3874 Depth 4
                                        ;         Child Loop BB8_3902 Depth 4
	;; [unrolled: 1-line block ×5, first 2 shown]
                                        ;           Child Loop BB8_3964 Depth 5
                                        ;           Child Loop BB8_3969 Depth 5
                                        ;         Child Loop BB8_3975 Depth 4
                                        ;         Child Loop BB8_3983 Depth 4
	;; [unrolled: 1-line block ×3, first 2 shown]
                                        ;           Child Loop BB8_3995 Depth 5
                                        ;           Child Loop BB8_4000 Depth 5
                                        ;         Child Loop BB8_4004 Depth 4
                                        ;         Child Loop BB8_4016 Depth 4
	;; [unrolled: 1-line block ×7, first 2 shown]
	s_and_saveexec_b32 s13, s0
	s_cbranch_execz .LBB8_3868
; %bb.3867:                             ;   in Loop: Header=BB8_3866 Depth=3
	s_trap 2
	ds_load_b128 v[8:11], v0
	s_wait_dscnt 0x0
	v_cmp_ne_u64_e32 vcc_lo, 0, v[10:11]
	v_ashrrev_i32_e32 v75, 31, v74
	v_add_nc_u64_e32 v[12:13], v[10:11], v[76:77]
	v_add_nc_u64_e32 v[8:9], v[8:9], v[76:77]
	s_delay_alu instid0(VALU_DEP_3) | instskip(NEXT) | instid1(VALU_DEP_1)
	v_lshlrev_b64_e32 v[4:5], 1, v[74:75]
	v_add_nc_u64_e32 v[12:13], v[12:13], v[4:5]
	s_delay_alu instid0(VALU_DEP_3) | instskip(NEXT) | instid1(VALU_DEP_2)
	v_add_nc_u64_e32 v[4:5], v[8:9], v[4:5]
	v_dual_cndmask_b32 v9, 0, v13 :: v_dual_cndmask_b32 v8, 0, v12
	ds_store_b64 v0, v[4:5]
	ds_store_b64 v0, v[8:9]
.LBB8_3868:                             ;   in Loop: Header=BB8_3866 Depth=3
	s_or_b32 exec_lo, exec_lo, s13
	v_sub_nc_u32_e32 v2, v104, v74
	v_and_b32_e32 v4, 12, v30
	s_mov_b32 s14, exec_lo
	s_delay_alu instid0(VALU_DEP_2) | instskip(NEXT) | instid1(VALU_DEP_2)
	v_min_i32_e32 v72, v72, v2
	v_cmpx_ne_u32_e32 0, v4
	s_cbranch_execz .LBB8_3894
; %bb.3869:                             ;   in Loop: Header=BB8_3866 Depth=3
	v_and_b32_e32 v2, 8, v30
	v_add_nc_u64_e32 v[8:9], 2, v[58:59]
	s_mov_b32 s15, exec_lo
	s_wait_loadcnt_dscnt 0x1
	s_delay_alu instid0(VALU_DEP_2) | instskip(NEXT) | instid1(VALU_DEP_1)
	v_add_nc_u64_e32 v[4:5], v[82:83], v[2:3]
	v_cmpx_lt_u64_e64 v[4:5], v[8:9]
	s_cbranch_execz .LBB8_3881
; %bb.3870:                             ;   in Loop: Header=BB8_3866 Depth=3
	v_and_b32_e32 v4, 64, v30
	s_mov_b32 s40, 0
	s_mov_b32 s79, 0
                                        ; implicit-def: $sgpr41
                                        ; implicit-def: $sgpr77
                                        ; implicit-def: $sgpr78
	s_delay_alu instid0(VALU_DEP_1)
	v_cmp_eq_u32_e32 vcc_lo, 0, v4
	s_branch .LBB8_3874
.LBB8_3871:                             ;   in Loop: Header=BB8_3874 Depth=4
	s_wait_loadcnt_dscnt 0x0
	v_add_nc_u64_e32 v[10:11], v[82:83], v[2:3]
	s_or_b32 s90, s90, exec_lo
	s_delay_alu instid0(VALU_DEP_1)
	v_cmp_ge_u64_e64 s13, v[10:11], v[8:9]
	s_or_not1_b32 s89, s13, exec_lo
.LBB8_3872:                             ;   in Loop: Header=BB8_3874 Depth=4
	s_or_b32 exec_lo, exec_lo, s92
	s_delay_alu instid0(SALU_CYCLE_1)
	s_and_not1_b32 s13, s78, exec_lo
	s_and_b32 s78, s90, exec_lo
	s_and_not1_b32 s77, s77, exec_lo
	s_and_b32 s89, s89, exec_lo
	s_or_b32 s78, s13, s78
	s_or_b32 s77, s77, s89
.LBB8_3873:                             ;   in Loop: Header=BB8_3874 Depth=4
	s_or_b32 exec_lo, exec_lo, s88
	s_delay_alu instid0(SALU_CYCLE_1) | instskip(NEXT) | instid1(SALU_CYCLE_1)
	s_and_b32 s13, exec_lo, s77
	s_or_b32 s40, s13, s40
	s_and_not1_b32 s13, s41, exec_lo
	s_and_b32 s41, s78, exec_lo
	s_delay_alu instid0(SALU_CYCLE_1)
	s_or_b32 s41, s13, s41
	s_and_not1_b32 exec_lo, exec_lo, s40
	s_cbranch_execz .LBB8_3878
.LBB8_3874:                             ;   Parent Loop BB8_47 Depth=1
                                        ;     Parent Loop BB8_3863 Depth=2
                                        ;       Parent Loop BB8_3866 Depth=3
                                        ; =>      This Inner Loop Header: Depth=4
	s_sleep 1
	s_wait_loadcnt_dscnt 0x0
	flat_load_b64 v[82:83], v[64:65] scope:SCOPE_SYS
	s_or_b32 s78, s78, exec_lo
	s_or_b32 s77, s77, exec_lo
                                        ; implicit-def: $vgpr4
	s_wait_xcnt 0x0
	s_and_saveexec_b32 s88, vcc_lo
	s_cbranch_execz .LBB8_3873
; %bb.3875:                             ;   in Loop: Header=BB8_3874 Depth=4
	s_cmp_lt_i32 s79, 0x270f
	s_mov_b32 s89, -1
	s_cselect_b32 s91, -1, 0
	s_cmp_gt_i32 s79, 0x270e
	s_cbranch_scc0 .LBB8_3877
; %bb.3876:                             ;   in Loop: Header=BB8_3874 Depth=4
	s_trap 2
	ds_load_b64 v[4:5], v0
	s_and_not1_b32 s79, s91, exec_lo
	s_mov_b32 s90, 0
	s_wait_storecnt 0x0
	s_wait_loadcnt_dscnt 0x0
	flat_load_b32 v4, v[4:5] scope:SCOPE_SYS
	s_wait_loadcnt_dscnt 0x0
	global_inv scope:SCOPE_SYS
	v_cmp_eq_u32_e64 s13, 0, v4
	s_and_b32 s13, s13, exec_lo
	s_delay_alu instid0(SALU_CYCLE_1)
	s_or_b32 s91, s79, s13
	s_mov_b32 s79, 0
	s_wait_xcnt 0x0
	s_and_saveexec_b32 s92, s91
	s_cbranch_execz .LBB8_3872
	s_branch .LBB8_3871
.LBB8_3877:                             ;   in Loop: Header=BB8_3874 Depth=4
	s_add_co_i32 s79, s79, 1
	s_mov_b32 s90, -1
                                        ; implicit-def: $vgpr4
	s_and_saveexec_b32 s92, s91
	s_cbranch_execz .LBB8_3872
	s_branch .LBB8_3871
.LBB8_3878:                             ;   in Loop: Header=BB8_3866 Depth=3
	s_or_b32 exec_lo, exec_lo, s40
	s_xor_b32 s13, s41, -1
	s_delay_alu instid0(SALU_CYCLE_1) | instskip(NEXT) | instid1(SALU_CYCLE_1)
	s_and_saveexec_b32 s40, s13
	s_xor_b32 s13, exec_lo, s40
	s_cbranch_execz .LBB8_3880
; %bb.3879:                             ;   in Loop: Header=BB8_3866 Depth=3
	v_or_b32_e32 v30, 64, v30
	s_wait_storecnt 0x0
	s_wait_loadcnt_dscnt 0x0
	ds_store_b32 v0, v4
	s_trap 2
.LBB8_3880:                             ;   in Loop: Header=BB8_3866 Depth=3
	s_or_b32 exec_lo, exec_lo, s13
.LBB8_3881:                             ;   in Loop: Header=BB8_3866 Depth=3
	s_delay_alu instid0(SALU_CYCLE_1) | instskip(SKIP_3) | instid1(VALU_DEP_1)
	s_or_b32 exec_lo, exec_lo, s15
	v_and_b32_e32 v4, 0x108, v30
	s_mov_b32 s13, exec_lo
	;;#ASMSTART
	s_wakeup
	;;#ASMEND
                                        ; implicit-def: $vgpr10_vgpr11
	v_cmpx_ne_u32_e32 0x108, v4
	s_xor_b32 s13, exec_lo, s13
; %bb.3882:                             ;   in Loop: Header=BB8_3866 Depth=3
	v_dual_mov_b32 v11, v3 :: v_dual_bitop2_b32 v10, 7, v58 bitop3:0x40
                                        ; implicit-def: $vgpr58_vgpr59
; %bb.3883:                             ;   in Loop: Header=BB8_3866 Depth=3
	s_and_not1_saveexec_b32 s13, s13
	s_cbranch_execz .LBB8_3885
; %bb.3884:                             ;   in Loop: Header=BB8_3866 Depth=3
	v_dual_ashrrev_i32 v73, 31, v72 :: v_dual_bitop2_b32 v10, 7, v58 bitop3:0x40
	v_mov_b32_e32 v11, v3
	s_delay_alu instid0(VALU_DEP_2) | instskip(NEXT) | instid1(VALU_DEP_3)
	v_mad_nc_u64_u32 v[4:5], v10, 24, v[6:7]
	v_lshlrev_b64_e32 v[12:13], 1, v[72:73]
	flat_store_b64 v[4:5], v[12:13] offset:8
.LBB8_3885:                             ;   in Loop: Header=BB8_3866 Depth=3
	s_wait_xcnt 0x0
	s_or_b32 exec_lo, exec_lo, s13
	v_and_b32_e32 v4, 0x100, v30
	s_mov_b32 s13, -1
	s_mov_b32 s15, exec_lo
                                        ; implicit-def: $vgpr12_vgpr13
	s_delay_alu instid0(VALU_DEP_1)
	v_cmpx_ne_u32_e32 0, v4
	s_cbranch_execz .LBB8_3889
; %bb.3886:                             ;   in Loop: Header=BB8_3866 Depth=3
	v_mad_nc_u64_u32 v[14:15], v10, 24, v[6:7]
	s_mov_b32 s40, exec_lo
                                        ; implicit-def: $vgpr12_vgpr13
	s_delay_alu instid0(VALU_DEP_1)
	v_mad_u32 v15, v11, 24, v15
	flat_load_b32 v4, v[14:15]
	s_wait_loadcnt_dscnt 0x0
	v_cmp_ne_u32_e32 vcc_lo, 1, v4
	s_wait_xcnt 0x0
	v_cmpx_eq_u32_e32 1, v4
	s_cbranch_execz .LBB8_3888
; %bb.3887:                             ;   in Loop: Header=BB8_3866 Depth=3
	flat_load_b32 v4, v[14:15] offset:4 scope:SCOPE_SYS
	s_wait_loadcnt_dscnt 0x0
	v_ashrrev_i32_e32 v5, 31, v4
	s_delay_alu instid0(VALU_DEP_1)
	v_lshrrev_b64 v[12:13], 1, v[4:5]
.LBB8_3888:                             ;   in Loop: Header=BB8_3866 Depth=3
	s_wait_xcnt 0x0
	s_or_b32 exec_lo, exec_lo, s40
	s_delay_alu instid0(SALU_CYCLE_1)
	s_or_not1_b32 s13, vcc_lo, exec_lo
.LBB8_3889:                             ;   in Loop: Header=BB8_3866 Depth=3
	s_or_b32 exec_lo, exec_lo, s15
	s_and_saveexec_b32 s15, s13
; %bb.3890:                             ;   in Loop: Header=BB8_3866 Depth=3
	v_mul_u64_e32 v[12:13], v[10:11], v[66:67]
; %bb.3891:                             ;   in Loop: Header=BB8_3866 Depth=3
	s_or_b32 exec_lo, exec_lo, s15
	v_cmp_eq_u32_e32 vcc_lo, 0, v2
	v_and_b32_e32 v10, 0x2000, v30
	s_delay_alu instid0(VALU_DEP_3) | instskip(SKIP_2) | instid1(VALU_DEP_1)
	v_lshl_add_u64 v[4:5], v[12:13], 1, v[68:69]
	s_mov_b32 s13, exec_lo
	v_cndmask_b32_e32 v2, 0xd0, v121, vcc_lo
	v_add_nc_u32_e32 v2, v0, v2
	ds_store_b64 v2, v[4:5] offset:584
	v_cmpx_ne_u32_e32 0, v10
	s_cbranch_execz .LBB8_3893
; %bb.3892:                             ;   in Loop: Header=BB8_3866 Depth=3
	ds_load_b64 v[4:5], v0 offset:872
	s_wait_dscnt 0x0
	v_add_nc_u64_e32 v[4:5], 1, v[4:5]
	ds_store_b64 v0, v[4:5] offset:872
.LBB8_3893:                             ;   in Loop: Header=BB8_3866 Depth=3
	s_or_b32 exec_lo, exec_lo, s13
	v_mov_b64_e32 v[58:59], v[8:9]
.LBB8_3894:                             ;   in Loop: Header=BB8_3866 Depth=3
	s_or_b32 exec_lo, exec_lo, s14
	s_and_saveexec_b32 s13, s2
	s_cbranch_execz .LBB8_3913
; %bb.3895:                             ;   in Loop: Header=BB8_3866 Depth=3
	s_and_saveexec_b32 s14, s3
	s_delay_alu instid0(SALU_CYCLE_1)
	s_xor_b32 s14, exec_lo, s14
	s_cbranch_execz .LBB8_3910
; %bb.3896:                             ;   in Loop: Header=BB8_3866 Depth=3
	s_and_saveexec_b32 s15, s6
	s_cbranch_execz .LBB8_3909
; %bb.3897:                             ;   in Loop: Header=BB8_3866 Depth=3
	s_mov_b32 s41, exec_lo
	s_mov_b32 s40, exec_lo
	v_mbcnt_lo_u32_b32 v2, s41, 0
	global_wb scope:SCOPE_DEV
	s_wait_storecnt 0x0
	s_wait_loadcnt_dscnt 0x0
	global_inv scope:SCOPE_DEV
	v_cmpx_eq_u32_e32 0, v2
	s_cbranch_execz .LBB8_3899
; %bb.3898:                             ;   in Loop: Header=BB8_3866 Depth=3
	s_bcnt1_i32_b32 s41, s41
	s_delay_alu instid0(SALU_CYCLE_1)
	v_mov_b32_e32 v2, s41
	s_wait_loadcnt 0x0
	ds_add_u64 v0, v[2:3]
	s_trap 2
.LBB8_3899:                             ;   in Loop: Header=BB8_3866 Depth=3
	s_or_b32 exec_lo, exec_lo, s40
	s_trap 2
	ds_load_b64 v[4:5], v0
	s_wait_dscnt 0x0
	v_add_nc_u64_e32 v[80:81], v[80:81], v[84:85]
	s_mov_b32 s40, exec_lo
	s_delay_alu instid0(VALU_DEP_1)
	v_cmpx_lt_u64_e64 v[4:5], v[80:81]
	s_cbranch_execz .LBB8_3908
; %bb.3900:                             ;   in Loop: Header=BB8_3866 Depth=3
	s_mov_b32 s41, 0
	s_mov_b32 s79, 0
                                        ; implicit-def: $sgpr77
                                        ; implicit-def: $sgpr78
	s_branch .LBB8_3902
.LBB8_3901:                             ;   in Loop: Header=BB8_3902 Depth=4
	s_or_b32 exec_lo, exec_lo, s89
	s_delay_alu instid0(SALU_CYCLE_1) | instskip(NEXT) | instid1(SALU_CYCLE_1)
	s_and_b32 s88, exec_lo, s90
	s_or_b32 s41, s88, s41
	s_and_not1_b32 s77, s77, exec_lo
	s_and_b32 s88, s78, exec_lo
	s_delay_alu instid0(SALU_CYCLE_1)
	s_or_b32 s77, s77, s88
	s_and_not1_b32 exec_lo, exec_lo, s41
	s_cbranch_execz .LBB8_3906
.LBB8_3902:                             ;   Parent Loop BB8_47 Depth=1
                                        ;     Parent Loop BB8_3863 Depth=2
                                        ;       Parent Loop BB8_3866 Depth=3
                                        ; =>      This Inner Loop Header: Depth=4
	s_add_co_i32 s79, s79, 1
	s_delay_alu instid0(SALU_CYCLE_1) | instskip(SKIP_1) | instid1(SALU_CYCLE_1)
	s_cmp_lg_u32 s79, 0x2710
	s_cselect_b32 s88, -1, 0
	s_and_b32 vcc_lo, exec_lo, s88
	s_cbranch_vccz .LBB8_3904
; %bb.3903:                             ;   in Loop: Header=BB8_3902 Depth=4
	s_mov_b32 s90, -1
	s_or_b32 s78, s78, exec_lo
	s_and_saveexec_b32 s89, s88
	s_cbranch_execz .LBB8_3901
	s_branch .LBB8_3905
.LBB8_3904:                             ;   in Loop: Header=BB8_3902 Depth=4
	s_trap 2
	ds_load_b64 v[4:5], v0
	s_and_not1_b32 s88, s88, exec_lo
	s_mov_b32 s79, 0
	s_wait_loadcnt_dscnt 0x0
	flat_load_b32 v2, v[4:5] scope:SCOPE_SYS
	s_wait_loadcnt_dscnt 0x0
	global_inv scope:SCOPE_SYS
	v_cmp_eq_u32_e32 vcc_lo, 0, v2
	s_and_b32 s89, vcc_lo, exec_lo
	s_delay_alu instid0(SALU_CYCLE_1)
	s_or_b32 s88, s88, s89
	s_mov_b32 s90, -1
	s_or_b32 s78, s78, exec_lo
	s_wait_xcnt 0x0
	s_and_saveexec_b32 s89, s88
	s_cbranch_execz .LBB8_3901
.LBB8_3905:                             ;   in Loop: Header=BB8_3902 Depth=4
	s_sleep 1
	s_trap 2
	ds_load_b64 v[4:5], v0
	s_wait_dscnt 0x0
	s_and_not1_b32 s78, s78, exec_lo
	v_cmp_ge_u64_e32 vcc_lo, v[4:5], v[80:81]
	s_or_not1_b32 s90, vcc_lo, exec_lo
	s_branch .LBB8_3901
.LBB8_3906:                             ;   in Loop: Header=BB8_3866 Depth=3
	s_or_b32 exec_lo, exec_lo, s41
	s_and_saveexec_b32 s41, s77
	s_delay_alu instid0(SALU_CYCLE_1)
	s_xor_b32 s41, exec_lo, s41
	s_cbranch_execz .LBB8_3908
; %bb.3907:                             ;   in Loop: Header=BB8_3866 Depth=3
	ds_store_b32 v0, v111
	s_trap 2
.LBB8_3908:                             ;   in Loop: Header=BB8_3866 Depth=3
	s_or_b32 exec_lo, exec_lo, s40
	;;#ASMSTART
	s_wakeup
	;;#ASMEND
.LBB8_3909:                             ;   in Loop: Header=BB8_3866 Depth=3
	s_or_b32 exec_lo, exec_lo, s15
.LBB8_3910:                             ;   in Loop: Header=BB8_3866 Depth=3
	s_and_not1_saveexec_b32 s14, s14
	s_cbranch_execz .LBB8_3912
; %bb.3911:                             ;   in Loop: Header=BB8_3866 Depth=3
	global_wb scope:SCOPE_DEV
	s_wait_storecnt 0x0
	s_wait_loadcnt_dscnt 0x0
	global_inv scope:SCOPE_DEV
	s_barrier_signal -1
	s_barrier_wait -1
.LBB8_3912:                             ;   in Loop: Header=BB8_3866 Depth=3
	s_or_b32 exec_lo, exec_lo, s14
.LBB8_3913:                             ;   in Loop: Header=BB8_3866 Depth=3
	s_delay_alu instid0(SALU_CYCLE_1) | instskip(SKIP_4) | instid1(VALU_DEP_1)
	s_or_b32 exec_lo, exec_lo, s13
	s_trap 2
	ds_load_b32 v4, v0
	v_and_b32_e32 v2, 0x4000, v30
	s_xor_b32 s13, s1, -1
	v_cmp_ne_u32_e32 vcc_lo, 0, v2
	s_and_b32 s14, s13, vcc_lo
	s_delay_alu instid0(SALU_CYCLE_1)
	s_and_saveexec_b32 s13, s14
	s_cbranch_execz .LBB8_3932
; %bb.3914:                             ;   in Loop: Header=BB8_3866 Depth=3
	s_and_saveexec_b32 s14, s3
	s_delay_alu instid0(SALU_CYCLE_1)
	s_xor_b32 s14, exec_lo, s14
	s_cbranch_execz .LBB8_3929
; %bb.3915:                             ;   in Loop: Header=BB8_3866 Depth=3
	s_and_saveexec_b32 s15, s6
	s_cbranch_execz .LBB8_3928
; %bb.3916:                             ;   in Loop: Header=BB8_3866 Depth=3
	s_mov_b32 s41, exec_lo
	s_mov_b32 s40, exec_lo
	v_mbcnt_lo_u32_b32 v2, s41, 0
	global_wb scope:SCOPE_DEV
	s_wait_storecnt 0x0
	s_wait_loadcnt_dscnt 0x0
	global_inv scope:SCOPE_DEV
	v_cmpx_eq_u32_e32 0, v2
	s_cbranch_execz .LBB8_3918
; %bb.3917:                             ;   in Loop: Header=BB8_3866 Depth=3
	s_bcnt1_i32_b32 s41, s41
	s_delay_alu instid0(SALU_CYCLE_1)
	v_mov_b32_e32 v2, s41
	s_wait_loadcnt 0x0
	ds_add_u64 v0, v[2:3]
	s_trap 2
.LBB8_3918:                             ;   in Loop: Header=BB8_3866 Depth=3
	s_or_b32 exec_lo, exec_lo, s40
	s_trap 2
	ds_load_b64 v[8:9], v0
	s_wait_dscnt 0x0
	v_add_nc_u64_e32 v[80:81], v[80:81], v[84:85]
	s_mov_b32 s40, exec_lo
	s_delay_alu instid0(VALU_DEP_1)
	v_cmpx_lt_u64_e64 v[8:9], v[80:81]
	s_cbranch_execz .LBB8_3927
; %bb.3919:                             ;   in Loop: Header=BB8_3866 Depth=3
	s_mov_b32 s41, 0
	s_mov_b32 s79, 0
                                        ; implicit-def: $sgpr77
                                        ; implicit-def: $sgpr78
	s_branch .LBB8_3921
.LBB8_3920:                             ;   in Loop: Header=BB8_3921 Depth=4
	s_or_b32 exec_lo, exec_lo, s89
	s_delay_alu instid0(SALU_CYCLE_1) | instskip(NEXT) | instid1(SALU_CYCLE_1)
	s_and_b32 s88, exec_lo, s90
	s_or_b32 s41, s88, s41
	s_and_not1_b32 s77, s77, exec_lo
	s_and_b32 s88, s78, exec_lo
	s_delay_alu instid0(SALU_CYCLE_1)
	s_or_b32 s77, s77, s88
	s_and_not1_b32 exec_lo, exec_lo, s41
	s_cbranch_execz .LBB8_3925
.LBB8_3921:                             ;   Parent Loop BB8_47 Depth=1
                                        ;     Parent Loop BB8_3863 Depth=2
                                        ;       Parent Loop BB8_3866 Depth=3
                                        ; =>      This Inner Loop Header: Depth=4
	s_add_co_i32 s79, s79, 1
	s_delay_alu instid0(SALU_CYCLE_1) | instskip(SKIP_1) | instid1(SALU_CYCLE_1)
	s_cmp_lg_u32 s79, 0x2710
	s_cselect_b32 s88, -1, 0
	s_and_b32 vcc_lo, exec_lo, s88
	s_cbranch_vccz .LBB8_3923
; %bb.3922:                             ;   in Loop: Header=BB8_3921 Depth=4
	s_mov_b32 s90, -1
	s_or_b32 s78, s78, exec_lo
	s_and_saveexec_b32 s89, s88
	s_cbranch_execz .LBB8_3920
	s_branch .LBB8_3924
.LBB8_3923:                             ;   in Loop: Header=BB8_3921 Depth=4
	s_trap 2
	ds_load_b64 v[8:9], v0
	s_and_not1_b32 s88, s88, exec_lo
	s_mov_b32 s79, 0
	s_wait_loadcnt_dscnt 0x0
	flat_load_b32 v2, v[8:9] scope:SCOPE_SYS
	s_wait_loadcnt_dscnt 0x0
	global_inv scope:SCOPE_SYS
	v_cmp_eq_u32_e32 vcc_lo, 0, v2
	s_and_b32 s89, vcc_lo, exec_lo
	s_delay_alu instid0(SALU_CYCLE_1)
	s_or_b32 s88, s88, s89
	s_mov_b32 s90, -1
	s_or_b32 s78, s78, exec_lo
	s_wait_xcnt 0x0
	s_and_saveexec_b32 s89, s88
	s_cbranch_execz .LBB8_3920
.LBB8_3924:                             ;   in Loop: Header=BB8_3921 Depth=4
	s_sleep 1
	s_trap 2
	ds_load_b64 v[8:9], v0
	s_wait_dscnt 0x0
	s_and_not1_b32 s78, s78, exec_lo
	v_cmp_ge_u64_e32 vcc_lo, v[8:9], v[80:81]
	s_or_not1_b32 s90, vcc_lo, exec_lo
	s_branch .LBB8_3920
.LBB8_3925:                             ;   in Loop: Header=BB8_3866 Depth=3
	s_or_b32 exec_lo, exec_lo, s41
	s_and_saveexec_b32 s41, s77
	s_delay_alu instid0(SALU_CYCLE_1)
	s_xor_b32 s41, exec_lo, s41
	s_cbranch_execz .LBB8_3927
; %bb.3926:                             ;   in Loop: Header=BB8_3866 Depth=3
	ds_store_b32 v0, v111
	s_trap 2
.LBB8_3927:                             ;   in Loop: Header=BB8_3866 Depth=3
	s_or_b32 exec_lo, exec_lo, s40
	;;#ASMSTART
	s_wakeup
	;;#ASMEND
.LBB8_3928:                             ;   in Loop: Header=BB8_3866 Depth=3
	s_or_b32 exec_lo, exec_lo, s15
.LBB8_3929:                             ;   in Loop: Header=BB8_3866 Depth=3
	s_and_not1_saveexec_b32 s14, s14
	s_cbranch_execz .LBB8_3931
; %bb.3930:                             ;   in Loop: Header=BB8_3866 Depth=3
	global_wb scope:SCOPE_DEV
	s_wait_storecnt 0x0
	s_wait_loadcnt_dscnt 0x0
	global_inv scope:SCOPE_DEV
	s_barrier_signal -1
	s_barrier_wait -1
.LBB8_3931:                             ;   in Loop: Header=BB8_3866 Depth=3
	s_or_b32 exec_lo, exec_lo, s14
.LBB8_3932:                             ;   in Loop: Header=BB8_3866 Depth=3
	s_delay_alu instid0(SALU_CYCLE_1)
	s_or_b32 exec_lo, exec_lo, s13
	s_trap 2
	ds_load_b64 v[78:79], v0
	s_wait_dscnt 0x0
	v_cmp_eq_u64_e32 vcc_lo, 0, v[78:79]
	s_cbranch_vccnz .LBB8_3948
; %bb.3933:                             ;   in Loop: Header=BB8_3866 Depth=3
	s_trap 2
	ds_load_b64 v[88:89], v0
	s_wait_dscnt 0x0
	v_cmp_eq_u64_e32 vcc_lo, 0, v[88:89]
	s_cbranch_vccnz .LBB8_3948
; %bb.3934:                             ;   in Loop: Header=BB8_3866 Depth=3
	s_trap 2
	ds_load_b64 v[24:25], v0
	v_cmp_eq_u32_e32 vcc_lo, 0, v4
	s_mov_b32 s13, -1
	v_cndmask_b32_e32 v2, 0, v72, vcc_lo
	s_delay_alu instid0(VALU_DEP_1)
	v_lshlrev_b32_e32 v73, 1, v2
	s_wait_dscnt 0x0
	v_cmp_ne_u64_e32 vcc_lo, 0, v[24:25]
	s_cbranch_vccz .LBB8_4006
; %bb.3935:                             ;   in Loop: Header=BB8_3866 Depth=3
	s_and_saveexec_b32 s14, s10
	s_cbranch_execz .LBB8_3937
; %bb.3936:                             ;   in Loop: Header=BB8_3866 Depth=3
	ds_load_b32 v4, v0 offset:720
	s_wait_dscnt 0x0
	v_and_b32_e32 v4, 15, v4
	s_delay_alu instid0(VALU_DEP_1)
	v_cmp_eq_u32_e32 vcc_lo, 0, v4
	s_or_not1_b32 s13, vcc_lo, exec_lo
.LBB8_3937:                             ;   in Loop: Header=BB8_3866 Depth=3
	s_or_b32 exec_lo, exec_lo, s14
	s_and_saveexec_b32 s14, s11
	s_cbranch_execz .LBB8_3939
; %bb.3938:                             ;   in Loop: Header=BB8_3866 Depth=3
	ds_load_b32 v4, v0 offset:784
	s_wait_dscnt 0x0
	v_and_b32_e32 v4, 15, v4
	s_delay_alu instid0(VALU_DEP_1) | instskip(SKIP_3) | instid1(SALU_CYCLE_1)
	v_cmp_eq_u32_e32 vcc_lo, 0, v4
	s_and_b32 s15, s13, vcc_lo
	s_and_not1_b32 s13, s13, exec_lo
	s_and_b32 s15, s15, exec_lo
	s_or_b32 s13, s13, s15
.LBB8_3939:                             ;   in Loop: Header=BB8_3866 Depth=3
	s_or_b32 exec_lo, exec_lo, s14
	s_xor_b32 s13, s13, -1
	s_delay_alu instid0(SALU_CYCLE_1) | instskip(SKIP_1) | instid1(VALU_DEP_1)
	v_cndmask_b32_e64 v4, 0, 1, s13
	s_mov_b32 s13, -1
	v_cmp_ne_u32_e32 vcc_lo, 0, v4
	s_cbranch_vccz .LBB8_3953
; %bb.3940:                             ;   in Loop: Header=BB8_3866 Depth=3
	s_mov_b32 s77, -1
	v_mov_b32_e32 v5, 0
	s_cbranch_execnz .LBB8_3954
.LBB8_3941:                             ;   in Loop: Header=BB8_3866 Depth=3
	v_ashrrev_i32_e32 v4, 31, v73
	v_add_nc_u64_e32 v[32:33], v[88:89], v[112:113]
	v_add_nc_u64_e32 v[26:27], v[24:25], v[112:113]
	s_mov_b32 s14, 0
	s_mov_b32 s13, exec_lo
	v_lshrrev_b32_e32 v4, 22, v4
                                        ; implicit-def: $vgpr8_vgpr9
                                        ; implicit-def: $vgpr12_vgpr13
	s_delay_alu instid0(VALU_DEP_1) | instskip(NEXT) | instid1(VALU_DEP_1)
	v_add_nc_u32_e32 v4, v73, v4
	v_ashrrev_i32_e32 v4, 10, v4
	s_delay_alu instid0(VALU_DEP_1) | instskip(NEXT) | instid1(VALU_DEP_1)
	v_sub_nc_u32_e32 v28, v4, v110
	v_cmpx_lt_i32_e32 0, v28
	s_cbranch_execz .LBB8_3956
; %bb.3942:                             ;   in Loop: Header=BB8_3866 Depth=3
	v_add_nc_u64_e32 v[34:35], v[78:79], v[112:113]
	s_mov_b32 s40, 0
                                        ; implicit-def: $sgpr15
                                        ; implicit-def: $vgpr8_vgpr9
                                        ; implicit-def: $vgpr12_vgpr13
	s_branch .LBB8_3944
.LBB8_3943:                             ;   in Loop: Header=BB8_3944 Depth=4
	s_or_b32 exec_lo, exec_lo, s41
	v_add_nc_u64_e32 v[38:39], 0x400, v[32:33]
	v_add_nc_u64_e32 v[48:49], 0x400, v[26:27]
	s_wait_loadcnt 0x1
	global_store_b128 v[32:33], v[16:19], off th:TH_STORE_NT
	s_wait_loadcnt 0x0
	global_store_b128 v[32:33], v[20:23], off offset:512 th:TH_STORE_NT
	v_add_nc_u64_e32 v[34:35], v[34:35], v[36:37]
	s_clause 0x1
	global_store_b128 v[26:27], v[16:19], off th:TH_STORE_NT
	global_store_b128 v[26:27], v[20:23], off offset:512 th:TH_STORE_NT
	s_wait_xcnt 0x2
	v_add_nc_u64_e32 v[32:33], v[38:39], v[114:115]
	v_sub_nc_u32_e32 v28, v5, v28
	v_add_nc_u64_e32 v[50:51], v[48:49], v[114:115]
	s_delay_alu instid0(VALU_DEP_3) | instskip(NEXT) | instid1(VALU_DEP_3)
	v_cndmask_b32_e64 v33, v39, v33, s40
	v_cmp_gt_i32_e32 vcc_lo, 1, v28
	s_wait_xcnt 0x0
	s_delay_alu instid0(VALU_DEP_3) | instskip(NEXT) | instid1(VALU_DEP_4)
	v_dual_cndmask_b32 v32, v38, v32, s40 :: v_dual_cndmask_b32 v27, v49, v51, s40
	v_cndmask_b32_e64 v26, v48, v50, s40
	s_or_b32 s14, vcc_lo, s14
	s_and_not1_b32 s15, s15, exec_lo
	s_and_b32 s41, s40, exec_lo
	s_delay_alu instid0(SALU_CYCLE_1)
	s_or_b32 s15, s15, s41
	s_and_not1_b32 exec_lo, exec_lo, s14
	s_cbranch_execz .LBB8_3955
.LBB8_3944:                             ;   Parent Loop BB8_47 Depth=1
                                        ;     Parent Loop BB8_3863 Depth=2
                                        ;       Parent Loop BB8_3866 Depth=3
                                        ; =>      This Inner Loop Header: Depth=4
	s_clause 0x1
	global_load_b128 v[16:19], v[34:35], off th:TH_LOAD_NT
	global_load_b128 v[20:23], v[34:35], off offset:512 th:TH_LOAD_NT
	s_wait_xcnt 0x0
	s_and_saveexec_b32 s41, s40
	s_cbranch_execz .LBB8_3946
; %bb.3945:                             ;   in Loop: Header=BB8_3944 Depth=4
	s_clause 0x1
	global_store_b128 v[32:33], v[8:11], off th:TH_STORE_NT
	global_store_b128 v[32:33], v[12:15], off offset:512 th:TH_STORE_NT
	s_clause 0x1
	global_store_b128 v[26:27], v[8:11], off th:TH_STORE_NT
	global_store_b128 v[26:27], v[12:15], off offset:512 th:TH_STORE_NT
	s_wait_xcnt 0x2
	v_add_nc_u64_e32 v[32:33], v[32:33], v[42:43]
	s_wait_xcnt 0x0
	v_add_nc_u64_e32 v[26:27], v[26:27], v[42:43]
.LBB8_3946:                             ;   in Loop: Header=BB8_3944 Depth=4
	s_or_b32 exec_lo, exec_lo, s41
	v_dual_mov_b32 v28, 0 :: v_dual_sub_nc_u32 v5, v28, v84
	v_add_nc_u64_e32 v[34:35], v[34:35], v[42:43]
	v_mov_b64_e32 v[36:37], 0
	s_delay_alu instid0(VALU_DEP_3)
	v_cmp_lt_i32_e64 s40, 0, v5
	s_and_saveexec_b32 s41, s40
	s_cbranch_execz .LBB8_3943
; %bb.3947:                             ;   in Loop: Header=BB8_3944 Depth=4
	s_clause 0x1
	global_load_b128 v[8:11], v[34:35], off th:TH_LOAD_NT
	global_load_b128 v[12:15], v[34:35], off offset:512 th:TH_LOAD_NT
	s_wait_xcnt 0x0
	v_add_nc_u64_e32 v[34:35], 0x400, v[34:35]
	v_mov_b64_e32 v[36:37], v[114:115]
	v_mov_b32_e32 v28, v84
	s_branch .LBB8_3943
.LBB8_3948:                             ;   in Loop: Header=BB8_3866 Depth=3
	s_mov_b32 s13, 0
	s_and_saveexec_b32 s14, s2
	s_cbranch_execnz .LBB8_4064
.LBB8_3949:                             ;   in Loop: Header=BB8_3866 Depth=3
	s_or_b32 exec_lo, exec_lo, s14
                                        ; implicit-def: $vgpr2
	s_and_saveexec_b32 s14, s12
	s_delay_alu instid0(SALU_CYCLE_1)
	s_xor_b32 s14, exec_lo, s14
	s_cbranch_execz .LBB8_4082
.LBB8_3950:                             ;   in Loop: Header=BB8_3866 Depth=3
	v_and_b32_e32 v2, 16, v30
	s_delay_alu instid0(VALU_DEP_1) | instskip(SKIP_2) | instid1(SALU_CYCLE_1)
	v_cmp_ne_u32_e32 vcc_lo, 0, v2
	v_and_b32_e32 v2, 16, v30
	s_and_b32 s15, vcc_lo, s13
	s_and_saveexec_b32 s13, s15
	s_cbranch_execz .LBB8_3952
; %bb.3951:                             ;   in Loop: Header=BB8_3866 Depth=3
	v_mov_b32_e32 v2, 1
	global_wb scope:SCOPE_SYS
	s_wait_storecnt 0x0
	s_wait_loadcnt_dscnt 0x0
	global_inv scope:SCOPE_SYS
.LBB8_3952:                             ;   in Loop: Header=BB8_3866 Depth=3
	s_or_b32 exec_lo, exec_lo, s13
	s_and_not1_saveexec_b32 s13, s14
	s_cbranch_execz .LBB8_4101
	s_branch .LBB8_4083
.LBB8_3953:                             ;   in Loop: Header=BB8_3866 Depth=3
	s_mov_b32 s77, 0
	v_mov_b32_e32 v5, 0
	s_and_not1_b32 vcc_lo, exec_lo, s13
	s_cbranch_vccz .LBB8_3941
.LBB8_3954:                             ;   in Loop: Header=BB8_3866 Depth=3
	v_dual_mov_b32 v4, v73 :: v_dual_mov_b32 v8, v0
	v_mov_b32_e32 v16, v109
	s_and_saveexec_b32 s15, s77
	s_cbranch_execnz .LBB8_3980
	s_branch .LBB8_4005
.LBB8_3955:                             ;   in Loop: Header=BB8_3866 Depth=3
	s_or_b32 exec_lo, exec_lo, s14
	s_delay_alu instid0(SALU_CYCLE_1)
	s_and_b32 s14, s15, exec_lo
.LBB8_3956:                             ;   in Loop: Header=BB8_3866 Depth=3
	s_or_b32 exec_lo, exec_lo, s13
	s_and_saveexec_b32 s13, s14
	s_cbranch_execz .LBB8_3958
; %bb.3957:                             ;   in Loop: Header=BB8_3866 Depth=3
	s_clause 0x1
	global_store_b128 v[32:33], v[8:11], off th:TH_STORE_NT
	global_store_b128 v[32:33], v[12:15], off offset:512 th:TH_STORE_NT
	s_clause 0x1
	global_store_b128 v[26:27], v[8:11], off th:TH_STORE_NT
	global_store_b128 v[26:27], v[12:15], off offset:512 th:TH_STORE_NT
.LBB8_3958:                             ;   in Loop: Header=BB8_3866 Depth=3
	s_wait_xcnt 0x0
	s_or_b32 exec_lo, exec_lo, s13
	v_lshlrev_b32_e32 v22, 10, v4
	s_mov_b32 s78, exec_lo
                                        ; implicit-def: $vgpr4
                                        ; implicit-def: $vgpr5
                                        ; implicit-def: $vgpr8
                                        ; implicit-def: $vgpr16
	s_delay_alu instid0(VALU_DEP_1)
	v_cmpx_ne_u32_e64 v73, v22
	s_cbranch_execz .LBB8_3979
; %bb.3959:                             ;   in Loop: Header=BB8_3866 Depth=3
	v_lshlrev_b32_e32 v4, 5, v28
	s_mov_b32 s14, 0
	s_mov_b32 s79, exec_lo
	v_sub_nc_u32_e32 v8, v73, v22
	s_delay_alu instid0(VALU_DEP_2) | instskip(NEXT) | instid1(VALU_DEP_2)
	v_sub_nc_u32_e32 v4, v109, v4
	v_ashrrev_i32_e32 v10, 31, v8
	s_delay_alu instid0(VALU_DEP_2) | instskip(NEXT) | instid1(VALU_DEP_1)
	v_ashrrev_i32_e32 v5, 31, v4
	v_lshrrev_b32_e32 v5, 27, v5
	s_delay_alu instid0(VALU_DEP_1) | instskip(NEXT) | instid1(VALU_DEP_1)
	v_add_nc_u32_e32 v5, v4, v5
	v_and_b32_e32 v9, 0xffffffe0, v5
	v_ashrrev_i32_e32 v5, 5, v5
	s_delay_alu instid0(VALU_DEP_2) | instskip(NEXT) | instid1(VALU_DEP_1)
	v_dual_sub_nc_u32 v23, v4, v9 :: v_dual_lshrrev_b32 v4, 23, v10
	v_dual_lshlrev_b32 v9, 4, v23 :: v_dual_add_nc_u32 v4, v8, v4
	s_delay_alu instid0(VALU_DEP_1) | instskip(NEXT) | instid1(VALU_DEP_2)
	v_lshl_add_u32 v9, v5, 9, v9
	v_and_b32_e32 v26, 0xfffffe00, v4
	s_delay_alu instid0(VALU_DEP_2) | instskip(NEXT) | instid1(VALU_DEP_2)
	v_dual_ashrrev_i32 v4, 9, v4 :: v_dual_add_nc_u32 v10, v9, v22
	v_sub_nc_u32_e32 v27, v8, v26
	s_delay_alu instid0(VALU_DEP_1) | instskip(NEXT) | instid1(VALU_DEP_1)
	v_cmp_lt_i32_e64 s13, 15, v27
	v_add_co_ci_u32_e64 v12, null, 0, v4, s13
	s_delay_alu instid0(VALU_DEP_4) | instskip(NEXT) | instid1(VALU_DEP_2)
	v_dual_ashrrev_i32 v11, 31, v10 :: v_dual_sub_nc_u32 v4, v8, v9
                                        ; implicit-def: $vgpr8_vgpr9
	v_sub_nc_u32_e32 v28, v12, v5
	s_delay_alu instid0(VALU_DEP_2) | instskip(SKIP_1) | instid1(VALU_DEP_4)
	v_add_nc_u64_e32 v[16:17], v[10:11], v[88:89]
	v_add_nc_u64_e32 v[18:19], v[10:11], v[24:25]
	v_cmpx_lt_i32_e32 15, v4
	s_cbranch_execz .LBB8_3973
; %bb.3960:                             ;   in Loop: Header=BB8_3866 Depth=3
	v_add_nc_u64_e32 v[20:21], v[10:11], v[78:79]
	s_mov_b32 s90, 0
	s_mov_b32 s88, 0
                                        ; implicit-def: $sgpr89
                                        ; implicit-def: $vgpr8_vgpr9
	s_branch .LBB8_3962
.LBB8_3961:                             ;   in Loop: Header=BB8_3962 Depth=4
	s_or_b32 exec_lo, exec_lo, s14
	s_delay_alu instid0(VALU_DEP_2) | instskip(SKIP_3) | instid1(SALU_CYCLE_1)
	v_cmp_gt_i32_e32 vcc_lo, 16, v4
	s_or_b32 s88, vcc_lo, s88
	s_and_not1_b32 s14, s89, exec_lo
	s_and_b32 s15, s90, exec_lo
	s_or_b32 s89, s14, s15
	s_and_not1_b32 exec_lo, exec_lo, s88
	s_cbranch_execz .LBB8_3972
.LBB8_3962:                             ;   Parent Loop BB8_47 Depth=1
                                        ;     Parent Loop BB8_3863 Depth=2
                                        ;       Parent Loop BB8_3866 Depth=3
                                        ; =>      This Loop Header: Depth=4
                                        ;           Child Loop BB8_3964 Depth 5
                                        ;           Child Loop BB8_3969 Depth 5
	global_load_b128 v[12:15], v[20:21], off th:TH_LOAD_NT
	s_wait_xcnt 0x0
	s_and_saveexec_b32 s91, s90
	s_cbranch_execz .LBB8_3966
; %bb.3963:                             ;   in Loop: Header=BB8_3962 Depth=4
	s_mov_b64 s[40:41], 0
	s_mov_b32 s90, -1
.LBB8_3964:                             ;   Parent Loop BB8_47 Depth=1
                                        ;     Parent Loop BB8_3863 Depth=2
                                        ;       Parent Loop BB8_3866 Depth=3
                                        ;         Parent Loop BB8_3962 Depth=4
                                        ; =>        This Inner Loop Header: Depth=5
	s_cmp_eq_u32 s40, 1
	s_cselect_b32 vcc_lo, -1, 0
	s_cmp_eq_u32 s40, 0
	s_wait_xcnt 0x0
	v_dual_cndmask_b32 v33, v17, v19 :: v_dual_cndmask_b32 v32, v16, v18
	s_cselect_b32 s14, -1, 0
	s_and_b32 s15, exec_lo, s90
	s_mov_b64 s[40:41], 1
	s_mov_b32 s90, 0
	v_add_nc_u64_e32 v[34:35], 0x200, v[32:33]
	global_store_b128 v[32:33], v[8:11], off th:TH_STORE_NT
	v_dual_cndmask_b32 v19, v19, v35 :: v_dual_cndmask_b32 v18, v18, v34
	v_dual_cndmask_b32 v17, v17, v35, s14 :: v_dual_cndmask_b32 v16, v16, v34, s14
	s_mov_b32 vcc_lo, s15
	s_cbranch_vccnz .LBB8_3964
; %bb.3965:                             ;   in Loop: Header=BB8_3962 Depth=4
	s_delay_alu instid0(VALU_DEP_1)
	v_add_nc_u64_e32 v[16:17], v[16:17], v[116:117]
	v_add_nc_u64_e32 v[18:19], v[18:19], v[116:117]
.LBB8_3966:                             ;   in Loop: Header=BB8_3962 Depth=4
	s_wait_xcnt 0x0
	s_or_b32 exec_lo, exec_lo, s91
	v_sub_nc_u32_e32 v4, v4, v122
	v_add_nc_u64_e32 v[20:21], v[44:45], v[20:21]
	s_delay_alu instid0(VALU_DEP_2)
	v_cmp_lt_i32_e64 s90, 15, v4
	s_and_saveexec_b32 s14, s90
	s_cbranch_execz .LBB8_3968
; %bb.3967:                             ;   in Loop: Header=BB8_3962 Depth=4
	global_load_b128 v[8:11], v[20:21], off th:TH_LOAD_NT
	s_wait_xcnt 0x0
	v_add_nc_u64_e32 v[20:21], 0x200, v[20:21]
.LBB8_3968:                             ;   in Loop: Header=BB8_3962 Depth=4
	s_or_b32 exec_lo, exec_lo, s14
	s_mov_b64 s[40:41], 0
	s_mov_b32 s91, -1
.LBB8_3969:                             ;   Parent Loop BB8_47 Depth=1
                                        ;     Parent Loop BB8_3863 Depth=2
                                        ;       Parent Loop BB8_3866 Depth=3
                                        ;         Parent Loop BB8_3962 Depth=4
                                        ; =>        This Inner Loop Header: Depth=5
	s_cmp_eq_u32 s40, 1
	s_cselect_b32 vcc_lo, -1, 0
	s_cmp_eq_u32 s40, 0
	s_wait_xcnt 0x0
	v_dual_cndmask_b32 v33, v17, v19 :: v_dual_cndmask_b32 v32, v16, v18
	s_cselect_b32 s14, -1, 0
	s_and_b32 s15, exec_lo, s91
	s_mov_b64 s[40:41], 1
	s_mov_b32 s91, 0
	v_add_nc_u64_e32 v[34:35], 0x200, v[32:33]
	s_wait_loadcnt 0x0
	global_store_b128 v[32:33], v[12:15], off th:TH_STORE_NT
	v_dual_cndmask_b32 v19, v19, v35 :: v_dual_cndmask_b32 v18, v18, v34
	v_dual_cndmask_b32 v17, v17, v35, s14 :: v_dual_cndmask_b32 v16, v16, v34, s14
	s_mov_b32 vcc_lo, s15
	s_cbranch_vccnz .LBB8_3969
; %bb.3970:                             ;   in Loop: Header=BB8_3962 Depth=4
	v_sub_nc_u32_e32 v28, v28, v84
	s_wait_xcnt 0x0
	s_and_saveexec_b32 s14, s90
	s_cbranch_execz .LBB8_3961
; %bb.3971:                             ;   in Loop: Header=BB8_3962 Depth=4
	v_add_nc_u64_e32 v[16:17], v[16:17], v[116:117]
	v_add_nc_u64_e32 v[18:19], v[18:19], v[116:117]
	;; [unrolled: 1-line block ×3, first 2 shown]
	v_sub_nc_u32_e32 v4, v4, v122
	v_sub_nc_u32_e32 v28, v28, v84
	s_branch .LBB8_3961
.LBB8_3972:                             ;   in Loop: Header=BB8_3866 Depth=3
	s_or_b32 exec_lo, exec_lo, s88
	s_delay_alu instid0(SALU_CYCLE_1)
	s_and_b32 s14, s89, exec_lo
.LBB8_3973:                             ;   in Loop: Header=BB8_3866 Depth=3
	s_or_b32 exec_lo, exec_lo, s79
	s_and_saveexec_b32 s79, s14
	s_cbranch_execz .LBB8_3976
; %bb.3974:                             ;   in Loop: Header=BB8_3866 Depth=3
	s_mov_b64 s[40:41], 0
	s_mov_b32 s88, -1
.LBB8_3975:                             ;   Parent Loop BB8_47 Depth=1
                                        ;     Parent Loop BB8_3863 Depth=2
                                        ;       Parent Loop BB8_3866 Depth=3
                                        ; =>      This Inner Loop Header: Depth=4
	s_cmp_eq_u32 s40, 1
	s_cselect_b32 vcc_lo, -1, 0
	s_cmp_eq_u32 s40, 0
	s_wait_xcnt 0x0
	v_dual_cndmask_b32 v5, v17, v19 :: v_dual_cndmask_b32 v4, v16, v18
	s_cselect_b32 s14, -1, 0
	s_and_b32 s15, exec_lo, s88
	s_mov_b64 s[40:41], 1
	s_mov_b32 s88, 0
	v_add_nc_u64_e32 v[12:13], 0x200, v[4:5]
	global_store_b128 v[4:5], v[8:11], off th:TH_STORE_NT
	v_dual_cndmask_b32 v19, v19, v13 :: v_dual_cndmask_b32 v18, v18, v12
	v_dual_cndmask_b32 v17, v17, v13, s14 :: v_dual_cndmask_b32 v16, v16, v12, s14
	s_mov_b32 vcc_lo, s15
	s_cbranch_vccnz .LBB8_3975
.LBB8_3976:                             ;   in Loop: Header=BB8_3866 Depth=3
	s_wait_xcnt 0x0
	s_or_b32 exec_lo, exec_lo, s79
	v_and_b32_e32 v9, 14, v73
	s_mov_b32 s15, s77
	s_mov_b32 s14, exec_lo
                                        ; implicit-def: $vgpr5
                                        ; implicit-def: $vgpr8
                                        ; implicit-def: $vgpr16
	s_delay_alu instid0(VALU_DEP_1) | instskip(NEXT) | instid1(VALU_DEP_1)
	v_cndmask_b32_e64 v4, v27, v9, s13
	v_cmpx_ne_u32_e32 0, v4
	s_cbranch_execz .LBB8_3978
; %bb.3977:                             ;   in Loop: Header=BB8_3866 Depth=3
	v_cmp_lt_i32_e32 vcc_lo, 0, v28
	s_or_b32 s15, s77, exec_lo
	v_dual_sub_nc_u32 v9, v27, v9 :: v_dual_cndmask_b32 v5, 0, v84, vcc_lo
	s_delay_alu instid0(VALU_DEP_1) | instskip(NEXT) | instid1(VALU_DEP_1)
	v_dual_cndmask_b32 v9, 0, v9, s13 :: v_dual_sub_nc_u32 v5, v5, v28
	v_lshl_add_u32 v8, v5, 5, v23
	s_delay_alu instid0(VALU_DEP_1) | instskip(NEXT) | instid1(VALU_DEP_1)
	v_ashrrev_i32_e32 v5, 31, v8
	v_lshrrev_b32_e32 v5, 27, v5
	s_delay_alu instid0(VALU_DEP_1) | instskip(NEXT) | instid1(VALU_DEP_1)
	v_add_nc_u32_e32 v5, v8, v5
	v_and_b32_e32 v10, 0xffffffe0, v5
	v_add3_u32 v5, v26, v22, v9
	s_delay_alu instid0(VALU_DEP_2)
	v_sub_nc_u32_e32 v16, v8, v10
.LBB8_3978:                             ;   in Loop: Header=BB8_3866 Depth=3
	s_or_b32 exec_lo, exec_lo, s14
	s_delay_alu instid0(SALU_CYCLE_1) | instskip(SKIP_1) | instid1(SALU_CYCLE_1)
	s_and_not1_b32 s13, s77, exec_lo
	s_and_b32 s14, s15, exec_lo
	s_or_b32 s77, s13, s14
.LBB8_3979:                             ;   in Loop: Header=BB8_3866 Depth=3
	s_or_b32 exec_lo, exec_lo, s78
	s_and_saveexec_b32 s15, s77
	s_cbranch_execz .LBB8_4005
.LBB8_3980:                             ;   in Loop: Header=BB8_3866 Depth=3
	v_ashrrev_i32_e32 v9, 31, v8
	s_mov_b32 s14, 0
	s_mov_b32 s13, exec_lo
                                        ; implicit-def: $vgpr18
                                        ; implicit-def: $vgpr19
                                        ; implicit-def: $vgpr20
                                        ; implicit-def: $vgpr21
                                        ; implicit-def: $vgpr22
                                        ; implicit-def: $vgpr23
                                        ; implicit-def: $vgpr26
                                        ; implicit-def: $vgpr27
	s_delay_alu instid0(VALU_DEP_1) | instskip(NEXT) | instid1(VALU_DEP_1)
	v_dual_lshlrev_b32 v10, 1, v16 :: v_dual_lshrrev_b32 v9, 27, v9
	v_dual_add_nc_u32 v8, v8, v9 :: v_dual_ashrrev_i32 v9, 31, v4
	s_delay_alu instid0(VALU_DEP_1) | instskip(NEXT) | instid1(VALU_DEP_1)
	v_dual_ashrrev_i32 v8, 5, v8 :: v_dual_lshrrev_b32 v9, 23, v9
	v_lshlrev_b32_e32 v11, 9, v8
	s_delay_alu instid0(VALU_DEP_1) | instskip(NEXT) | instid1(VALU_DEP_1)
	v_add3_u32 v12, v5, v10, v11
	v_dual_add_nc_u32 v9, v4, v9 :: v_dual_ashrrev_i32 v13, 31, v12
	s_delay_alu instid0(VALU_DEP_1) | instskip(NEXT) | instid1(VALU_DEP_2)
	v_ashrrev_i32_e32 v17, 9, v9
	v_add_nc_u64_e32 v[10:11], v[88:89], v[12:13]
	s_delay_alu instid0(VALU_DEP_2) | instskip(SKIP_1) | instid1(VALU_DEP_2)
	v_sub_nc_u32_e32 v28, v17, v8
	v_add_nc_u64_e32 v[8:9], v[24:25], v[12:13]
	v_cmpx_lt_i32_e32 0, v28
	s_cbranch_execz .LBB8_3988
; %bb.3981:                             ;   in Loop: Header=BB8_3866 Depth=3
	v_add_nc_u64_e32 v[12:13], v[12:13], v[78:79]
	s_mov_b32 s41, 0
                                        ; implicit-def: $sgpr40
                                        ; implicit-def: $vgpr18
                                        ; implicit-def: $vgpr19
                                        ; implicit-def: $vgpr20
                                        ; implicit-def: $vgpr21
                                        ; implicit-def: $vgpr22
                                        ; implicit-def: $vgpr23
                                        ; implicit-def: $vgpr26
                                        ; implicit-def: $vgpr27
	s_branch .LBB8_3983
.LBB8_3982:                             ;   in Loop: Header=BB8_3983 Depth=4
	s_or_b32 exec_lo, exec_lo, s77
	v_add_nc_u64_e32 v[50:51], 0x200, v[8:9]
	v_add_nc_u64_e32 v[48:49], 0x200, v[10:11]
	s_wait_loadcnt_dscnt 0x707
	flat_store_b16 v[10:11], v29 th:TH_STORE_NT
	s_wait_loadcnt_dscnt 0x607
	flat_store_b16 v[10:11], v32 offset:64 th:TH_STORE_NT
	s_wait_loadcnt_dscnt 0x507
	flat_store_b16 v[10:11], v33 offset:128 th:TH_STORE_NT
	;; [unrolled: 2-line block ×7, first 2 shown]
	s_clause 0x7
	flat_store_b16 v[8:9], v29 th:TH_STORE_NT
	flat_store_b16 v[8:9], v32 offset:64 th:TH_STORE_NT
	flat_store_b16 v[8:9], v33 offset:128 th:TH_STORE_NT
	flat_store_b16 v[8:9], v34 offset:192 th:TH_STORE_NT
	flat_store_b16 v[8:9], v35 offset:256 th:TH_STORE_NT
	flat_store_b16 v[8:9], v36 offset:320 th:TH_STORE_NT
	flat_store_b16 v[8:9], v37 offset:384 th:TH_STORE_NT
	flat_store_b16 v[8:9], v38 offset:448 th:TH_STORE_NT
	v_add_nc_u64_e32 v[12:13], v[12:13], v[14:15]
	v_add_nc_u64_e32 v[52:53], v[50:51], v[116:117]
	v_sub_nc_u32_e32 v28, v28, v39
	s_wait_xcnt 0x8
	v_add_nc_u64_e32 v[10:11], v[48:49], v[116:117]
	s_wait_xcnt 0x0
	s_delay_alu instid0(VALU_DEP_3) | instskip(SKIP_1) | instid1(VALU_DEP_3)
	v_cndmask_b32_e64 v9, v51, v53, s41
	v_cmp_gt_i32_e32 vcc_lo, 1, v28
	v_dual_cndmask_b32 v11, v49, v11, s41 :: v_dual_cndmask_b32 v10, v48, v10, s41
	v_cndmask_b32_e64 v8, v50, v52, s41
	s_or_b32 s14, vcc_lo, s14
	s_and_not1_b32 s40, s40, exec_lo
	s_and_b32 s77, s41, exec_lo
	s_delay_alu instid0(SALU_CYCLE_1)
	s_or_b32 s40, s40, s77
	s_and_not1_b32 exec_lo, exec_lo, s14
	s_cbranch_execz .LBB8_3987
.LBB8_3983:                             ;   Parent Loop BB8_47 Depth=1
                                        ;     Parent Loop BB8_3863 Depth=2
                                        ;       Parent Loop BB8_3866 Depth=3
                                        ; =>      This Inner Loop Header: Depth=4
	s_clause 0x7
	flat_load_u16 v29, v[12:13] th:TH_LOAD_NT
	flat_load_u16 v32, v[12:13] offset:64 th:TH_LOAD_NT
	flat_load_u16 v33, v[12:13] offset:128 th:TH_LOAD_NT
	;; [unrolled: 1-line block ×7, first 2 shown]
	s_wait_xcnt 0x0
	s_and_saveexec_b32 s77, s41
	s_cbranch_execz .LBB8_3985
; %bb.3984:                             ;   in Loop: Header=BB8_3983 Depth=4
	s_clause 0x7
	flat_store_b16 v[10:11], v18 th:TH_STORE_NT
	flat_store_b16 v[10:11], v19 offset:64 th:TH_STORE_NT
	flat_store_b16 v[10:11], v20 offset:128 th:TH_STORE_NT
	;; [unrolled: 1-line block ×7, first 2 shown]
	s_clause 0x7
	flat_store_b16 v[8:9], v18 th:TH_STORE_NT
	flat_store_b16 v[8:9], v19 offset:64 th:TH_STORE_NT
	flat_store_b16 v[8:9], v20 offset:128 th:TH_STORE_NT
	;; [unrolled: 1-line block ×7, first 2 shown]
	s_wait_xcnt 0x8
	v_add_nc_u64_e32 v[10:11], v[10:11], v[44:45]
	s_wait_xcnt 0x0
	v_add_nc_u64_e32 v[8:9], v[8:9], v[44:45]
.LBB8_3985:                             ;   in Loop: Header=BB8_3983 Depth=4
	s_or_b32 exec_lo, exec_lo, s77
	v_dual_mov_b32 v39, 0 :: v_dual_sub_nc_u32 v28, v28, v84
	v_add_nc_u64_e32 v[12:13], v[12:13], v[44:45]
	v_mov_b64_e32 v[14:15], 0
	s_delay_alu instid0(VALU_DEP_3)
	v_cmp_lt_i32_e64 s41, 0, v28
	s_and_saveexec_b32 s77, s41
	s_cbranch_execz .LBB8_3982
; %bb.3986:                             ;   in Loop: Header=BB8_3983 Depth=4
	s_clause 0x7
	flat_load_u16 v18, v[12:13] th:TH_LOAD_NT
	flat_load_u16 v19, v[12:13] offset:64 th:TH_LOAD_NT
	flat_load_u16 v20, v[12:13] offset:128 th:TH_LOAD_NT
	;; [unrolled: 1-line block ×7, first 2 shown]
	s_wait_xcnt 0x0
	v_add_nc_u64_e32 v[12:13], 0x200, v[12:13]
	v_mov_b64_e32 v[14:15], v[116:117]
	v_mov_b32_e32 v39, v84
	s_branch .LBB8_3982
.LBB8_3987:                             ;   in Loop: Header=BB8_3866 Depth=3
	s_or_b32 exec_lo, exec_lo, s14
	s_delay_alu instid0(SALU_CYCLE_1)
	s_and_b32 s14, s40, exec_lo
.LBB8_3988:                             ;   in Loop: Header=BB8_3866 Depth=3
	s_or_b32 exec_lo, exec_lo, s13
	s_and_saveexec_b32 s13, s14
	s_cbranch_execz .LBB8_3990
; %bb.3989:                             ;   in Loop: Header=BB8_3866 Depth=3
	s_clause 0x7
	flat_store_b16 v[10:11], v18 th:TH_STORE_NT
	flat_store_b16 v[10:11], v19 offset:64 th:TH_STORE_NT
	flat_store_b16 v[10:11], v20 offset:128 th:TH_STORE_NT
	;; [unrolled: 1-line block ×7, first 2 shown]
	s_clause 0x7
	flat_store_b16 v[8:9], v18 th:TH_STORE_NT
	flat_store_b16 v[8:9], v19 offset:64 th:TH_STORE_NT
	flat_store_b16 v[8:9], v20 offset:128 th:TH_STORE_NT
	;; [unrolled: 1-line block ×7, first 2 shown]
.LBB8_3990:                             ;   in Loop: Header=BB8_3866 Depth=3
	s_wait_xcnt 0x0
	s_or_b32 exec_lo, exec_lo, s13
	v_lshlrev_b32_e32 v8, 9, v17
	s_delay_alu instid0(VALU_DEP_1)
	v_cmp_ne_u32_e32 vcc_lo, v4, v8
	s_and_b32 exec_lo, exec_lo, vcc_lo
	s_cbranch_execz .LBB8_4005
; %bb.3991:                             ;   in Loop: Header=BB8_3866 Depth=3
	v_lshlrev_b32_e32 v9, 5, v28
	s_delay_alu instid0(VALU_DEP_1) | instskip(NEXT) | instid1(VALU_DEP_1)
	v_sub_nc_u32_e32 v9, v16, v9
	v_ashrrev_i32_e32 v10, 31, v9
	s_delay_alu instid0(VALU_DEP_1) | instskip(NEXT) | instid1(VALU_DEP_1)
	v_lshrrev_b32_e32 v10, 27, v10
	v_add_nc_u32_e32 v10, v9, v10
	s_delay_alu instid0(VALU_DEP_1) | instskip(NEXT) | instid1(VALU_DEP_1)
	v_and_b32_e32 v11, 0x7fffffe0, v10
	v_dual_lshlrev_b32 v10, 1, v10 :: v_dual_sub_nc_u32 v9, v9, v11
	s_delay_alu instid0(VALU_DEP_1) | instskip(NEXT) | instid1(VALU_DEP_2)
	v_and_b32_e32 v10, 0xffffffc0, v10
	v_lshlrev_b32_e32 v9, 1, v9
	s_delay_alu instid0(VALU_DEP_1) | instskip(NEXT) | instid1(VALU_DEP_1)
	v_add3_u32 v8, v10, v9, v8
	v_sub_nc_u32_e32 v18, v4, v8
	s_delay_alu instid0(VALU_DEP_1)
	v_cmp_lt_i32_e32 vcc_lo, 1, v18
	s_and_b32 exec_lo, exec_lo, vcc_lo
	s_cbranch_execz .LBB8_4005
; %bb.3992:                             ;   in Loop: Header=BB8_3866 Depth=3
	v_add_nc_u32_e32 v4, v8, v5
	s_mov_b32 s79, 0
	s_mov_b32 s77, 0
                                        ; implicit-def: $sgpr78
	s_delay_alu instid0(VALU_DEP_1) | instskip(NEXT) | instid1(VALU_DEP_1)
	v_ashrrev_i32_e32 v5, 31, v4
	v_add_nc_u64_e32 v[8:9], v[88:89], v[4:5]
	v_add_nc_u64_e32 v[10:11], v[24:25], v[4:5]
	;; [unrolled: 1-line block ×3, first 2 shown]
                                        ; implicit-def: $vgpr4
.LBB8_3993:                             ;   Parent Loop BB8_47 Depth=1
                                        ;     Parent Loop BB8_3863 Depth=2
                                        ;       Parent Loop BB8_3866 Depth=3
                                        ; =>      This Loop Header: Depth=4
                                        ;           Child Loop BB8_3995 Depth 5
                                        ;           Child Loop BB8_4000 Depth 5
	flat_load_u16 v5, v[12:13] th:TH_LOAD_NT
	s_wait_xcnt 0x0
	s_and_saveexec_b32 s88, s79
	s_cbranch_execz .LBB8_3997
; %bb.3994:                             ;   in Loop: Header=BB8_3993 Depth=4
	s_mov_b64 s[40:41], 0
	s_mov_b32 s79, -1
.LBB8_3995:                             ;   Parent Loop BB8_47 Depth=1
                                        ;     Parent Loop BB8_3863 Depth=2
                                        ;       Parent Loop BB8_3866 Depth=3
                                        ;         Parent Loop BB8_3993 Depth=4
                                        ; =>        This Inner Loop Header: Depth=5
	s_cmp_eq_u32 s40, 1
	s_cselect_b32 vcc_lo, -1, 0
	s_cmp_eq_u32 s40, 0
	s_wait_xcnt 0x0
	v_dual_cndmask_b32 v15, v9, v11 :: v_dual_cndmask_b32 v14, v8, v10
	s_cselect_b32 s13, -1, 0
	s_and_b32 s14, exec_lo, s79
	s_mov_b64 s[40:41], 1
	s_mov_b32 s79, 0
	v_add_nc_u64_e32 v[16:17], 64, v[14:15]
	flat_store_b16 v[14:15], v4 th:TH_STORE_NT
	v_dual_cndmask_b32 v11, v11, v17 :: v_dual_cndmask_b32 v10, v10, v16
	v_dual_cndmask_b32 v9, v9, v17, s13 :: v_dual_cndmask_b32 v8, v8, v16, s13
	s_mov_b32 vcc_lo, s14
	s_cbranch_vccnz .LBB8_3995
; %bb.3996:                             ;   in Loop: Header=BB8_3993 Depth=4
	s_delay_alu instid0(VALU_DEP_1)
	v_add_nc_u64_e32 v[8:9], v[8:9], v[118:119]
	v_add_nc_u64_e32 v[10:11], v[10:11], v[118:119]
.LBB8_3997:                             ;   in Loop: Header=BB8_3993 Depth=4
	s_wait_xcnt 0x0
	s_or_b32 exec_lo, exec_lo, s88
	v_sub_nc_u32_e32 v16, v18, v123
	v_add_nc_u64_e32 v[12:13], v[46:47], v[12:13]
	s_delay_alu instid0(VALU_DEP_2)
	v_cmp_lt_i32_e64 s79, 1, v16
	s_and_saveexec_b32 s13, s79
	s_cbranch_execz .LBB8_3999
; %bb.3998:                             ;   in Loop: Header=BB8_3993 Depth=4
	flat_load_u16 v4, v[12:13] th:TH_LOAD_NT
	s_wait_xcnt 0x0
	v_add_nc_u64_e32 v[12:13], 64, v[12:13]
.LBB8_3999:                             ;   in Loop: Header=BB8_3993 Depth=4
	s_or_b32 exec_lo, exec_lo, s13
	s_mov_b64 s[40:41], 0
	s_mov_b32 s88, -1
.LBB8_4000:                             ;   Parent Loop BB8_47 Depth=1
                                        ;     Parent Loop BB8_3863 Depth=2
                                        ;       Parent Loop BB8_3866 Depth=3
                                        ;         Parent Loop BB8_3993 Depth=4
                                        ; =>        This Inner Loop Header: Depth=5
	s_cmp_eq_u32 s40, 1
	s_cselect_b32 vcc_lo, -1, 0
	s_cmp_eq_u32 s40, 0
	s_wait_xcnt 0x0
	v_dual_cndmask_b32 v15, v9, v11 :: v_dual_cndmask_b32 v14, v8, v10
	s_cselect_b32 s13, -1, 0
	s_and_b32 s14, exec_lo, s88
	s_mov_b64 s[40:41], 1
	s_mov_b32 s88, 0
	v_add_nc_u64_e32 v[18:19], 64, v[14:15]
	s_wait_loadcnt_dscnt 0x0
	flat_store_b16 v[14:15], v5 th:TH_STORE_NT
	v_dual_cndmask_b32 v11, v11, v19 :: v_dual_cndmask_b32 v10, v10, v18
	v_dual_cndmask_b32 v9, v9, v19, s13 :: v_dual_cndmask_b32 v8, v8, v18, s13
	s_mov_b32 vcc_lo, s14
	s_cbranch_vccnz .LBB8_4000
; %bb.4001:                             ;   in Loop: Header=BB8_3993 Depth=4
	s_wait_xcnt 0x0
	v_dual_cndmask_b32 v5, 0, v123, s79 :: v_dual_cndmask_b32 v20, 0, v118, s79
	v_cndmask_b32_e64 v21, 0, v119, s79
	v_add_nc_u64_e32 v[14:15], v[10:11], v[118:119]
	s_delay_alu instid0(VALU_DEP_3) | instskip(SKIP_1) | instid1(VALU_DEP_4)
	v_sub_nc_u32_e32 v18, v16, v5
	v_add_nc_u64_e32 v[16:17], v[8:9], v[118:119]
	v_add_nc_u64_e32 v[12:13], v[12:13], v[20:21]
	s_delay_alu instid0(VALU_DEP_4) | instskip(NEXT) | instid1(VALU_DEP_4)
	v_dual_cndmask_b32 v11, v11, v15, s79 :: v_dual_cndmask_b32 v10, v10, v14, s79
	v_cmp_gt_i32_e32 vcc_lo, 2, v18
	s_delay_alu instid0(VALU_DEP_4) | instskip(SKIP_3) | instid1(SALU_CYCLE_1)
	v_dual_cndmask_b32 v9, v9, v17, s79 :: v_dual_cndmask_b32 v8, v8, v16, s79
	s_or_b32 s77, vcc_lo, s77
	s_and_not1_b32 s13, s78, exec_lo
	s_and_b32 s14, s79, exec_lo
	s_or_b32 s78, s13, s14
	s_and_not1_b32 exec_lo, exec_lo, s77
	s_cbranch_execnz .LBB8_3993
; %bb.4002:                             ;   in Loop: Header=BB8_3866 Depth=3
	s_or_b32 exec_lo, exec_lo, s77
	s_delay_alu instid0(SALU_CYCLE_1)
	s_and_b32 exec_lo, exec_lo, s78
	s_cbranch_execz .LBB8_4005
; %bb.4003:                             ;   in Loop: Header=BB8_3866 Depth=3
	s_mov_b64 s[40:41], 0
	s_mov_b32 s77, -1
.LBB8_4004:                             ;   Parent Loop BB8_47 Depth=1
                                        ;     Parent Loop BB8_3863 Depth=2
                                        ;       Parent Loop BB8_3866 Depth=3
                                        ; =>      This Inner Loop Header: Depth=4
	s_cmp_eq_u32 s40, 1
	s_cselect_b32 vcc_lo, -1, 0
	s_cmp_eq_u32 s40, 0
	s_wait_xcnt 0x0
	v_dual_cndmask_b32 v9, v17, v15 :: v_dual_cndmask_b32 v8, v16, v14
	s_cselect_b32 s13, -1, 0
	s_and_b32 s14, exec_lo, s77
	s_mov_b64 s[40:41], 1
	s_mov_b32 s77, 0
	v_add_nc_u64_e32 v[10:11], 64, v[8:9]
	flat_store_b16 v[8:9], v4 th:TH_STORE_NT
	v_dual_cndmask_b32 v17, v17, v11, s13 :: v_dual_cndmask_b32 v16, v16, v10, s13
	v_dual_cndmask_b32 v15, v15, v11 :: v_dual_cndmask_b32 v14, v14, v10
	s_mov_b32 vcc_lo, s14
	s_cbranch_vccnz .LBB8_4004
.LBB8_4005:                             ;   in Loop: Header=BB8_3866 Depth=3
	s_wait_xcnt 0x0
	s_or_b32 exec_lo, exec_lo, s15
	s_mov_b32 s13, 0
.LBB8_4006:                             ;   in Loop: Header=BB8_3866 Depth=3
	s_delay_alu instid0(SALU_CYCLE_1)
	s_and_b32 vcc_lo, exec_lo, s13
	s_cbranch_vccz .LBB8_4020
; %bb.4007:                             ;   in Loop: Header=BB8_3866 Depth=3
	s_mov_b32 s13, -1
	s_and_saveexec_b32 s14, s10
	s_cbranch_execz .LBB8_4009
; %bb.4008:                             ;   in Loop: Header=BB8_3866 Depth=3
	ds_load_b32 v4, v0 offset:720
	s_wait_dscnt 0x0
	v_and_b32_e32 v4, 15, v4
	s_delay_alu instid0(VALU_DEP_1)
	v_cmp_eq_u32_e32 vcc_lo, 0, v4
	s_or_not1_b32 s13, vcc_lo, exec_lo
.LBB8_4009:                             ;   in Loop: Header=BB8_3866 Depth=3
	s_or_b32 exec_lo, exec_lo, s14
	s_and_saveexec_b32 s14, s7
	s_cbranch_execz .LBB8_4011
; %bb.4010:                             ;   in Loop: Header=BB8_3866 Depth=3
	ds_load_b32 v4, v0 offset:784
	s_wait_dscnt 0x0
	v_and_b32_e32 v4, 15, v4
	s_delay_alu instid0(VALU_DEP_1) | instskip(SKIP_3) | instid1(SALU_CYCLE_1)
	v_cmp_eq_u32_e32 vcc_lo, 0, v4
	s_and_b32 s15, s13, vcc_lo
	s_and_not1_b32 s13, s13, exec_lo
	s_and_b32 s15, s15, exec_lo
	s_or_b32 s13, s13, s15
.LBB8_4011:                             ;   in Loop: Header=BB8_3866 Depth=3
	s_or_b32 exec_lo, exec_lo, s14
	s_xor_b32 s13, s13, -1
	s_delay_alu instid0(SALU_CYCLE_1) | instskip(SKIP_1) | instid1(VALU_DEP_1)
	v_cndmask_b32_e64 v4, 0, 1, s13
	s_mov_b32 s13, -1
	v_cmp_ne_u32_e32 vcc_lo, 0, v4
	s_cbranch_vccz .LBB8_4021
; %bb.4012:                             ;   in Loop: Header=BB8_3866 Depth=3
	s_mov_b32 s14, -1
	v_mov_b32_e32 v4, 0
	s_cbranch_execnz .LBB8_4022
.LBB8_4013:                             ;   in Loop: Header=BB8_3866 Depth=3
	v_ashrrev_i32_e32 v4, 31, v73
	v_add_nc_u64_e32 v[90:91], v[88:89], v[100:101]
	s_mov_b32 s15, 0
	s_mov_b32 s13, exec_lo
                                        ; implicit-def: $vgpr8_vgpr9
                                        ; implicit-def: $vgpr12_vgpr13
                                        ; implicit-def: $vgpr16_vgpr17
                                        ; implicit-def: $vgpr20_vgpr21
	s_delay_alu instid0(VALU_DEP_2) | instskip(NEXT) | instid1(VALU_DEP_1)
	v_lshrrev_b32_e32 v4, 21, v4
	v_add_nc_u32_e32 v4, v73, v4
	s_delay_alu instid0(VALU_DEP_1) | instskip(NEXT) | instid1(VALU_DEP_1)
	v_ashrrev_i32_e32 v4, 11, v4
	v_sub_nc_u32_e32 v28, v4, v110
	s_delay_alu instid0(VALU_DEP_1)
	v_cmpx_lt_i32_e32 0, v28
	s_cbranch_execz .LBB8_4024
; %bb.4014:                             ;   in Loop: Header=BB8_3866 Depth=3
	v_add_nc_u64_e32 v[92:93], v[78:79], v[100:101]
	s_mov_b32 s41, 0
                                        ; implicit-def: $sgpr40
                                        ; implicit-def: $vgpr8_vgpr9
                                        ; implicit-def: $vgpr12_vgpr13
                                        ; implicit-def: $vgpr16_vgpr17
                                        ; implicit-def: $vgpr20_vgpr21
	s_branch .LBB8_4016
.LBB8_4015:                             ;   in Loop: Header=BB8_4016 Depth=4
	s_or_b32 exec_lo, exec_lo, s77
	s_delay_alu instid0(VALU_DEP_1) | instskip(NEXT) | instid1(VALU_DEP_3)
	v_sub_nc_u32_e32 v28, v5, v28
	v_add_nc_u64_e32 v[52:53], v[90:91], v[94:95]
	s_wait_loadcnt 0x3
	global_store_b128 v[90:91], v[36:39], off th:TH_STORE_NT
	s_wait_loadcnt 0x2
	global_store_b128 v[90:91], v[48:51], off offset:512 th:TH_STORE_NT
	s_wait_loadcnt 0x1
	global_store_b128 v[90:91], v[24:27], off offset:1024 th:TH_STORE_NT
	;; [unrolled: 2-line block ×3, first 2 shown]
	v_add_nc_u64_e32 v[92:93], v[92:93], v[94:95]
	v_cmp_gt_i32_e32 vcc_lo, 1, v28
	s_wait_xcnt 0x0
	v_add_nc_u64_e32 v[90:91], 0x800, v[52:53]
	s_or_b32 s15, vcc_lo, s15
	s_and_not1_b32 s40, s40, exec_lo
	s_and_b32 s77, s41, exec_lo
	s_delay_alu instid0(SALU_CYCLE_1)
	s_or_b32 s40, s40, s77
	s_and_not1_b32 exec_lo, exec_lo, s15
	s_cbranch_execz .LBB8_4023
.LBB8_4016:                             ;   Parent Loop BB8_47 Depth=1
                                        ;     Parent Loop BB8_3863 Depth=2
                                        ;       Parent Loop BB8_3866 Depth=3
                                        ; =>      This Inner Loop Header: Depth=4
	s_clause 0x3
	global_load_b128 v[36:39], v[92:93], off th:TH_LOAD_NT
	global_load_b128 v[48:51], v[92:93], off offset:512 th:TH_LOAD_NT
	global_load_b128 v[24:27], v[92:93], off offset:1024 th:TH_LOAD_NT
	;; [unrolled: 1-line block ×3, first 2 shown]
	s_wait_xcnt 0x0
	s_and_saveexec_b32 s77, s41
	s_cbranch_execz .LBB8_4018
; %bb.4017:                             ;   in Loop: Header=BB8_4016 Depth=4
	s_clause 0x3
	global_store_b128 v[90:91], v[8:11], off th:TH_STORE_NT
	global_store_b128 v[90:91], v[12:15], off offset:512 th:TH_STORE_NT
	global_store_b128 v[90:91], v[16:19], off offset:1024 th:TH_STORE_NT
	;; [unrolled: 1-line block ×3, first 2 shown]
	s_wait_xcnt 0x0
	v_add_nc_u64_e32 v[90:91], v[90:91], v[40:41]
.LBB8_4018:                             ;   in Loop: Header=BB8_4016 Depth=4
	s_or_b32 exec_lo, exec_lo, s77
	v_dual_mov_b32 v28, 0 :: v_dual_sub_nc_u32 v5, v28, v84
	v_add_nc_u64_e32 v[92:93], v[92:93], v[40:41]
	v_mov_b64_e32 v[94:95], 0
	s_delay_alu instid0(VALU_DEP_3)
	v_cmp_lt_i32_e64 s41, 0, v5
	s_and_saveexec_b32 s77, s41
	s_cbranch_execz .LBB8_4015
; %bb.4019:                             ;   in Loop: Header=BB8_4016 Depth=4
	s_clause 0x3
	global_load_b128 v[8:11], v[92:93], off th:TH_LOAD_NT
	global_load_b128 v[12:15], v[92:93], off offset:512 th:TH_LOAD_NT
	global_load_b128 v[16:19], v[92:93], off offset:1024 th:TH_LOAD_NT
	global_load_b128 v[20:23], v[92:93], off offset:1536 th:TH_LOAD_NT
	s_wait_xcnt 0x0
	v_add_nc_u64_e32 v[92:93], 0x800, v[92:93]
	v_mov_b64_e32 v[94:95], v[102:103]
	v_mov_b32_e32 v28, v84
	s_branch .LBB8_4015
.LBB8_4020:                             ;   in Loop: Header=BB8_3866 Depth=3
	v_cmp_lt_i32_e64 s13, 0, v2
	s_and_saveexec_b32 s14, s2
	s_cbranch_execnz .LBB8_4064
	s_branch .LBB8_3949
.LBB8_4021:                             ;   in Loop: Header=BB8_3866 Depth=3
	s_mov_b32 s14, 0
	v_mov_b32_e32 v4, 0
	s_and_not1_b32 vcc_lo, exec_lo, s13
	s_cbranch_vccz .LBB8_4013
.LBB8_4022:                             ;   in Loop: Header=BB8_3866 Depth=3
	v_dual_mov_b32 v8, v0 :: v_dual_mov_b32 v5, v109
	s_and_saveexec_b32 s13, s14
	s_cbranch_execnz .LBB8_4043
	s_branch .LBB8_4063
.LBB8_4023:                             ;   in Loop: Header=BB8_3866 Depth=3
	s_or_b32 exec_lo, exec_lo, s15
	s_delay_alu instid0(SALU_CYCLE_1)
	s_and_b32 s15, s40, exec_lo
.LBB8_4024:                             ;   in Loop: Header=BB8_3866 Depth=3
	s_or_b32 exec_lo, exec_lo, s13
	s_and_saveexec_b32 s13, s15
	s_cbranch_execz .LBB8_4026
; %bb.4025:                             ;   in Loop: Header=BB8_3866 Depth=3
	s_clause 0x3
	global_store_b128 v[90:91], v[8:11], off th:TH_STORE_NT
	global_store_b128 v[90:91], v[12:15], off offset:512 th:TH_STORE_NT
	global_store_b128 v[90:91], v[16:19], off offset:1024 th:TH_STORE_NT
	;; [unrolled: 1-line block ×3, first 2 shown]
.LBB8_4026:                             ;   in Loop: Header=BB8_3866 Depth=3
	s_wait_xcnt 0x0
	s_or_b32 exec_lo, exec_lo, s13
	v_lshlrev_b32_e32 v20, 11, v4
	s_mov_b32 s15, exec_lo
                                        ; implicit-def: $vgpr4
                                        ; implicit-def: $vgpr8
                                        ; implicit-def: $vgpr5
	s_delay_alu instid0(VALU_DEP_1)
	v_cmpx_ne_u32_e64 v73, v20
	s_cbranch_execz .LBB8_4042
; %bb.4027:                             ;   in Loop: Header=BB8_3866 Depth=3
	v_lshlrev_b32_e32 v4, 5, v28
	s_mov_b32 s41, 0
	s_mov_b32 s40, exec_lo
	v_sub_nc_u32_e32 v8, v73, v20
	s_delay_alu instid0(VALU_DEP_2) | instskip(NEXT) | instid1(VALU_DEP_1)
	v_sub_nc_u32_e32 v4, v109, v4
	v_ashrrev_i32_e32 v5, 31, v4
	s_delay_alu instid0(VALU_DEP_1) | instskip(NEXT) | instid1(VALU_DEP_1)
	v_lshrrev_b32_e32 v5, 27, v5
	v_add_nc_u32_e32 v5, v4, v5
	s_delay_alu instid0(VALU_DEP_1) | instskip(SKIP_1) | instid1(VALU_DEP_2)
	v_and_b32_e32 v9, 0xffffffe0, v5
	v_ashrrev_i32_e32 v5, 5, v5
	v_dual_sub_nc_u32 v21, v4, v9 :: v_dual_ashrrev_i32 v10, 31, v8
	s_delay_alu instid0(VALU_DEP_1) | instskip(NEXT) | instid1(VALU_DEP_1)
	v_lshlrev_b32_e32 v9, 4, v21
	v_lshl_add_u32 v9, v5, 9, v9
	s_delay_alu instid0(VALU_DEP_1) | instskip(NEXT) | instid1(VALU_DEP_1)
	v_dual_lshrrev_b32 v4, 23, v10 :: v_dual_add_nc_u32 v10, v9, v20
	v_dual_add_nc_u32 v4, v8, v4 :: v_dual_ashrrev_i32 v11, 31, v10
	s_delay_alu instid0(VALU_DEP_1) | instskip(NEXT) | instid1(VALU_DEP_2)
	v_and_b32_e32 v22, 0xfffffe00, v4
	v_add_nc_u64_e32 v[16:17], v[10:11], v[88:89]
	s_delay_alu instid0(VALU_DEP_2) | instskip(NEXT) | instid1(VALU_DEP_1)
	v_dual_sub_nc_u32 v23, v8, v22 :: v_dual_ashrrev_i32 v4, 9, v4
	v_cmp_lt_i32_e32 vcc_lo, 15, v23
	s_delay_alu instid0(VALU_DEP_2) | instskip(SKIP_1) | instid1(VALU_DEP_2)
	v_add_co_ci_u32_e64 v12, null, 0, v4, vcc_lo
	v_sub_nc_u32_e32 v4, v8, v9
                                        ; implicit-def: $vgpr8_vgpr9
	v_sub_nc_u32_e32 v24, v12, v5
	s_delay_alu instid0(VALU_DEP_2)
	v_cmpx_lt_i32_e32 15, v4
	s_cbranch_execz .LBB8_4037
; %bb.4028:                             ;   in Loop: Header=BB8_3866 Depth=3
	v_add_nc_u64_e32 v[18:19], v[10:11], v[78:79]
	s_mov_b32 s78, 0
                                        ; implicit-def: $sgpr77
                                        ; implicit-def: $vgpr8_vgpr9
	s_branch .LBB8_4030
.LBB8_4029:                             ;   in Loop: Header=BB8_4030 Depth=4
	s_or_b32 exec_lo, exec_lo, s13
	s_delay_alu instid0(VALU_DEP_1) | instskip(SKIP_3) | instid1(SALU_CYCLE_1)
	v_cmp_gt_i32_e64 s13, 16, v4
	s_or_b32 s41, s13, s41
	s_and_not1_b32 s13, s77, exec_lo
	s_and_b32 s77, s78, exec_lo
	s_or_b32 s77, s13, s77
	s_and_not1_b32 exec_lo, exec_lo, s41
	s_cbranch_execz .LBB8_4036
.LBB8_4030:                             ;   Parent Loop BB8_47 Depth=1
                                        ;     Parent Loop BB8_3863 Depth=2
                                        ;       Parent Loop BB8_3866 Depth=3
                                        ; =>      This Inner Loop Header: Depth=4
	global_load_b128 v[12:15], v[18:19], off th:TH_LOAD_NT
	s_wait_xcnt 0x0
	s_and_saveexec_b32 s13, s78
	s_cbranch_execz .LBB8_4032
; %bb.4031:                             ;   in Loop: Header=BB8_4030 Depth=4
	v_add_nc_u64_e32 v[26:27], v[16:17], v[44:45]
	global_store_b128 v[16:17], v[8:11], off th:TH_STORE_NT
	s_wait_xcnt 0x0
	v_mov_b64_e32 v[16:17], v[26:27]
.LBB8_4032:                             ;   in Loop: Header=BB8_4030 Depth=4
	s_or_b32 exec_lo, exec_lo, s13
	v_sub_nc_u32_e32 v4, v4, v122
	v_add_nc_u64_e32 v[18:19], v[18:19], v[44:45]
	s_delay_alu instid0(VALU_DEP_2)
	v_cmp_lt_i32_e64 s78, 15, v4
	s_and_saveexec_b32 s13, s78
	s_cbranch_execz .LBB8_4034
; %bb.4033:                             ;   in Loop: Header=BB8_4030 Depth=4
	global_load_b128 v[8:11], v[18:19], off th:TH_LOAD_NT
	s_wait_xcnt 0x0
	v_add_nc_u64_e32 v[18:19], 0x200, v[18:19]
.LBB8_4034:                             ;   in Loop: Header=BB8_4030 Depth=4
	s_or_b32 exec_lo, exec_lo, s13
	s_wait_loadcnt 0x0
	global_store_b128 v[16:17], v[12:15], off th:TH_STORE_NT
	s_wait_xcnt 0x0
	v_add_nc_u64_e32 v[16:17], 0x200, v[16:17]
	v_sub_nc_u32_e32 v24, v24, v84
	s_and_saveexec_b32 s13, s78
	s_cbranch_execz .LBB8_4029
; %bb.4035:                             ;   in Loop: Header=BB8_4030 Depth=4
	v_add_nc_u64_e32 v[18:19], v[18:19], v[116:117]
	s_delay_alu instid0(VALU_DEP_3)
	v_add_nc_u64_e32 v[16:17], v[16:17], v[116:117]
	v_sub_nc_u32_e32 v24, v24, v84
	v_sub_nc_u32_e32 v4, v4, v122
	s_branch .LBB8_4029
.LBB8_4036:                             ;   in Loop: Header=BB8_3866 Depth=3
	s_or_b32 exec_lo, exec_lo, s41
	s_delay_alu instid0(SALU_CYCLE_1)
	s_and_b32 s41, s77, exec_lo
.LBB8_4037:                             ;   in Loop: Header=BB8_3866 Depth=3
	s_or_b32 exec_lo, exec_lo, s40
	s_and_saveexec_b32 s13, s41
	s_cbranch_execz .LBB8_4039
; %bb.4038:                             ;   in Loop: Header=BB8_3866 Depth=3
	global_store_b128 v[16:17], v[8:11], off th:TH_STORE_NT
.LBB8_4039:                             ;   in Loop: Header=BB8_3866 Depth=3
	s_wait_xcnt 0x0
	s_or_b32 exec_lo, exec_lo, s13
	v_and_b32_e32 v9, 14, v73
	s_mov_b32 s41, s14
	s_mov_b32 s40, exec_lo
                                        ; implicit-def: $vgpr4
                                        ; implicit-def: $vgpr8
                                        ; implicit-def: $vgpr5
	s_delay_alu instid0(VALU_DEP_1) | instskip(NEXT) | instid1(VALU_DEP_1)
	v_cndmask_b32_e32 v73, v23, v9, vcc_lo
	v_cmpx_ne_u32_e32 0, v73
	s_cbranch_execz .LBB8_4041
; %bb.4040:                             ;   in Loop: Header=BB8_3866 Depth=3
	v_cmp_lt_i32_e64 s13, 0, v24
	s_or_b32 s41, s14, exec_lo
	v_dual_sub_nc_u32 v5, v23, v9 :: v_dual_cndmask_b32 v4, 0, v84, s13
	s_delay_alu instid0(VALU_DEP_1) | instskip(NEXT) | instid1(VALU_DEP_1)
	v_dual_cndmask_b32 v5, 0, v5 :: v_dual_sub_nc_u32 v4, v4, v24
	v_lshl_add_u32 v8, v4, 5, v21
	s_delay_alu instid0(VALU_DEP_1) | instskip(NEXT) | instid1(VALU_DEP_1)
	v_ashrrev_i32_e32 v4, 31, v8
	v_lshrrev_b32_e32 v4, 27, v4
	s_delay_alu instid0(VALU_DEP_1) | instskip(NEXT) | instid1(VALU_DEP_1)
	v_add_nc_u32_e32 v4, v8, v4
	v_and_b32_e32 v9, 0xffffffe0, v4
	v_add3_u32 v4, v22, v20, v5
	s_delay_alu instid0(VALU_DEP_2)
	v_sub_nc_u32_e32 v5, v8, v9
.LBB8_4041:                             ;   in Loop: Header=BB8_3866 Depth=3
	s_or_b32 exec_lo, exec_lo, s40
	s_delay_alu instid0(SALU_CYCLE_1) | instskip(SKIP_1) | instid1(SALU_CYCLE_1)
	s_and_not1_b32 s13, s14, exec_lo
	s_and_b32 s14, s41, exec_lo
	s_or_b32 s14, s13, s14
.LBB8_4042:                             ;   in Loop: Header=BB8_3866 Depth=3
	s_or_b32 exec_lo, exec_lo, s15
	s_and_saveexec_b32 s13, s14
	s_cbranch_execz .LBB8_4063
.LBB8_4043:                             ;   in Loop: Header=BB8_3866 Depth=3
	s_delay_alu instid0(VALU_DEP_1) | instskip(SKIP_2) | instid1(VALU_DEP_1)
	v_ashrrev_i32_e32 v9, 31, v8
	s_mov_b32 s15, 0
	s_mov_b32 s14, exec_lo
                                        ; implicit-def: $vgpr15
                                        ; implicit-def: $vgpr16
                                        ; implicit-def: $vgpr17
                                        ; implicit-def: $vgpr18
                                        ; implicit-def: $vgpr19
                                        ; implicit-def: $vgpr20
                                        ; implicit-def: $vgpr21
                                        ; implicit-def: $vgpr22
	v_lshrrev_b32_e32 v9, 27, v9
	s_delay_alu instid0(VALU_DEP_1) | instskip(SKIP_1) | instid1(VALU_DEP_1)
	v_add_nc_u32_e32 v8, v8, v9
	v_ashrrev_i32_e32 v9, 31, v73
	v_dual_lshrrev_b32 v9, 23, v9 :: v_dual_ashrrev_i32 v8, 5, v8
	s_delay_alu instid0(VALU_DEP_1) | instskip(NEXT) | instid1(VALU_DEP_1)
	v_dual_add_nc_u32 v9, v73, v9 :: v_dual_lshlrev_b32 v10, 9, v8
	v_ashrrev_i32_e32 v14, 9, v9
	s_delay_alu instid0(VALU_DEP_1) | instskip(NEXT) | instid1(VALU_DEP_1)
	v_dual_lshlrev_b32 v11, 1, v5 :: v_dual_sub_nc_u32 v23, v14, v8
	v_add3_u32 v10, v4, v11, v10
	s_delay_alu instid0(VALU_DEP_1) | instskip(NEXT) | instid1(VALU_DEP_1)
	v_ashrrev_i32_e32 v11, 31, v10
	v_add_nc_u64_e32 v[8:9], v[88:89], v[10:11]
	s_delay_alu instid0(VALU_DEP_4)
	v_cmpx_lt_i32_e32 0, v23
	s_cbranch_execz .LBB8_4051
; %bb.4044:                             ;   in Loop: Header=BB8_3866 Depth=3
	v_add_nc_u64_e32 v[10:11], v[10:11], v[78:79]
	s_mov_b32 s41, 0
                                        ; implicit-def: $sgpr40
                                        ; implicit-def: $vgpr15
                                        ; implicit-def: $vgpr16
                                        ; implicit-def: $vgpr17
                                        ; implicit-def: $vgpr18
                                        ; implicit-def: $vgpr19
                                        ; implicit-def: $vgpr20
                                        ; implicit-def: $vgpr21
                                        ; implicit-def: $vgpr22
	s_branch .LBB8_4046
.LBB8_4045:                             ;   in Loop: Header=BB8_4046 Depth=4
	s_or_b32 exec_lo, exec_lo, s77
	s_delay_alu instid0(VALU_DEP_1) | instskip(NEXT) | instid1(VALU_DEP_3)
	v_sub_nc_u32_e32 v23, v23, v34
	v_add_nc_u64_e32 v[34:35], v[8:9], v[12:13]
	s_wait_loadcnt_dscnt 0x707
	flat_store_b16 v[8:9], v24 th:TH_STORE_NT
	s_wait_loadcnt_dscnt 0x607
	flat_store_b16 v[8:9], v25 offset:64 th:TH_STORE_NT
	s_wait_loadcnt_dscnt 0x507
	flat_store_b16 v[8:9], v26 offset:128 th:TH_STORE_NT
	;; [unrolled: 2-line block ×7, first 2 shown]
	v_add_nc_u64_e32 v[10:11], v[10:11], v[12:13]
	v_cmp_gt_i32_e32 vcc_lo, 1, v23
	s_wait_xcnt 0x0
	v_add_nc_u64_e32 v[8:9], 0x200, v[34:35]
	s_or_b32 s15, vcc_lo, s15
	s_and_not1_b32 s40, s40, exec_lo
	s_and_b32 s77, s41, exec_lo
	s_delay_alu instid0(SALU_CYCLE_1)
	s_or_b32 s40, s40, s77
	s_and_not1_b32 exec_lo, exec_lo, s15
	s_cbranch_execz .LBB8_4050
.LBB8_4046:                             ;   Parent Loop BB8_47 Depth=1
                                        ;     Parent Loop BB8_3863 Depth=2
                                        ;       Parent Loop BB8_3866 Depth=3
                                        ; =>      This Inner Loop Header: Depth=4
	s_clause 0x7
	flat_load_u16 v24, v[10:11] th:TH_LOAD_NT
	flat_load_u16 v25, v[10:11] offset:64 th:TH_LOAD_NT
	flat_load_u16 v26, v[10:11] offset:128 th:TH_LOAD_NT
	;; [unrolled: 1-line block ×7, first 2 shown]
	s_wait_xcnt 0x0
	s_and_saveexec_b32 s77, s41
	s_cbranch_execz .LBB8_4048
; %bb.4047:                             ;   in Loop: Header=BB8_4046 Depth=4
	s_clause 0x7
	flat_store_b16 v[8:9], v15 th:TH_STORE_NT
	flat_store_b16 v[8:9], v16 offset:64 th:TH_STORE_NT
	flat_store_b16 v[8:9], v17 offset:128 th:TH_STORE_NT
	;; [unrolled: 1-line block ×7, first 2 shown]
	s_wait_xcnt 0x0
	v_add_nc_u64_e32 v[8:9], v[8:9], v[44:45]
.LBB8_4048:                             ;   in Loop: Header=BB8_4046 Depth=4
	s_or_b32 exec_lo, exec_lo, s77
	v_dual_mov_b32 v34, 0 :: v_dual_sub_nc_u32 v23, v23, v84
	v_add_nc_u64_e32 v[10:11], v[10:11], v[44:45]
	v_mov_b64_e32 v[12:13], 0
	s_delay_alu instid0(VALU_DEP_3)
	v_cmp_lt_i32_e64 s41, 0, v23
	s_and_saveexec_b32 s77, s41
	s_cbranch_execz .LBB8_4045
; %bb.4049:                             ;   in Loop: Header=BB8_4046 Depth=4
	s_clause 0x7
	flat_load_u16 v15, v[10:11] th:TH_LOAD_NT
	flat_load_u16 v16, v[10:11] offset:64 th:TH_LOAD_NT
	flat_load_u16 v17, v[10:11] offset:128 th:TH_LOAD_NT
	;; [unrolled: 1-line block ×7, first 2 shown]
	s_wait_xcnt 0x0
	v_add_nc_u64_e32 v[10:11], 0x200, v[10:11]
	v_mov_b64_e32 v[12:13], v[116:117]
	v_mov_b32_e32 v34, v84
	s_branch .LBB8_4045
.LBB8_4050:                             ;   in Loop: Header=BB8_3866 Depth=3
	s_or_b32 exec_lo, exec_lo, s15
	s_delay_alu instid0(SALU_CYCLE_1)
	s_and_b32 s15, s40, exec_lo
.LBB8_4051:                             ;   in Loop: Header=BB8_3866 Depth=3
	s_or_b32 exec_lo, exec_lo, s14
	s_and_saveexec_b32 s14, s15
	s_cbranch_execz .LBB8_4053
; %bb.4052:                             ;   in Loop: Header=BB8_3866 Depth=3
	s_clause 0x7
	flat_store_b16 v[8:9], v15 th:TH_STORE_NT
	flat_store_b16 v[8:9], v16 offset:64 th:TH_STORE_NT
	flat_store_b16 v[8:9], v17 offset:128 th:TH_STORE_NT
	;; [unrolled: 1-line block ×7, first 2 shown]
.LBB8_4053:                             ;   in Loop: Header=BB8_3866 Depth=3
	s_wait_xcnt 0x0
	s_or_b32 exec_lo, exec_lo, s14
	v_lshlrev_b32_e32 v8, 9, v14
	s_delay_alu instid0(VALU_DEP_1)
	v_cmp_ne_u32_e32 vcc_lo, v73, v8
	s_and_b32 exec_lo, exec_lo, vcc_lo
	s_cbranch_execz .LBB8_4063
; %bb.4054:                             ;   in Loop: Header=BB8_3866 Depth=3
	v_lshlrev_b32_e32 v9, 5, v23
	s_delay_alu instid0(VALU_DEP_1) | instskip(NEXT) | instid1(VALU_DEP_1)
	v_sub_nc_u32_e32 v5, v5, v9
	v_ashrrev_i32_e32 v9, 31, v5
	s_delay_alu instid0(VALU_DEP_1) | instskip(NEXT) | instid1(VALU_DEP_1)
	v_lshrrev_b32_e32 v9, 27, v9
	v_add_nc_u32_e32 v9, v5, v9
	s_delay_alu instid0(VALU_DEP_1) | instskip(NEXT) | instid1(VALU_DEP_1)
	v_and_b32_e32 v10, 0x7fffffe0, v9
	v_dual_lshlrev_b32 v9, 1, v9 :: v_dual_sub_nc_u32 v5, v5, v10
	s_delay_alu instid0(VALU_DEP_1) | instskip(NEXT) | instid1(VALU_DEP_2)
	v_and_b32_e32 v9, 0xffffffc0, v9
	v_lshlrev_b32_e32 v5, 1, v5
	s_delay_alu instid0(VALU_DEP_1) | instskip(NEXT) | instid1(VALU_DEP_1)
	v_add3_u32 v8, v9, v5, v8
	v_sub_nc_u32_e32 v5, v73, v8
	s_delay_alu instid0(VALU_DEP_1)
	v_cmp_lt_i32_e32 vcc_lo, 1, v5
	s_and_b32 exec_lo, exec_lo, vcc_lo
	s_cbranch_execz .LBB8_4063
; %bb.4055:                             ;   in Loop: Header=BB8_3866 Depth=3
	v_add_nc_u32_e32 v10, v8, v4
	s_mov_b32 s40, 0
	s_mov_b32 s14, 0
                                        ; implicit-def: $sgpr15
                                        ; implicit-def: $vgpr4
	s_delay_alu instid0(VALU_DEP_1) | instskip(NEXT) | instid1(VALU_DEP_1)
	v_ashrrev_i32_e32 v11, 31, v10
	v_add_nc_u64_e32 v[8:9], v[88:89], v[10:11]
	v_add_nc_u64_e32 v[10:11], v[10:11], v[78:79]
	s_branch .LBB8_4057
.LBB8_4056:                             ;   in Loop: Header=BB8_4057 Depth=4
	s_or_b32 exec_lo, exec_lo, s41
	s_delay_alu instid0(VALU_DEP_1) | instskip(NEXT) | instid1(VALU_DEP_3)
	v_sub_nc_u32_e32 v5, v5, v15
	v_add_nc_u64_e32 v[16:17], v[8:9], v[12:13]
	s_wait_loadcnt_dscnt 0x0
	flat_store_b16 v[8:9], v14 th:TH_STORE_NT
	v_add_nc_u64_e32 v[10:11], v[10:11], v[12:13]
	v_cmp_gt_i32_e32 vcc_lo, 2, v5
	s_wait_xcnt 0x0
	v_add_nc_u64_e32 v[8:9], 64, v[16:17]
	s_or_b32 s14, vcc_lo, s14
	s_and_not1_b32 s15, s15, exec_lo
	s_and_b32 s41, s40, exec_lo
	s_delay_alu instid0(SALU_CYCLE_1)
	s_or_b32 s15, s15, s41
	s_and_not1_b32 exec_lo, exec_lo, s14
	s_cbranch_execz .LBB8_4061
.LBB8_4057:                             ;   Parent Loop BB8_47 Depth=1
                                        ;     Parent Loop BB8_3863 Depth=2
                                        ;       Parent Loop BB8_3866 Depth=3
                                        ; =>      This Inner Loop Header: Depth=4
	flat_load_u16 v14, v[10:11] th:TH_LOAD_NT
	s_wait_xcnt 0x0
	s_and_saveexec_b32 s41, s40
	s_cbranch_execz .LBB8_4059
; %bb.4058:                             ;   in Loop: Header=BB8_4057 Depth=4
	v_add_nc_u64_e32 v[12:13], v[8:9], v[46:47]
	flat_store_b16 v[8:9], v4 th:TH_STORE_NT
	s_wait_xcnt 0x0
	v_mov_b64_e32 v[8:9], v[12:13]
.LBB8_4059:                             ;   in Loop: Header=BB8_4057 Depth=4
	s_or_b32 exec_lo, exec_lo, s41
	v_dual_sub_nc_u32 v5, v5, v123 :: v_dual_mov_b32 v15, 0
	v_add_nc_u64_e32 v[10:11], v[10:11], v[46:47]
	v_mov_b64_e32 v[12:13], 0
	s_delay_alu instid0(VALU_DEP_3)
	v_cmp_lt_i32_e64 s40, 1, v5
	s_and_saveexec_b32 s41, s40
	s_cbranch_execz .LBB8_4056
; %bb.4060:                             ;   in Loop: Header=BB8_4057 Depth=4
	flat_load_u16 v4, v[10:11] th:TH_LOAD_NT
	s_wait_xcnt 0x0
	v_add_nc_u64_e32 v[10:11], 64, v[10:11]
	v_mov_b64_e32 v[12:13], v[118:119]
	v_mov_b32_e32 v15, v123
	s_branch .LBB8_4056
.LBB8_4061:                             ;   in Loop: Header=BB8_3866 Depth=3
	s_or_b32 exec_lo, exec_lo, s14
	s_delay_alu instid0(SALU_CYCLE_1)
	s_and_b32 exec_lo, exec_lo, s15
	s_cbranch_execz .LBB8_4063
; %bb.4062:                             ;   in Loop: Header=BB8_3866 Depth=3
	flat_store_b16 v[8:9], v4 th:TH_STORE_NT
.LBB8_4063:                             ;   in Loop: Header=BB8_3866 Depth=3
	s_wait_xcnt 0x0
	s_or_b32 exec_lo, exec_lo, s13
	v_cmp_lt_i32_e64 s13, 0, v2
	s_and_saveexec_b32 s14, s2
	s_cbranch_execz .LBB8_3949
.LBB8_4064:                             ;   in Loop: Header=BB8_3866 Depth=3
	s_and_saveexec_b32 s15, s3
	s_delay_alu instid0(SALU_CYCLE_1)
	s_xor_b32 s15, exec_lo, s15
	s_cbranch_execz .LBB8_4079
; %bb.4065:                             ;   in Loop: Header=BB8_3866 Depth=3
	s_and_saveexec_b32 s40, s6
	s_cbranch_execz .LBB8_4078
; %bb.4066:                             ;   in Loop: Header=BB8_3866 Depth=3
	s_mov_b32 s77, exec_lo
	s_mov_b32 s41, exec_lo
	v_mbcnt_lo_u32_b32 v2, s77, 0
	global_wb scope:SCOPE_DEV
	s_wait_storecnt 0x0
	s_wait_loadcnt_dscnt 0x0
	global_inv scope:SCOPE_DEV
	v_cmpx_eq_u32_e32 0, v2
	s_cbranch_execz .LBB8_4068
; %bb.4067:                             ;   in Loop: Header=BB8_3866 Depth=3
	s_bcnt1_i32_b32 s77, s77
	s_delay_alu instid0(SALU_CYCLE_1)
	v_mov_b32_e32 v2, s77
	s_wait_loadcnt 0x0
	ds_add_u64 v0, v[2:3]
	s_trap 2
.LBB8_4068:                             ;   in Loop: Header=BB8_3866 Depth=3
	s_or_b32 exec_lo, exec_lo, s41
	s_trap 2
	ds_load_b64 v[4:5], v0
	s_wait_dscnt 0x0
	v_add_nc_u64_e32 v[80:81], v[80:81], v[84:85]
	s_mov_b32 s41, exec_lo
	s_delay_alu instid0(VALU_DEP_1)
	v_cmpx_lt_u64_e64 v[4:5], v[80:81]
	s_cbranch_execz .LBB8_4077
; %bb.4069:                             ;   in Loop: Header=BB8_3866 Depth=3
	s_mov_b32 s77, 0
	s_mov_b32 s88, 0
                                        ; implicit-def: $sgpr78
                                        ; implicit-def: $sgpr79
	s_branch .LBB8_4071
.LBB8_4070:                             ;   in Loop: Header=BB8_4071 Depth=4
	s_or_b32 exec_lo, exec_lo, s90
	s_delay_alu instid0(SALU_CYCLE_1) | instskip(NEXT) | instid1(SALU_CYCLE_1)
	s_and_b32 s89, exec_lo, s91
	s_or_b32 s77, s89, s77
	s_and_not1_b32 s78, s78, exec_lo
	s_and_b32 s89, s79, exec_lo
	s_delay_alu instid0(SALU_CYCLE_1)
	s_or_b32 s78, s78, s89
	s_and_not1_b32 exec_lo, exec_lo, s77
	s_cbranch_execz .LBB8_4075
.LBB8_4071:                             ;   Parent Loop BB8_47 Depth=1
                                        ;     Parent Loop BB8_3863 Depth=2
                                        ;       Parent Loop BB8_3866 Depth=3
                                        ; =>      This Inner Loop Header: Depth=4
	s_add_co_i32 s88, s88, 1
	s_delay_alu instid0(SALU_CYCLE_1) | instskip(SKIP_1) | instid1(SALU_CYCLE_1)
	s_cmp_lg_u32 s88, 0x2710
	s_cselect_b32 s89, -1, 0
	s_and_b32 vcc_lo, exec_lo, s89
	s_cbranch_vccz .LBB8_4073
; %bb.4072:                             ;   in Loop: Header=BB8_4071 Depth=4
	s_mov_b32 s91, -1
	s_or_b32 s79, s79, exec_lo
	s_and_saveexec_b32 s90, s89
	s_cbranch_execz .LBB8_4070
	s_branch .LBB8_4074
.LBB8_4073:                             ;   in Loop: Header=BB8_4071 Depth=4
	s_trap 2
	ds_load_b64 v[4:5], v0
	s_and_not1_b32 s89, s89, exec_lo
	s_mov_b32 s88, 0
	s_wait_loadcnt_dscnt 0x0
	flat_load_b32 v2, v[4:5] scope:SCOPE_SYS
	s_wait_loadcnt_dscnt 0x0
	global_inv scope:SCOPE_SYS
	v_cmp_eq_u32_e32 vcc_lo, 0, v2
	s_and_b32 s90, vcc_lo, exec_lo
	s_delay_alu instid0(SALU_CYCLE_1)
	s_or_b32 s89, s89, s90
	s_mov_b32 s91, -1
	s_or_b32 s79, s79, exec_lo
	s_and_saveexec_b32 s90, s89
	s_cbranch_execz .LBB8_4070
.LBB8_4074:                             ;   in Loop: Header=BB8_4071 Depth=4
	s_sleep 1
	s_trap 2
	ds_load_b64 v[4:5], v0
	s_wait_dscnt 0x0
	s_and_not1_b32 s79, s79, exec_lo
	v_cmp_ge_u64_e32 vcc_lo, v[4:5], v[80:81]
	s_or_not1_b32 s91, vcc_lo, exec_lo
	s_branch .LBB8_4070
.LBB8_4075:                             ;   in Loop: Header=BB8_3866 Depth=3
	s_or_b32 exec_lo, exec_lo, s77
	s_and_saveexec_b32 s77, s78
	s_delay_alu instid0(SALU_CYCLE_1)
	s_xor_b32 s77, exec_lo, s77
	s_cbranch_execz .LBB8_4077
; %bb.4076:                             ;   in Loop: Header=BB8_3866 Depth=3
	ds_store_b32 v0, v111
	s_trap 2
.LBB8_4077:                             ;   in Loop: Header=BB8_3866 Depth=3
	s_or_b32 exec_lo, exec_lo, s41
	;;#ASMSTART
	s_wakeup
	;;#ASMEND
.LBB8_4078:                             ;   in Loop: Header=BB8_3866 Depth=3
	s_or_b32 exec_lo, exec_lo, s40
.LBB8_4079:                             ;   in Loop: Header=BB8_3866 Depth=3
	s_and_not1_saveexec_b32 s15, s15
	s_cbranch_execz .LBB8_4081
; %bb.4080:                             ;   in Loop: Header=BB8_3866 Depth=3
	global_wb scope:SCOPE_DEV
	s_wait_storecnt 0x0
	s_wait_loadcnt_dscnt 0x0
	global_inv scope:SCOPE_DEV
	s_barrier_signal -1
	s_barrier_wait -1
.LBB8_4081:                             ;   in Loop: Header=BB8_3866 Depth=3
	s_or_b32 exec_lo, exec_lo, s15
	s_delay_alu instid0(SALU_CYCLE_1) | instskip(SKIP_1) | instid1(SALU_CYCLE_1)
	s_or_b32 exec_lo, exec_lo, s14
                                        ; implicit-def: $vgpr2
	s_and_saveexec_b32 s14, s12
	s_xor_b32 s14, exec_lo, s14
	s_cbranch_execnz .LBB8_3950
.LBB8_4082:                             ;   in Loop: Header=BB8_3866 Depth=3
	s_and_not1_saveexec_b32 s13, s14
	s_cbranch_execz .LBB8_4101
.LBB8_4083:                             ;   in Loop: Header=BB8_3866 Depth=3
	s_and_saveexec_b32 s14, s3
	s_delay_alu instid0(SALU_CYCLE_1)
	s_xor_b32 s14, exec_lo, s14
	s_cbranch_execz .LBB8_4098
; %bb.4084:                             ;   in Loop: Header=BB8_3866 Depth=3
	s_and_saveexec_b32 s15, s6
	s_cbranch_execz .LBB8_4097
; %bb.4085:                             ;   in Loop: Header=BB8_3866 Depth=3
	s_mov_b32 s41, exec_lo
	s_mov_b32 s40, exec_lo
	v_mbcnt_lo_u32_b32 v2, s41, 0
	;;#ASMSTART
	s_waitcnt lgkmcnt(0) vmcnt(0)
	;;#ASMEND
	s_delay_alu instid0(VALU_DEP_1)
	v_cmpx_eq_u32_e32 0, v2
	s_cbranch_execz .LBB8_4087
; %bb.4086:                             ;   in Loop: Header=BB8_3866 Depth=3
	s_bcnt1_i32_b32 s41, s41
	s_delay_alu instid0(SALU_CYCLE_1)
	v_mov_b32_e32 v2, s41
	s_wait_storecnt 0x0
	s_wait_loadcnt_dscnt 0x0
	ds_add_u64 v0, v[2:3]
	s_trap 2
.LBB8_4087:                             ;   in Loop: Header=BB8_3866 Depth=3
	s_or_b32 exec_lo, exec_lo, s40
	s_trap 2
	ds_load_b64 v[4:5], v0
	s_wait_dscnt 0x0
	v_add_nc_u64_e32 v[80:81], v[80:81], v[84:85]
	s_mov_b32 s40, exec_lo
	s_delay_alu instid0(VALU_DEP_1)
	v_cmpx_lt_u64_e64 v[4:5], v[80:81]
	s_cbranch_execz .LBB8_4096
; %bb.4088:                             ;   in Loop: Header=BB8_3866 Depth=3
	s_mov_b32 s41, 0
	s_mov_b32 s79, 0
                                        ; implicit-def: $sgpr77
                                        ; implicit-def: $sgpr78
	s_branch .LBB8_4090
.LBB8_4089:                             ;   in Loop: Header=BB8_4090 Depth=4
	s_or_b32 exec_lo, exec_lo, s89
	s_delay_alu instid0(SALU_CYCLE_1) | instskip(NEXT) | instid1(SALU_CYCLE_1)
	s_and_b32 s88, exec_lo, s90
	s_or_b32 s41, s88, s41
	s_and_not1_b32 s77, s77, exec_lo
	s_and_b32 s88, s78, exec_lo
	s_delay_alu instid0(SALU_CYCLE_1)
	s_or_b32 s77, s77, s88
	s_and_not1_b32 exec_lo, exec_lo, s41
	s_cbranch_execz .LBB8_4094
.LBB8_4090:                             ;   Parent Loop BB8_47 Depth=1
                                        ;     Parent Loop BB8_3863 Depth=2
                                        ;       Parent Loop BB8_3866 Depth=3
                                        ; =>      This Inner Loop Header: Depth=4
	s_add_co_i32 s79, s79, 1
	s_delay_alu instid0(SALU_CYCLE_1) | instskip(SKIP_1) | instid1(SALU_CYCLE_1)
	s_cmp_lg_u32 s79, 0x2710
	s_cselect_b32 s88, -1, 0
	s_and_b32 vcc_lo, exec_lo, s88
	s_cbranch_vccz .LBB8_4092
; %bb.4091:                             ;   in Loop: Header=BB8_4090 Depth=4
	s_mov_b32 s90, -1
	s_or_b32 s78, s78, exec_lo
	s_and_saveexec_b32 s89, s88
	s_cbranch_execz .LBB8_4089
	s_branch .LBB8_4093
.LBB8_4092:                             ;   in Loop: Header=BB8_4090 Depth=4
	s_trap 2
	ds_load_b64 v[4:5], v0
	s_and_not1_b32 s88, s88, exec_lo
	s_mov_b32 s79, 0
	s_wait_storecnt 0x0
	s_wait_loadcnt_dscnt 0x0
	flat_load_b32 v2, v[4:5] scope:SCOPE_SYS
	s_wait_loadcnt_dscnt 0x0
	global_inv scope:SCOPE_SYS
	v_cmp_eq_u32_e32 vcc_lo, 0, v2
	s_and_b32 s89, vcc_lo, exec_lo
	s_delay_alu instid0(SALU_CYCLE_1)
	s_or_b32 s88, s88, s89
	s_mov_b32 s90, -1
	s_or_b32 s78, s78, exec_lo
	s_and_saveexec_b32 s89, s88
	s_cbranch_execz .LBB8_4089
.LBB8_4093:                             ;   in Loop: Header=BB8_4090 Depth=4
	s_sleep 1
	s_trap 2
	ds_load_b64 v[4:5], v0
	s_wait_dscnt 0x0
	s_and_not1_b32 s78, s78, exec_lo
	v_cmp_ge_u64_e32 vcc_lo, v[4:5], v[80:81]
	s_or_not1_b32 s90, vcc_lo, exec_lo
	s_branch .LBB8_4089
.LBB8_4094:                             ;   in Loop: Header=BB8_3866 Depth=3
	s_or_b32 exec_lo, exec_lo, s41
	s_and_saveexec_b32 s41, s77
	s_delay_alu instid0(SALU_CYCLE_1)
	s_xor_b32 s41, exec_lo, s41
	s_cbranch_execz .LBB8_4096
; %bb.4095:                             ;   in Loop: Header=BB8_3866 Depth=3
	ds_store_b32 v0, v111
	s_trap 2
.LBB8_4096:                             ;   in Loop: Header=BB8_3866 Depth=3
	s_or_b32 exec_lo, exec_lo, s40
	;;#ASMSTART
	s_wakeup
	;;#ASMEND
.LBB8_4097:                             ;   in Loop: Header=BB8_3866 Depth=3
	s_or_b32 exec_lo, exec_lo, s15
.LBB8_4098:                             ;   in Loop: Header=BB8_3866 Depth=3
	s_and_not1_saveexec_b32 s14, s14
	s_cbranch_execz .LBB8_4100
; %bb.4099:                             ;   in Loop: Header=BB8_3866 Depth=3
	;;#ASMSTART
	s_waitcnt lgkmcnt(0) vmcnt(0)
	;;#ASMEND
	s_barrier_signal -1
	s_barrier_wait -1
.LBB8_4100:                             ;   in Loop: Header=BB8_3866 Depth=3
	s_or_b32 exec_lo, exec_lo, s14
	v_and_b32_e32 v2, 16, v30
.LBB8_4101:                             ;   in Loop: Header=BB8_3866 Depth=3
	s_or_b32 exec_lo, exec_lo, s13
	s_delay_alu instid0(VALU_DEP_1) | instskip(SKIP_1) | instid1(SALU_CYCLE_1)
	v_cmp_ne_u32_e32 vcc_lo, 0, v2
	s_xor_b32 s13, s4, -1
	s_and_b32 s14, vcc_lo, s13
	s_delay_alu instid0(SALU_CYCLE_1)
	s_and_saveexec_b32 s13, s14
	s_cbranch_execz .LBB8_4103
; %bb.4102:                             ;   in Loop: Header=BB8_3866 Depth=3
	global_wb scope:SCOPE_SYS
	s_wait_storecnt 0x0
	s_wait_loadcnt_dscnt 0x0
	flat_store_b32 v[70:71], v111 scope:SCOPE_SYS
.LBB8_4103:                             ;   in Loop: Header=BB8_3866 Depth=3
	s_wait_xcnt 0x0
	s_or_b32 exec_lo, exec_lo, s13
	v_and_b32_e32 v2, 48, v30
	s_mov_b32 s13, exec_lo
	s_delay_alu instid0(VALU_DEP_1)
	v_cmpx_ne_u32_e32 0, v2
	s_cbranch_execz .LBB8_3865
; %bb.4104:                             ;   in Loop: Header=BB8_3866 Depth=3
	v_add_nc_u64_e32 v[58:59], 2, v[58:59]
	global_wb scope:SCOPE_SYS
	s_wait_storecnt 0x0
	s_wait_loadcnt_dscnt 0x0
	flat_store_b64 v[64:65], v[58:59] scope:SCOPE_SYS
	s_branch .LBB8_3865
.LBB8_4105:                             ;   in Loop: Header=BB8_3863 Depth=2
	s_or_b32 exec_lo, exec_lo, s74
.LBB8_4106:                             ;   in Loop: Header=BB8_3863 Depth=2
	s_delay_alu instid0(SALU_CYCLE_1) | instskip(NEXT) | instid1(SALU_CYCLE_1)
	s_or_b32 exec_lo, exec_lo, s27
	s_mov_b32 s14, exec_lo
	v_cmpx_gt_i32_e32 2, v2
	s_cbranch_execz .LBB8_4182
; %bb.4107:                             ;   in Loop: Header=BB8_3863 Depth=2
	v_cmp_eq_u32_e64 s27, 0, v2
	s_mov_b32 s15, 0
	s_branch .LBB8_4109
.LBB8_4108:                             ;   in Loop: Header=BB8_4109 Depth=3
	s_wait_xcnt 0x0
	s_or_b32 exec_lo, exec_lo, s13
	v_add_nc_u32_e32 v74, v72, v74
	s_mov_b32 s27, 0
	s_and_not1_b32 exec_lo, exec_lo, s15
	s_cbranch_execz .LBB8_4181
.LBB8_4109:                             ;   Parent Loop BB8_47 Depth=1
                                        ;     Parent Loop BB8_3863 Depth=2
                                        ; =>    This Loop Header: Depth=3
                                        ;         Child Loop BB8_4115 Depth 4
                                        ;         Child Loop BB8_4143 Depth 4
	;; [unrolled: 1-line block ×3, first 2 shown]
	s_delay_alu instid0(VALU_DEP_1) | instskip(SKIP_2) | instid1(VALU_DEP_2)
	v_sub_nc_u32_e32 v2, v104, v74
	v_and_b32_e32 v4, 12, v30
	s_mov_b32 s40, exec_lo
	v_min_i32_e32 v72, v72, v2
	s_delay_alu instid0(VALU_DEP_2)
	v_cmpx_ne_u32_e32 0, v4
	s_cbranch_execz .LBB8_4135
; %bb.4110:                             ;   in Loop: Header=BB8_4109 Depth=3
	v_and_b32_e32 v2, 8, v30
	v_add_nc_u64_e32 v[8:9], 2, v[58:59]
	s_mov_b32 s41, exec_lo
	s_wait_loadcnt_dscnt 0x1
	s_delay_alu instid0(VALU_DEP_2) | instskip(NEXT) | instid1(VALU_DEP_1)
	v_add_nc_u64_e32 v[4:5], v[82:83], v[2:3]
	v_cmpx_lt_u64_e64 v[4:5], v[8:9]
	s_cbranch_execz .LBB8_4122
; %bb.4111:                             ;   in Loop: Header=BB8_4109 Depth=3
	v_and_b32_e32 v4, 64, v30
	s_mov_b32 s74, 0
	s_mov_b32 s78, 0
                                        ; implicit-def: $sgpr75
                                        ; implicit-def: $sgpr76
                                        ; implicit-def: $sgpr77
	s_delay_alu instid0(VALU_DEP_1)
	v_cmp_eq_u32_e32 vcc_lo, 0, v4
	s_branch .LBB8_4115
.LBB8_4112:                             ;   in Loop: Header=BB8_4115 Depth=4
	s_wait_loadcnt_dscnt 0x0
	v_add_nc_u64_e32 v[10:11], v[82:83], v[2:3]
	s_or_b32 s89, s89, exec_lo
	s_delay_alu instid0(VALU_DEP_1)
	v_cmp_ge_u64_e64 s13, v[10:11], v[8:9]
	s_or_not1_b32 s88, s13, exec_lo
.LBB8_4113:                             ;   in Loop: Header=BB8_4115 Depth=4
	s_or_b32 exec_lo, exec_lo, s91
	s_delay_alu instid0(SALU_CYCLE_1)
	s_and_not1_b32 s13, s77, exec_lo
	s_and_b32 s77, s89, exec_lo
	s_and_not1_b32 s76, s76, exec_lo
	s_and_b32 s88, s88, exec_lo
	s_or_b32 s77, s13, s77
	s_or_b32 s76, s76, s88
.LBB8_4114:                             ;   in Loop: Header=BB8_4115 Depth=4
	s_or_b32 exec_lo, exec_lo, s79
	s_delay_alu instid0(SALU_CYCLE_1) | instskip(NEXT) | instid1(SALU_CYCLE_1)
	s_and_b32 s13, exec_lo, s76
	s_or_b32 s74, s13, s74
	s_and_not1_b32 s13, s75, exec_lo
	s_and_b32 s75, s77, exec_lo
	s_delay_alu instid0(SALU_CYCLE_1)
	s_or_b32 s75, s13, s75
	s_and_not1_b32 exec_lo, exec_lo, s74
	s_cbranch_execz .LBB8_4119
.LBB8_4115:                             ;   Parent Loop BB8_47 Depth=1
                                        ;     Parent Loop BB8_3863 Depth=2
                                        ;       Parent Loop BB8_4109 Depth=3
                                        ; =>      This Inner Loop Header: Depth=4
	s_sleep 1
	s_wait_loadcnt_dscnt 0x0
	flat_load_b64 v[82:83], v[64:65] scope:SCOPE_SYS
	s_or_b32 s77, s77, exec_lo
	s_or_b32 s76, s76, exec_lo
                                        ; implicit-def: $vgpr4
	s_wait_xcnt 0x0
	s_and_saveexec_b32 s79, vcc_lo
	s_cbranch_execz .LBB8_4114
; %bb.4116:                             ;   in Loop: Header=BB8_4115 Depth=4
	s_cmp_lt_i32 s78, 0x270f
	s_mov_b32 s88, -1
	s_cselect_b32 s90, -1, 0
	s_cmp_gt_i32 s78, 0x270e
	s_cbranch_scc0 .LBB8_4118
; %bb.4117:                             ;   in Loop: Header=BB8_4115 Depth=4
	s_trap 2
	ds_load_b64 v[4:5], v0
	s_and_not1_b32 s78, s90, exec_lo
	s_mov_b32 s89, 0
	s_wait_storecnt 0x0
	s_wait_loadcnt_dscnt 0x0
	flat_load_b32 v4, v[4:5] scope:SCOPE_SYS
	s_wait_loadcnt_dscnt 0x0
	global_inv scope:SCOPE_SYS
	v_cmp_eq_u32_e64 s13, 0, v4
	s_and_b32 s13, s13, exec_lo
	s_delay_alu instid0(SALU_CYCLE_1)
	s_or_b32 s90, s78, s13
	s_mov_b32 s78, 0
	s_and_saveexec_b32 s91, s90
	s_cbranch_execz .LBB8_4113
	s_branch .LBB8_4112
.LBB8_4118:                             ;   in Loop: Header=BB8_4115 Depth=4
	s_add_co_i32 s78, s78, 1
	s_mov_b32 s89, -1
                                        ; implicit-def: $vgpr4
	s_and_saveexec_b32 s91, s90
	s_cbranch_execz .LBB8_4113
	s_branch .LBB8_4112
.LBB8_4119:                             ;   in Loop: Header=BB8_4109 Depth=3
	s_or_b32 exec_lo, exec_lo, s74
	s_xor_b32 s13, s75, -1
	s_delay_alu instid0(SALU_CYCLE_1) | instskip(NEXT) | instid1(SALU_CYCLE_1)
	s_and_saveexec_b32 s74, s13
	s_xor_b32 s13, exec_lo, s74
	s_cbranch_execz .LBB8_4121
; %bb.4120:                             ;   in Loop: Header=BB8_4109 Depth=3
	v_or_b32_e32 v30, 64, v30
	s_wait_storecnt 0x0
	s_wait_loadcnt_dscnt 0x0
	ds_store_b32 v0, v4
	s_trap 2
.LBB8_4121:                             ;   in Loop: Header=BB8_4109 Depth=3
	s_or_b32 exec_lo, exec_lo, s13
.LBB8_4122:                             ;   in Loop: Header=BB8_4109 Depth=3
	s_delay_alu instid0(SALU_CYCLE_1) | instskip(SKIP_3) | instid1(VALU_DEP_1)
	s_or_b32 exec_lo, exec_lo, s41
	v_and_b32_e32 v4, 0x108, v30
	s_mov_b32 s13, exec_lo
	;;#ASMSTART
	s_wakeup
	;;#ASMEND
                                        ; implicit-def: $vgpr10_vgpr11
	v_cmpx_ne_u32_e32 0x108, v4
	s_xor_b32 s13, exec_lo, s13
; %bb.4123:                             ;   in Loop: Header=BB8_4109 Depth=3
	v_dual_mov_b32 v11, v3 :: v_dual_bitop2_b32 v10, 7, v58 bitop3:0x40
                                        ; implicit-def: $vgpr58_vgpr59
; %bb.4124:                             ;   in Loop: Header=BB8_4109 Depth=3
	s_and_not1_saveexec_b32 s13, s13
	s_cbranch_execz .LBB8_4126
; %bb.4125:                             ;   in Loop: Header=BB8_4109 Depth=3
	v_dual_ashrrev_i32 v73, 31, v72 :: v_dual_bitop2_b32 v10, 7, v58 bitop3:0x40
	v_mov_b32_e32 v11, v3
	s_delay_alu instid0(VALU_DEP_2) | instskip(NEXT) | instid1(VALU_DEP_3)
	v_mad_nc_u64_u32 v[4:5], v10, 24, v[6:7]
	v_lshlrev_b64_e32 v[12:13], 1, v[72:73]
	flat_store_b64 v[4:5], v[12:13] offset:8
.LBB8_4126:                             ;   in Loop: Header=BB8_4109 Depth=3
	s_wait_xcnt 0x0
	s_or_b32 exec_lo, exec_lo, s13
	v_and_b32_e32 v4, 0x100, v30
	s_mov_b32 s13, -1
	s_mov_b32 s41, exec_lo
                                        ; implicit-def: $vgpr12_vgpr13
	s_delay_alu instid0(VALU_DEP_1)
	v_cmpx_ne_u32_e32 0, v4
	s_cbranch_execz .LBB8_4130
; %bb.4127:                             ;   in Loop: Header=BB8_4109 Depth=3
	v_mad_nc_u64_u32 v[14:15], v10, 24, v[6:7]
	s_mov_b32 s74, exec_lo
                                        ; implicit-def: $vgpr12_vgpr13
	s_delay_alu instid0(VALU_DEP_1)
	v_mad_u32 v15, v11, 24, v15
	flat_load_b32 v4, v[14:15]
	s_wait_loadcnt_dscnt 0x0
	v_cmp_ne_u32_e32 vcc_lo, 1, v4
	s_wait_xcnt 0x0
	v_cmpx_eq_u32_e32 1, v4
	s_cbranch_execz .LBB8_4129
; %bb.4128:                             ;   in Loop: Header=BB8_4109 Depth=3
	flat_load_b32 v4, v[14:15] offset:4 scope:SCOPE_SYS
	s_wait_loadcnt_dscnt 0x0
	v_ashrrev_i32_e32 v5, 31, v4
	s_delay_alu instid0(VALU_DEP_1)
	v_lshrrev_b64 v[12:13], 1, v[4:5]
.LBB8_4129:                             ;   in Loop: Header=BB8_4109 Depth=3
	s_wait_xcnt 0x0
	s_or_b32 exec_lo, exec_lo, s74
	s_delay_alu instid0(SALU_CYCLE_1)
	s_or_not1_b32 s13, vcc_lo, exec_lo
.LBB8_4130:                             ;   in Loop: Header=BB8_4109 Depth=3
	s_or_b32 exec_lo, exec_lo, s41
	s_and_saveexec_b32 s41, s13
; %bb.4131:                             ;   in Loop: Header=BB8_4109 Depth=3
	v_mul_u64_e32 v[12:13], v[10:11], v[66:67]
; %bb.4132:                             ;   in Loop: Header=BB8_4109 Depth=3
	s_or_b32 exec_lo, exec_lo, s41
	v_cmp_eq_u32_e32 vcc_lo, 0, v2
	v_and_b32_e32 v10, 0x2000, v30
	s_delay_alu instid0(VALU_DEP_3) | instskip(SKIP_2) | instid1(VALU_DEP_1)
	v_lshl_add_u64 v[4:5], v[12:13], 1, v[68:69]
	s_mov_b32 s13, exec_lo
	v_cndmask_b32_e32 v2, 0xd0, v121, vcc_lo
	v_add_nc_u32_e32 v2, v0, v2
	ds_store_b64 v2, v[4:5] offset:584
	v_cmpx_ne_u32_e32 0, v10
	s_cbranch_execz .LBB8_4134
; %bb.4133:                             ;   in Loop: Header=BB8_4109 Depth=3
	ds_load_b64 v[4:5], v0 offset:872
	s_wait_dscnt 0x0
	v_add_nc_u64_e32 v[4:5], 1, v[4:5]
	ds_store_b64 v0, v[4:5] offset:872
.LBB8_4134:                             ;   in Loop: Header=BB8_4109 Depth=3
	s_or_b32 exec_lo, exec_lo, s13
	v_mov_b64_e32 v[58:59], v[8:9]
.LBB8_4135:                             ;   in Loop: Header=BB8_4109 Depth=3
	s_or_b32 exec_lo, exec_lo, s40
	s_xor_b32 s13, s27, -1
	s_delay_alu instid0(SALU_CYCLE_1) | instskip(NEXT) | instid1(SALU_CYCLE_1)
	s_and_b32 s13, exec_lo, s13
	s_or_b32 s15, s13, s15
	s_and_saveexec_b32 s13, s2
	s_cbranch_execz .LBB8_4154
; %bb.4136:                             ;   in Loop: Header=BB8_4109 Depth=3
	s_and_saveexec_b32 s27, s3
	s_delay_alu instid0(SALU_CYCLE_1)
	s_xor_b32 s27, exec_lo, s27
	s_cbranch_execz .LBB8_4151
; %bb.4137:                             ;   in Loop: Header=BB8_4109 Depth=3
	s_and_saveexec_b32 s40, s6
	s_cbranch_execz .LBB8_4150
; %bb.4138:                             ;   in Loop: Header=BB8_4109 Depth=3
	s_mov_b32 s74, exec_lo
	s_mov_b32 s41, exec_lo
	v_mbcnt_lo_u32_b32 v2, s74, 0
	global_wb scope:SCOPE_DEV
	s_wait_storecnt 0x0
	s_wait_loadcnt_dscnt 0x0
	global_inv scope:SCOPE_DEV
	v_cmpx_eq_u32_e32 0, v2
	s_cbranch_execz .LBB8_4140
; %bb.4139:                             ;   in Loop: Header=BB8_4109 Depth=3
	s_bcnt1_i32_b32 s74, s74
	s_delay_alu instid0(SALU_CYCLE_1)
	v_mov_b32_e32 v2, s74
	s_wait_loadcnt 0x0
	ds_add_u64 v0, v[2:3]
	s_trap 2
.LBB8_4140:                             ;   in Loop: Header=BB8_4109 Depth=3
	s_or_b32 exec_lo, exec_lo, s41
	s_trap 2
	ds_load_b64 v[4:5], v0
	s_wait_dscnt 0x0
	v_add_nc_u64_e32 v[80:81], v[80:81], v[84:85]
	s_mov_b32 s41, exec_lo
	s_delay_alu instid0(VALU_DEP_1)
	v_cmpx_lt_u64_e64 v[4:5], v[80:81]
	s_cbranch_execz .LBB8_4149
; %bb.4141:                             ;   in Loop: Header=BB8_4109 Depth=3
	s_mov_b32 s74, 0
	s_mov_b32 s77, 0
                                        ; implicit-def: $sgpr75
                                        ; implicit-def: $sgpr76
	s_branch .LBB8_4143
.LBB8_4142:                             ;   in Loop: Header=BB8_4143 Depth=4
	s_or_b32 exec_lo, exec_lo, s79
	s_delay_alu instid0(SALU_CYCLE_1) | instskip(NEXT) | instid1(SALU_CYCLE_1)
	s_and_b32 s78, exec_lo, s88
	s_or_b32 s74, s78, s74
	s_and_not1_b32 s75, s75, exec_lo
	s_and_b32 s78, s76, exec_lo
	s_delay_alu instid0(SALU_CYCLE_1)
	s_or_b32 s75, s75, s78
	s_and_not1_b32 exec_lo, exec_lo, s74
	s_cbranch_execz .LBB8_4147
.LBB8_4143:                             ;   Parent Loop BB8_47 Depth=1
                                        ;     Parent Loop BB8_3863 Depth=2
                                        ;       Parent Loop BB8_4109 Depth=3
                                        ; =>      This Inner Loop Header: Depth=4
	s_add_co_i32 s77, s77, 1
	s_delay_alu instid0(SALU_CYCLE_1) | instskip(SKIP_1) | instid1(SALU_CYCLE_1)
	s_cmp_lg_u32 s77, 0x2710
	s_cselect_b32 s78, -1, 0
	s_and_b32 vcc_lo, exec_lo, s78
	s_cbranch_vccz .LBB8_4145
; %bb.4144:                             ;   in Loop: Header=BB8_4143 Depth=4
	s_mov_b32 s88, -1
	s_or_b32 s76, s76, exec_lo
	s_and_saveexec_b32 s79, s78
	s_cbranch_execz .LBB8_4142
	s_branch .LBB8_4146
.LBB8_4145:                             ;   in Loop: Header=BB8_4143 Depth=4
	s_trap 2
	ds_load_b64 v[4:5], v0
	s_and_not1_b32 s78, s78, exec_lo
	s_mov_b32 s77, 0
	s_wait_loadcnt_dscnt 0x0
	flat_load_b32 v2, v[4:5] scope:SCOPE_SYS
	s_wait_loadcnt_dscnt 0x0
	global_inv scope:SCOPE_SYS
	v_cmp_eq_u32_e32 vcc_lo, 0, v2
	s_and_b32 s79, vcc_lo, exec_lo
	s_delay_alu instid0(SALU_CYCLE_1)
	s_or_b32 s78, s78, s79
	s_mov_b32 s88, -1
	s_or_b32 s76, s76, exec_lo
	s_and_saveexec_b32 s79, s78
	s_cbranch_execz .LBB8_4142
.LBB8_4146:                             ;   in Loop: Header=BB8_4143 Depth=4
	s_sleep 1
	s_trap 2
	ds_load_b64 v[4:5], v0
	s_wait_dscnt 0x0
	s_and_not1_b32 s76, s76, exec_lo
	v_cmp_ge_u64_e32 vcc_lo, v[4:5], v[80:81]
	s_or_not1_b32 s88, vcc_lo, exec_lo
	s_branch .LBB8_4142
.LBB8_4147:                             ;   in Loop: Header=BB8_4109 Depth=3
	s_or_b32 exec_lo, exec_lo, s74
	s_and_saveexec_b32 s74, s75
	s_delay_alu instid0(SALU_CYCLE_1)
	s_xor_b32 s74, exec_lo, s74
	s_cbranch_execz .LBB8_4149
; %bb.4148:                             ;   in Loop: Header=BB8_4109 Depth=3
	ds_store_b32 v0, v111
	s_trap 2
.LBB8_4149:                             ;   in Loop: Header=BB8_4109 Depth=3
	s_or_b32 exec_lo, exec_lo, s41
	;;#ASMSTART
	s_wakeup
	;;#ASMEND
.LBB8_4150:                             ;   in Loop: Header=BB8_4109 Depth=3
	s_or_b32 exec_lo, exec_lo, s40
.LBB8_4151:                             ;   in Loop: Header=BB8_4109 Depth=3
	s_and_not1_saveexec_b32 s27, s27
	s_cbranch_execz .LBB8_4153
; %bb.4152:                             ;   in Loop: Header=BB8_4109 Depth=3
	global_wb scope:SCOPE_DEV
	s_wait_storecnt 0x0
	s_wait_loadcnt_dscnt 0x0
	global_inv scope:SCOPE_DEV
	s_barrier_signal -1
	s_barrier_wait -1
.LBB8_4153:                             ;   in Loop: Header=BB8_4109 Depth=3
	s_or_b32 exec_lo, exec_lo, s27
.LBB8_4154:                             ;   in Loop: Header=BB8_4109 Depth=3
	s_delay_alu instid0(SALU_CYCLE_1) | instskip(SKIP_1) | instid1(SALU_CYCLE_1)
	s_or_b32 exec_lo, exec_lo, s13
                                        ; implicit-def: $vgpr2
	s_and_saveexec_b32 s13, s12
	s_xor_b32 s27, exec_lo, s13
	s_cbranch_execz .LBB8_4158
; %bb.4155:                             ;   in Loop: Header=BB8_4109 Depth=3
	s_trap 2
	ds_load_b32 v2, v0
	v_cmp_lt_i32_e32 vcc_lo, 0, v72
	s_wait_dscnt 0x0
	v_readfirstlane_b32 s13, v2
	v_and_b32_e32 v2, 16, v30
	s_cmp_eq_u32 s13, 0
	s_delay_alu instid0(VALU_DEP_1) | instskip(SKIP_3) | instid1(SALU_CYCLE_1)
	v_cmp_ne_u32_e64 s13, 0, v2
	s_cselect_b32 s40, -1, 0
	v_and_b32_e32 v2, 16, v30
	s_and_b32 s40, vcc_lo, s40
	s_and_b32 s40, s13, s40
	s_delay_alu instid0(SALU_CYCLE_1)
	s_and_saveexec_b32 s13, s40
	s_cbranch_execz .LBB8_4157
; %bb.4156:                             ;   in Loop: Header=BB8_4109 Depth=3
	v_mov_b32_e32 v2, 1
	global_wb scope:SCOPE_SYS
	s_wait_loadcnt 0x0
	s_wait_storecnt 0x0
	global_inv scope:SCOPE_SYS
.LBB8_4157:                             ;   in Loop: Header=BB8_4109 Depth=3
	s_or_b32 exec_lo, exec_lo, s13
	s_and_not1_saveexec_b32 s13, s27
	s_cbranch_execz .LBB8_4177
	s_branch .LBB8_4159
.LBB8_4158:                             ;   in Loop: Header=BB8_4109 Depth=3
	s_and_not1_saveexec_b32 s13, s27
	s_cbranch_execz .LBB8_4177
.LBB8_4159:                             ;   in Loop: Header=BB8_4109 Depth=3
	s_and_saveexec_b32 s27, s3
	s_delay_alu instid0(SALU_CYCLE_1)
	s_xor_b32 s27, exec_lo, s27
	s_cbranch_execz .LBB8_4174
; %bb.4160:                             ;   in Loop: Header=BB8_4109 Depth=3
	s_and_saveexec_b32 s40, s6
	s_cbranch_execz .LBB8_4173
; %bb.4161:                             ;   in Loop: Header=BB8_4109 Depth=3
	s_mov_b32 s74, exec_lo
	s_mov_b32 s41, exec_lo
	v_mbcnt_lo_u32_b32 v2, s74, 0
	;;#ASMSTART
	s_waitcnt lgkmcnt(0) vmcnt(0)
	;;#ASMEND
	s_delay_alu instid0(VALU_DEP_1)
	v_cmpx_eq_u32_e32 0, v2
	s_cbranch_execz .LBB8_4163
; %bb.4162:                             ;   in Loop: Header=BB8_4109 Depth=3
	s_bcnt1_i32_b32 s74, s74
	s_delay_alu instid0(SALU_CYCLE_1)
	v_mov_b32_e32 v2, s74
	s_wait_storecnt 0x0
	s_wait_loadcnt_dscnt 0x0
	ds_add_u64 v0, v[2:3]
	s_trap 2
.LBB8_4163:                             ;   in Loop: Header=BB8_4109 Depth=3
	s_or_b32 exec_lo, exec_lo, s41
	s_trap 2
	ds_load_b64 v[4:5], v0
	s_wait_dscnt 0x0
	v_add_nc_u64_e32 v[80:81], v[80:81], v[84:85]
	s_mov_b32 s41, exec_lo
	s_delay_alu instid0(VALU_DEP_1)
	v_cmpx_lt_u64_e64 v[4:5], v[80:81]
	s_cbranch_execz .LBB8_4172
; %bb.4164:                             ;   in Loop: Header=BB8_4109 Depth=3
	s_mov_b32 s74, 0
	s_mov_b32 s77, 0
                                        ; implicit-def: $sgpr75
                                        ; implicit-def: $sgpr76
	s_branch .LBB8_4166
.LBB8_4165:                             ;   in Loop: Header=BB8_4166 Depth=4
	s_or_b32 exec_lo, exec_lo, s79
	s_delay_alu instid0(SALU_CYCLE_1) | instskip(NEXT) | instid1(SALU_CYCLE_1)
	s_and_b32 s78, exec_lo, s88
	s_or_b32 s74, s78, s74
	s_and_not1_b32 s75, s75, exec_lo
	s_and_b32 s78, s76, exec_lo
	s_delay_alu instid0(SALU_CYCLE_1)
	s_or_b32 s75, s75, s78
	s_and_not1_b32 exec_lo, exec_lo, s74
	s_cbranch_execz .LBB8_4170
.LBB8_4166:                             ;   Parent Loop BB8_47 Depth=1
                                        ;     Parent Loop BB8_3863 Depth=2
                                        ;       Parent Loop BB8_4109 Depth=3
                                        ; =>      This Inner Loop Header: Depth=4
	s_add_co_i32 s77, s77, 1
	s_delay_alu instid0(SALU_CYCLE_1) | instskip(SKIP_1) | instid1(SALU_CYCLE_1)
	s_cmp_lg_u32 s77, 0x2710
	s_cselect_b32 s78, -1, 0
	s_and_b32 vcc_lo, exec_lo, s78
	s_cbranch_vccz .LBB8_4168
; %bb.4167:                             ;   in Loop: Header=BB8_4166 Depth=4
	s_mov_b32 s88, -1
	s_or_b32 s76, s76, exec_lo
	s_and_saveexec_b32 s79, s78
	s_cbranch_execz .LBB8_4165
	s_branch .LBB8_4169
.LBB8_4168:                             ;   in Loop: Header=BB8_4166 Depth=4
	s_trap 2
	ds_load_b64 v[4:5], v0
	s_and_not1_b32 s78, s78, exec_lo
	s_mov_b32 s77, 0
	s_wait_storecnt 0x0
	s_wait_loadcnt_dscnt 0x0
	flat_load_b32 v2, v[4:5] scope:SCOPE_SYS
	s_wait_loadcnt_dscnt 0x0
	global_inv scope:SCOPE_SYS
	v_cmp_eq_u32_e32 vcc_lo, 0, v2
	s_and_b32 s79, vcc_lo, exec_lo
	s_delay_alu instid0(SALU_CYCLE_1)
	s_or_b32 s78, s78, s79
	s_mov_b32 s88, -1
	s_or_b32 s76, s76, exec_lo
	s_and_saveexec_b32 s79, s78
	s_cbranch_execz .LBB8_4165
.LBB8_4169:                             ;   in Loop: Header=BB8_4166 Depth=4
	s_sleep 1
	s_trap 2
	ds_load_b64 v[4:5], v0
	s_wait_dscnt 0x0
	s_and_not1_b32 s76, s76, exec_lo
	v_cmp_ge_u64_e32 vcc_lo, v[4:5], v[80:81]
	s_or_not1_b32 s88, vcc_lo, exec_lo
	s_branch .LBB8_4165
.LBB8_4170:                             ;   in Loop: Header=BB8_4109 Depth=3
	s_or_b32 exec_lo, exec_lo, s74
	s_and_saveexec_b32 s74, s75
	s_delay_alu instid0(SALU_CYCLE_1)
	s_xor_b32 s74, exec_lo, s74
	s_cbranch_execz .LBB8_4172
; %bb.4171:                             ;   in Loop: Header=BB8_4109 Depth=3
	ds_store_b32 v0, v111
	s_trap 2
.LBB8_4172:                             ;   in Loop: Header=BB8_4109 Depth=3
	s_or_b32 exec_lo, exec_lo, s41
	;;#ASMSTART
	s_wakeup
	;;#ASMEND
.LBB8_4173:                             ;   in Loop: Header=BB8_4109 Depth=3
	s_or_b32 exec_lo, exec_lo, s40
.LBB8_4174:                             ;   in Loop: Header=BB8_4109 Depth=3
	s_and_not1_saveexec_b32 s27, s27
	s_cbranch_execz .LBB8_4176
; %bb.4175:                             ;   in Loop: Header=BB8_4109 Depth=3
	;;#ASMSTART
	s_waitcnt lgkmcnt(0) vmcnt(0)
	;;#ASMEND
	s_barrier_signal -1
	s_barrier_wait -1
.LBB8_4176:                             ;   in Loop: Header=BB8_4109 Depth=3
	s_or_b32 exec_lo, exec_lo, s27
	v_and_b32_e32 v2, 16, v30
.LBB8_4177:                             ;   in Loop: Header=BB8_4109 Depth=3
	s_or_b32 exec_lo, exec_lo, s13
	s_delay_alu instid0(VALU_DEP_1) | instskip(SKIP_1) | instid1(SALU_CYCLE_1)
	v_cmp_ne_u32_e32 vcc_lo, 0, v2
	s_xor_b32 s13, s4, -1
	s_and_b32 s27, vcc_lo, s13
	s_delay_alu instid0(SALU_CYCLE_1)
	s_and_saveexec_b32 s13, s27
	s_cbranch_execz .LBB8_4179
; %bb.4178:                             ;   in Loop: Header=BB8_4109 Depth=3
	global_wb scope:SCOPE_SYS
	s_wait_storecnt 0x0
	s_wait_loadcnt_dscnt 0x0
	flat_store_b32 v[70:71], v111 scope:SCOPE_SYS
.LBB8_4179:                             ;   in Loop: Header=BB8_4109 Depth=3
	s_wait_xcnt 0x0
	s_or_b32 exec_lo, exec_lo, s13
	v_and_b32_e32 v2, 48, v30
	s_mov_b32 s13, exec_lo
	s_delay_alu instid0(VALU_DEP_1)
	v_cmpx_ne_u32_e32 0, v2
	s_cbranch_execz .LBB8_4108
; %bb.4180:                             ;   in Loop: Header=BB8_4109 Depth=3
	v_add_nc_u64_e32 v[58:59], 2, v[58:59]
	global_wb scope:SCOPE_SYS
	s_wait_storecnt 0x0
	s_wait_loadcnt_dscnt 0x0
	flat_store_b64 v[64:65], v[58:59] scope:SCOPE_SYS
	s_branch .LBB8_4108
.LBB8_4181:                             ;   in Loop: Header=BB8_3863 Depth=2
	s_or_b32 exec_lo, exec_lo, s15
.LBB8_4182:                             ;   in Loop: Header=BB8_3863 Depth=2
	s_delay_alu instid0(SALU_CYCLE_1)
	s_or_b32 exec_lo, exec_lo, s14
	s_add_co_i32 s13, s18, 1
	s_cmp_eq_u32 s18, s62
	s_cbranch_scc1 .LBB8_4184
; %bb.4183:                             ;   in Loop: Header=BB8_3863 Depth=2
	s_mov_b32 s18, s13
	s_branch .LBB8_3863
.LBB8_4184:                             ;   in Loop: Header=BB8_47 Depth=1
	v_mul_u64_e32 v[8:9], s[28:29], v[56:57]
	s_delay_alu instid0(VALU_DEP_1) | instskip(SKIP_1) | instid1(VALU_DEP_2)
	v_sub_nc_u64_e32 v[4:5], v[60:61], v[8:9]
	v_mov_b32_e32 v60, 0
	v_min_i64 v[4:5], v[56:57], v[4:5]
	s_delay_alu instid0(VALU_DEP_1) | instskip(SKIP_1) | instid1(VALU_DEP_2)
	v_max_i32_e32 v90, 0, v4
	v_cmp_lt_i32_e32 vcc_lo, 0, v4
	v_add_nc_u32_e32 v2, 31, v90
	s_and_b32 s13, s63, vcc_lo
	s_delay_alu instid0(VALU_DEP_1) | instskip(NEXT) | instid1(VALU_DEP_1)
	v_lshrrev_b32_e32 v2, 1, v2
	v_and_b32_e32 v5, 0x3ffffff0, v2
	s_delay_alu instid0(VALU_DEP_1)
	v_dual_mov_b32 v2, 0 :: v_dual_max_i32 v91, s45, v5
	s_and_saveexec_b32 s14, s13
	s_cbranch_execz .LBB8_4353
; %bb.4185:                             ;   in Loop: Header=BB8_47 Depth=1
	v_add_nc_u64_e32 v[4:5], v[8:9], v[62:63]
	v_mov_b32_e32 v60, 0
	s_mov_b32 s27, 1
	s_mov_b32 s18, -1
	s_mov_b32 s15, 0
	s_delay_alu instid0(VALU_DEP_2)
	v_lshlrev_b64_e32 v[62:63], 1, v[4:5]
	s_branch .LBB8_4187
.LBB8_4186:                             ;   in Loop: Header=BB8_4187 Depth=2
	s_wait_xcnt 0x0
	s_or_b32 exec_lo, exec_lo, s13
	v_dual_add_nc_u32 v60, v91, v60 :: v_dual_mov_b32 v2, s27
	s_xor_b32 s13, s18, -1
	s_mov_b32 s18, 0
	s_mov_b32 s27, 2
	s_delay_alu instid0(VALU_DEP_1) | instskip(SKIP_1) | instid1(SALU_CYCLE_1)
	v_cmp_ge_i32_e32 vcc_lo, v60, v90
	s_or_b32 s13, s13, vcc_lo
	s_and_b32 s13, exec_lo, s13
	s_delay_alu instid0(SALU_CYCLE_1) | instskip(NEXT) | instid1(SALU_CYCLE_1)
	s_or_b32 s15, s13, s15
	s_and_not1_b32 exec_lo, exec_lo, s15
	s_cbranch_execz .LBB8_4352
.LBB8_4187:                             ;   Parent Loop BB8_47 Depth=1
                                        ; =>  This Loop Header: Depth=2
                                        ;       Child Loop BB8_4195 Depth 3
                                        ;       Child Loop BB8_4219 Depth 3
                                        ;       Child Loop BB8_4238 Depth 3
                                        ;       Child Loop BB8_4267 Depth 3
                                        ;       Child Loop BB8_4279 Depth 3
                                        ;       Child Loop BB8_4295 Depth 3
                                        ;       Child Loop BB8_4306 Depth 3
                                        ;       Child Loop BB8_4320 Depth 3
                                        ;       Child Loop BB8_4339 Depth 3
	s_and_saveexec_b32 s13, s0
	s_cbranch_execz .LBB8_4189
; %bb.4188:                             ;   in Loop: Header=BB8_4187 Depth=2
	s_trap 2
	ds_load_b128 v[8:11], v0
	s_wait_dscnt 0x0
	v_cmp_ne_u64_e32 vcc_lo, 0, v[10:11]
	v_ashrrev_i32_e32 v61, 31, v60
	v_add_nc_u64_e32 v[12:13], v[10:11], v[62:63]
	v_add_nc_u64_e32 v[8:9], v[8:9], v[62:63]
	s_delay_alu instid0(VALU_DEP_3) | instskip(NEXT) | instid1(VALU_DEP_1)
	v_lshlrev_b64_e32 v[4:5], 1, v[60:61]
	v_add_nc_u64_e32 v[12:13], v[12:13], v[4:5]
	s_delay_alu instid0(VALU_DEP_3) | instskip(NEXT) | instid1(VALU_DEP_2)
	v_add_nc_u64_e32 v[4:5], v[8:9], v[4:5]
	v_dual_cndmask_b32 v9, 0, v13 :: v_dual_cndmask_b32 v8, 0, v12
	ds_store_b64 v0, v[4:5]
	ds_store_b64 v0, v[8:9]
.LBB8_4189:                             ;   in Loop: Header=BB8_4187 Depth=2
	s_or_b32 exec_lo, exec_lo, s13
	v_and_b32_e32 v2, 4, v30
	s_mov_b32 s40, exec_lo
	s_delay_alu instid0(VALU_DEP_1)
	v_cmpx_ne_u32_e32 0, v2
	s_cbranch_execz .LBB8_4211
; %bb.4190:                             ;   in Loop: Header=BB8_4187 Depth=2
	v_add_nc_u64_e32 v[8:9], 2, v[58:59]
	s_mov_b32 s41, exec_lo
	s_wait_loadcnt_dscnt 0x1
	s_delay_alu instid0(VALU_DEP_1)
	v_cmpx_lt_u64_e64 v[82:83], v[8:9]
	s_cbranch_execz .LBB8_4202
; %bb.4191:                             ;   in Loop: Header=BB8_4187 Depth=2
	v_and_b32_e32 v2, 64, v30
	s_mov_b32 s74, 0
	s_mov_b32 s78, 0
                                        ; implicit-def: $sgpr75
                                        ; implicit-def: $sgpr76
                                        ; implicit-def: $sgpr77
	s_delay_alu instid0(VALU_DEP_1)
	v_cmp_eq_u32_e32 vcc_lo, 0, v2
	s_branch .LBB8_4195
.LBB8_4192:                             ;   in Loop: Header=BB8_4195 Depth=3
	s_wait_loadcnt_dscnt 0x0
	v_cmp_ge_u64_e64 s13, v[82:83], v[8:9]
	s_or_b32 s89, s89, exec_lo
	s_or_not1_b32 s88, s13, exec_lo
.LBB8_4193:                             ;   in Loop: Header=BB8_4195 Depth=3
	s_or_b32 exec_lo, exec_lo, s91
	s_delay_alu instid0(SALU_CYCLE_1)
	s_and_not1_b32 s13, s77, exec_lo
	s_and_b32 s77, s89, exec_lo
	s_and_not1_b32 s76, s76, exec_lo
	s_and_b32 s88, s88, exec_lo
	s_or_b32 s77, s13, s77
	s_or_b32 s76, s76, s88
.LBB8_4194:                             ;   in Loop: Header=BB8_4195 Depth=3
	s_or_b32 exec_lo, exec_lo, s79
	s_delay_alu instid0(SALU_CYCLE_1) | instskip(NEXT) | instid1(SALU_CYCLE_1)
	s_and_b32 s13, exec_lo, s76
	s_or_b32 s74, s13, s74
	s_and_not1_b32 s13, s75, exec_lo
	s_and_b32 s75, s77, exec_lo
	s_delay_alu instid0(SALU_CYCLE_1)
	s_or_b32 s75, s13, s75
	s_and_not1_b32 exec_lo, exec_lo, s74
	s_cbranch_execz .LBB8_4199
.LBB8_4195:                             ;   Parent Loop BB8_47 Depth=1
                                        ;     Parent Loop BB8_4187 Depth=2
                                        ; =>    This Inner Loop Header: Depth=3
	s_sleep 1
	s_wait_loadcnt_dscnt 0x0
	flat_load_b64 v[82:83], v[64:65] scope:SCOPE_SYS
	s_or_b32 s77, s77, exec_lo
	s_or_b32 s76, s76, exec_lo
                                        ; implicit-def: $vgpr2
	s_wait_xcnt 0x0
	s_and_saveexec_b32 s79, vcc_lo
	s_cbranch_execz .LBB8_4194
; %bb.4196:                             ;   in Loop: Header=BB8_4195 Depth=3
	s_cmp_lt_i32 s78, 0x270f
	s_mov_b32 s88, -1
	s_cselect_b32 s90, -1, 0
	s_cmp_gt_i32 s78, 0x270e
	s_cbranch_scc0 .LBB8_4198
; %bb.4197:                             ;   in Loop: Header=BB8_4195 Depth=3
	s_trap 2
	ds_load_b64 v[4:5], v0
	s_and_not1_b32 s78, s90, exec_lo
	s_mov_b32 s89, 0
	s_wait_storecnt 0x0
	s_wait_loadcnt_dscnt 0x0
	flat_load_b32 v2, v[4:5] scope:SCOPE_SYS
	s_wait_loadcnt_dscnt 0x0
	global_inv scope:SCOPE_SYS
	v_cmp_eq_u32_e64 s13, 0, v2
	s_and_b32 s13, s13, exec_lo
	s_delay_alu instid0(SALU_CYCLE_1)
	s_or_b32 s90, s78, s13
	s_mov_b32 s78, 0
	s_and_saveexec_b32 s91, s90
	s_cbranch_execz .LBB8_4193
	s_branch .LBB8_4192
.LBB8_4198:                             ;   in Loop: Header=BB8_4195 Depth=3
	s_add_co_i32 s78, s78, 1
	s_mov_b32 s89, -1
                                        ; implicit-def: $vgpr2
	s_and_saveexec_b32 s91, s90
	s_cbranch_execz .LBB8_4193
	s_branch .LBB8_4192
.LBB8_4199:                             ;   in Loop: Header=BB8_4187 Depth=2
	s_or_b32 exec_lo, exec_lo, s74
	s_xor_b32 s13, s75, -1
	s_delay_alu instid0(SALU_CYCLE_1) | instskip(NEXT) | instid1(SALU_CYCLE_1)
	s_and_saveexec_b32 s74, s13
	s_xor_b32 s13, exec_lo, s74
	s_cbranch_execz .LBB8_4201
; %bb.4200:                             ;   in Loop: Header=BB8_4187 Depth=2
	v_or_b32_e32 v30, 64, v30
	s_wait_storecnt 0x0
	s_wait_loadcnt_dscnt 0x0
	ds_store_b32 v0, v2
	s_trap 2
.LBB8_4201:                             ;   in Loop: Header=BB8_4187 Depth=2
	s_or_b32 exec_lo, exec_lo, s13
.LBB8_4202:                             ;   in Loop: Header=BB8_4187 Depth=2
	s_delay_alu instid0(SALU_CYCLE_1) | instskip(SKIP_3) | instid1(VALU_DEP_1)
	s_or_b32 exec_lo, exec_lo, s41
	v_and_b32_e32 v2, 0x100, v30
	s_mov_b32 s13, -1
	;;#ASMSTART
	s_wakeup
	;;#ASMEND
                                        ; implicit-def: $vgpr10_vgpr11
	v_cmp_ne_u32_e32 vcc_lo, 0, v2
	v_and_b32_e32 v2, 7, v58
	s_and_saveexec_b32 s41, vcc_lo
	s_cbranch_execz .LBB8_4206
; %bb.4203:                             ;   in Loop: Header=BB8_4187 Depth=2
	s_delay_alu instid0(VALU_DEP_1)
	v_mad_nc_u64_u32 v[12:13], v2, 24, v[6:7]
	s_mov_b32 s74, exec_lo
                                        ; implicit-def: $vgpr10_vgpr11
	flat_load_b32 v4, v[12:13]
	s_wait_loadcnt_dscnt 0x0
	v_cmp_ne_u32_e32 vcc_lo, 1, v4
	s_wait_xcnt 0x0
	v_cmpx_eq_u32_e32 1, v4
	s_cbranch_execz .LBB8_4205
; %bb.4204:                             ;   in Loop: Header=BB8_4187 Depth=2
	flat_load_b32 v4, v[12:13] offset:4 scope:SCOPE_SYS
	s_wait_loadcnt_dscnt 0x0
	v_ashrrev_i32_e32 v5, 31, v4
	s_delay_alu instid0(VALU_DEP_1)
	v_lshrrev_b64 v[10:11], 1, v[4:5]
.LBB8_4205:                             ;   in Loop: Header=BB8_4187 Depth=2
	s_wait_xcnt 0x0
	s_or_b32 exec_lo, exec_lo, s74
	s_delay_alu instid0(SALU_CYCLE_1)
	s_or_not1_b32 s13, vcc_lo, exec_lo
.LBB8_4206:                             ;   in Loop: Header=BB8_4187 Depth=2
	s_or_b32 exec_lo, exec_lo, s41
	s_and_saveexec_b32 s41, s13
; %bb.4207:                             ;   in Loop: Header=BB8_4187 Depth=2
	v_mul_u64_e32 v[10:11], v[2:3], v[66:67]
; %bb.4208:                             ;   in Loop: Header=BB8_4187 Depth=2
	s_or_b32 exec_lo, exec_lo, s41
	v_and_b32_e32 v2, 0x2000, v30
	s_delay_alu instid0(VALU_DEP_2)
	v_lshl_add_u64 v[4:5], v[10:11], 1, v[68:69]
	s_mov_b32 s13, exec_lo
	ds_store_b64 v0, v[4:5] offset:720
	v_cmpx_ne_u32_e32 0, v2
	s_cbranch_execz .LBB8_4210
; %bb.4209:                             ;   in Loop: Header=BB8_4187 Depth=2
	ds_load_b64 v[4:5], v0 offset:872
	s_wait_dscnt 0x0
	v_add_nc_u64_e32 v[4:5], 1, v[4:5]
	ds_store_b64 v0, v[4:5] offset:872
.LBB8_4210:                             ;   in Loop: Header=BB8_4187 Depth=2
	s_or_b32 exec_lo, exec_lo, s13
	v_mov_b64_e32 v[58:59], v[8:9]
.LBB8_4211:                             ;   in Loop: Header=BB8_4187 Depth=2
	s_or_b32 exec_lo, exec_lo, s40
	s_and_saveexec_b32 s13, s2
	s_cbranch_execz .LBB8_4230
; %bb.4212:                             ;   in Loop: Header=BB8_4187 Depth=2
	s_and_saveexec_b32 s40, s3
	s_delay_alu instid0(SALU_CYCLE_1)
	s_xor_b32 s40, exec_lo, s40
	s_cbranch_execz .LBB8_4227
; %bb.4213:                             ;   in Loop: Header=BB8_4187 Depth=2
	s_and_saveexec_b32 s41, s6
	s_cbranch_execz .LBB8_4226
; %bb.4214:                             ;   in Loop: Header=BB8_4187 Depth=2
	s_mov_b32 s75, exec_lo
	s_mov_b32 s74, exec_lo
	v_mbcnt_lo_u32_b32 v2, s75, 0
	global_wb scope:SCOPE_DEV
	s_wait_storecnt 0x0
	s_wait_loadcnt_dscnt 0x0
	global_inv scope:SCOPE_DEV
	v_cmpx_eq_u32_e32 0, v2
	s_cbranch_execz .LBB8_4216
; %bb.4215:                             ;   in Loop: Header=BB8_4187 Depth=2
	s_bcnt1_i32_b32 s75, s75
	s_delay_alu instid0(SALU_CYCLE_1)
	v_mov_b32_e32 v2, s75
	s_wait_loadcnt 0x0
	ds_add_u64 v0, v[2:3]
	s_trap 2
.LBB8_4216:                             ;   in Loop: Header=BB8_4187 Depth=2
	s_or_b32 exec_lo, exec_lo, s74
	s_trap 2
	ds_load_b64 v[4:5], v0
	s_wait_dscnt 0x0
	v_add_nc_u64_e32 v[80:81], v[80:81], v[84:85]
	s_mov_b32 s74, exec_lo
	s_delay_alu instid0(VALU_DEP_1)
	v_cmpx_lt_u64_e64 v[4:5], v[80:81]
	s_cbranch_execz .LBB8_4225
; %bb.4217:                             ;   in Loop: Header=BB8_4187 Depth=2
	s_mov_b32 s75, 0
	s_mov_b32 s78, 0
                                        ; implicit-def: $sgpr76
                                        ; implicit-def: $sgpr77
	s_branch .LBB8_4219
.LBB8_4218:                             ;   in Loop: Header=BB8_4219 Depth=3
	s_or_b32 exec_lo, exec_lo, s88
	s_delay_alu instid0(SALU_CYCLE_1) | instskip(NEXT) | instid1(SALU_CYCLE_1)
	s_and_b32 s79, exec_lo, s89
	s_or_b32 s75, s79, s75
	s_and_not1_b32 s76, s76, exec_lo
	s_and_b32 s79, s77, exec_lo
	s_delay_alu instid0(SALU_CYCLE_1)
	s_or_b32 s76, s76, s79
	s_and_not1_b32 exec_lo, exec_lo, s75
	s_cbranch_execz .LBB8_4223
.LBB8_4219:                             ;   Parent Loop BB8_47 Depth=1
                                        ;     Parent Loop BB8_4187 Depth=2
                                        ; =>    This Inner Loop Header: Depth=3
	s_add_co_i32 s78, s78, 1
	s_delay_alu instid0(SALU_CYCLE_1) | instskip(SKIP_1) | instid1(SALU_CYCLE_1)
	s_cmp_lg_u32 s78, 0x2710
	s_cselect_b32 s79, -1, 0
	s_and_b32 vcc_lo, exec_lo, s79
	s_cbranch_vccz .LBB8_4221
; %bb.4220:                             ;   in Loop: Header=BB8_4219 Depth=3
	s_mov_b32 s89, -1
	s_or_b32 s77, s77, exec_lo
	s_and_saveexec_b32 s88, s79
	s_cbranch_execz .LBB8_4218
	s_branch .LBB8_4222
.LBB8_4221:                             ;   in Loop: Header=BB8_4219 Depth=3
	s_trap 2
	ds_load_b64 v[4:5], v0
	s_and_not1_b32 s79, s79, exec_lo
	s_mov_b32 s78, 0
	s_wait_loadcnt_dscnt 0x0
	flat_load_b32 v2, v[4:5] scope:SCOPE_SYS
	s_wait_loadcnt_dscnt 0x0
	global_inv scope:SCOPE_SYS
	v_cmp_eq_u32_e32 vcc_lo, 0, v2
	s_and_b32 s88, vcc_lo, exec_lo
	s_delay_alu instid0(SALU_CYCLE_1)
	s_or_b32 s79, s79, s88
	s_mov_b32 s89, -1
	s_or_b32 s77, s77, exec_lo
	s_wait_xcnt 0x0
	s_and_saveexec_b32 s88, s79
	s_cbranch_execz .LBB8_4218
.LBB8_4222:                             ;   in Loop: Header=BB8_4219 Depth=3
	s_sleep 1
	s_trap 2
	ds_load_b64 v[4:5], v0
	s_wait_dscnt 0x0
	s_and_not1_b32 s77, s77, exec_lo
	v_cmp_ge_u64_e32 vcc_lo, v[4:5], v[80:81]
	s_or_not1_b32 s89, vcc_lo, exec_lo
	s_branch .LBB8_4218
.LBB8_4223:                             ;   in Loop: Header=BB8_4187 Depth=2
	s_or_b32 exec_lo, exec_lo, s75
	s_and_saveexec_b32 s75, s76
	s_delay_alu instid0(SALU_CYCLE_1)
	s_xor_b32 s75, exec_lo, s75
	s_cbranch_execz .LBB8_4225
; %bb.4224:                             ;   in Loop: Header=BB8_4187 Depth=2
	ds_store_b32 v0, v111
	s_trap 2
.LBB8_4225:                             ;   in Loop: Header=BB8_4187 Depth=2
	s_or_b32 exec_lo, exec_lo, s74
	;;#ASMSTART
	s_wakeup
	;;#ASMEND
.LBB8_4226:                             ;   in Loop: Header=BB8_4187 Depth=2
	s_or_b32 exec_lo, exec_lo, s41
.LBB8_4227:                             ;   in Loop: Header=BB8_4187 Depth=2
	s_and_not1_saveexec_b32 s40, s40
	s_cbranch_execz .LBB8_4229
; %bb.4228:                             ;   in Loop: Header=BB8_4187 Depth=2
	global_wb scope:SCOPE_DEV
	s_wait_storecnt 0x0
	s_wait_loadcnt_dscnt 0x0
	global_inv scope:SCOPE_DEV
	s_barrier_signal -1
	s_barrier_wait -1
.LBB8_4229:                             ;   in Loop: Header=BB8_4187 Depth=2
	s_or_b32 exec_lo, exec_lo, s40
.LBB8_4230:                             ;   in Loop: Header=BB8_4187 Depth=2
	s_delay_alu instid0(SALU_CYCLE_1) | instskip(SKIP_4) | instid1(VALU_DEP_1)
	s_or_b32 exec_lo, exec_lo, s13
	s_trap 2
	ds_load_b32 v4, v0
	v_and_b32_e32 v2, 0x4000, v30
	s_xor_b32 s13, s1, -1
	v_cmp_ne_u32_e32 vcc_lo, 0, v2
	s_and_b32 s40, s13, vcc_lo
	s_delay_alu instid0(SALU_CYCLE_1)
	s_and_saveexec_b32 s13, s40
	s_cbranch_execz .LBB8_4249
; %bb.4231:                             ;   in Loop: Header=BB8_4187 Depth=2
	s_and_saveexec_b32 s40, s3
	s_delay_alu instid0(SALU_CYCLE_1)
	s_xor_b32 s40, exec_lo, s40
	s_cbranch_execz .LBB8_4246
; %bb.4232:                             ;   in Loop: Header=BB8_4187 Depth=2
	s_and_saveexec_b32 s41, s6
	s_cbranch_execz .LBB8_4245
; %bb.4233:                             ;   in Loop: Header=BB8_4187 Depth=2
	s_mov_b32 s75, exec_lo
	s_mov_b32 s74, exec_lo
	v_mbcnt_lo_u32_b32 v2, s75, 0
	global_wb scope:SCOPE_DEV
	s_wait_storecnt 0x0
	s_wait_loadcnt_dscnt 0x0
	global_inv scope:SCOPE_DEV
	v_cmpx_eq_u32_e32 0, v2
	s_cbranch_execz .LBB8_4235
; %bb.4234:                             ;   in Loop: Header=BB8_4187 Depth=2
	s_bcnt1_i32_b32 s75, s75
	s_delay_alu instid0(SALU_CYCLE_1)
	v_mov_b32_e32 v2, s75
	s_wait_loadcnt 0x0
	ds_add_u64 v0, v[2:3]
	s_trap 2
.LBB8_4235:                             ;   in Loop: Header=BB8_4187 Depth=2
	s_or_b32 exec_lo, exec_lo, s74
	s_trap 2
	ds_load_b64 v[8:9], v0
	s_wait_dscnt 0x0
	v_add_nc_u64_e32 v[80:81], v[80:81], v[84:85]
	s_mov_b32 s74, exec_lo
	s_delay_alu instid0(VALU_DEP_1)
	v_cmpx_lt_u64_e64 v[8:9], v[80:81]
	s_cbranch_execz .LBB8_4244
; %bb.4236:                             ;   in Loop: Header=BB8_4187 Depth=2
	s_mov_b32 s75, 0
	s_mov_b32 s78, 0
                                        ; implicit-def: $sgpr76
                                        ; implicit-def: $sgpr77
	s_branch .LBB8_4238
.LBB8_4237:                             ;   in Loop: Header=BB8_4238 Depth=3
	s_or_b32 exec_lo, exec_lo, s88
	s_delay_alu instid0(SALU_CYCLE_1) | instskip(NEXT) | instid1(SALU_CYCLE_1)
	s_and_b32 s79, exec_lo, s89
	s_or_b32 s75, s79, s75
	s_and_not1_b32 s76, s76, exec_lo
	s_and_b32 s79, s77, exec_lo
	s_delay_alu instid0(SALU_CYCLE_1)
	s_or_b32 s76, s76, s79
	s_and_not1_b32 exec_lo, exec_lo, s75
	s_cbranch_execz .LBB8_4242
.LBB8_4238:                             ;   Parent Loop BB8_47 Depth=1
                                        ;     Parent Loop BB8_4187 Depth=2
                                        ; =>    This Inner Loop Header: Depth=3
	s_add_co_i32 s78, s78, 1
	s_delay_alu instid0(SALU_CYCLE_1) | instskip(SKIP_1) | instid1(SALU_CYCLE_1)
	s_cmp_lg_u32 s78, 0x2710
	s_cselect_b32 s79, -1, 0
	s_and_b32 vcc_lo, exec_lo, s79
	s_cbranch_vccz .LBB8_4240
; %bb.4239:                             ;   in Loop: Header=BB8_4238 Depth=3
	s_mov_b32 s89, -1
	s_or_b32 s77, s77, exec_lo
	s_and_saveexec_b32 s88, s79
	s_cbranch_execz .LBB8_4237
	s_branch .LBB8_4241
.LBB8_4240:                             ;   in Loop: Header=BB8_4238 Depth=3
	s_trap 2
	ds_load_b64 v[8:9], v0
	s_and_not1_b32 s79, s79, exec_lo
	s_mov_b32 s78, 0
	s_wait_loadcnt_dscnt 0x0
	flat_load_b32 v2, v[8:9] scope:SCOPE_SYS
	s_wait_loadcnt_dscnt 0x0
	global_inv scope:SCOPE_SYS
	v_cmp_eq_u32_e32 vcc_lo, 0, v2
	s_and_b32 s88, vcc_lo, exec_lo
	s_delay_alu instid0(SALU_CYCLE_1)
	s_or_b32 s79, s79, s88
	s_mov_b32 s89, -1
	s_or_b32 s77, s77, exec_lo
	s_and_saveexec_b32 s88, s79
	s_cbranch_execz .LBB8_4237
.LBB8_4241:                             ;   in Loop: Header=BB8_4238 Depth=3
	s_sleep 1
	s_trap 2
	ds_load_b64 v[8:9], v0
	s_wait_dscnt 0x0
	s_and_not1_b32 s77, s77, exec_lo
	v_cmp_ge_u64_e32 vcc_lo, v[8:9], v[80:81]
	s_or_not1_b32 s89, vcc_lo, exec_lo
	s_branch .LBB8_4237
.LBB8_4242:                             ;   in Loop: Header=BB8_4187 Depth=2
	s_or_b32 exec_lo, exec_lo, s75
	s_and_saveexec_b32 s75, s76
	s_delay_alu instid0(SALU_CYCLE_1)
	s_xor_b32 s75, exec_lo, s75
	s_cbranch_execz .LBB8_4244
; %bb.4243:                             ;   in Loop: Header=BB8_4187 Depth=2
	ds_store_b32 v0, v111
	s_trap 2
.LBB8_4244:                             ;   in Loop: Header=BB8_4187 Depth=2
	s_or_b32 exec_lo, exec_lo, s74
	;;#ASMSTART
	s_wakeup
	;;#ASMEND
.LBB8_4245:                             ;   in Loop: Header=BB8_4187 Depth=2
	s_or_b32 exec_lo, exec_lo, s41
.LBB8_4246:                             ;   in Loop: Header=BB8_4187 Depth=2
	s_and_not1_saveexec_b32 s40, s40
	s_cbranch_execz .LBB8_4248
; %bb.4247:                             ;   in Loop: Header=BB8_4187 Depth=2
	global_wb scope:SCOPE_DEV
	s_wait_storecnt 0x0
	s_wait_loadcnt_dscnt 0x0
	global_inv scope:SCOPE_DEV
	s_barrier_signal -1
	s_barrier_wait -1
.LBB8_4248:                             ;   in Loop: Header=BB8_4187 Depth=2
	s_or_b32 exec_lo, exec_lo, s40
.LBB8_4249:                             ;   in Loop: Header=BB8_4187 Depth=2
	s_delay_alu instid0(SALU_CYCLE_1) | instskip(SKIP_3) | instid1(VALU_DEP_1)
	s_or_b32 exec_lo, exec_lo, s13
	s_trap 2
	ds_load_b64 v[72:73], v0
	v_sub_nc_u32_e32 v2, v90, v60
	v_min_i32_e32 v91, v91, v2
	s_wait_dscnt 0x0
	v_cmp_eq_u64_e32 vcc_lo, 0, v[72:73]
	s_cbranch_vccnz .LBB8_4257
; %bb.4250:                             ;   in Loop: Header=BB8_4187 Depth=2
	s_trap 2
	ds_load_b64 v[74:75], v0
	s_wait_dscnt 0x0
	v_cmp_eq_u64_e32 vcc_lo, 0, v[74:75]
	s_cbranch_vccnz .LBB8_4257
; %bb.4251:                             ;   in Loop: Header=BB8_4187 Depth=2
	s_mov_b32 s13, -1
	s_and_saveexec_b32 s40, s10
	s_cbranch_execz .LBB8_4253
; %bb.4252:                             ;   in Loop: Header=BB8_4187 Depth=2
	ds_load_b32 v2, v0 offset:720
	s_wait_dscnt 0x0
	v_and_b32_e32 v2, 15, v2
	s_delay_alu instid0(VALU_DEP_1)
	v_cmp_eq_u32_e32 vcc_lo, 0, v2
	s_or_not1_b32 s13, vcc_lo, exec_lo
.LBB8_4253:                             ;   in Loop: Header=BB8_4187 Depth=2
	s_or_b32 exec_lo, exec_lo, s40
	s_and_saveexec_b32 s40, s7
	s_cbranch_execz .LBB8_4255
; %bb.4254:                             ;   in Loop: Header=BB8_4187 Depth=2
	ds_load_b32 v2, v0 offset:784
	s_wait_dscnt 0x0
	v_and_b32_e32 v2, 15, v2
	s_delay_alu instid0(VALU_DEP_1) | instskip(SKIP_3) | instid1(SALU_CYCLE_1)
	v_cmp_eq_u32_e32 vcc_lo, 0, v2
	s_and_b32 s41, s13, vcc_lo
	s_and_not1_b32 s13, s13, exec_lo
	s_and_b32 s41, s41, exec_lo
	s_or_b32 s13, s13, s41
.LBB8_4255:                             ;   in Loop: Header=BB8_4187 Depth=2
	s_or_b32 exec_lo, exec_lo, s40
	s_xor_b32 s13, s13, -1
	s_mov_b32 s41, -1
	v_cndmask_b32_e64 v2, 0, 1, s13
	v_cmp_eq_u32_e64 s13, 0, v4
	s_delay_alu instid0(VALU_DEP_2)
	v_cmp_ne_u32_e32 vcc_lo, 0, v2
	s_cbranch_vccz .LBB8_4262
; %bb.4256:                             ;   in Loop: Header=BB8_4187 Depth=2
	s_mov_b32 s41, 0
	s_mov_b32 s40, -1
	s_branch .LBB8_4263
.LBB8_4257:                             ;   in Loop: Header=BB8_4187 Depth=2
	s_mov_b32 s13, 0
	s_and_saveexec_b32 s40, s2
	s_cbranch_execnz .LBB8_4313
.LBB8_4258:                             ;   in Loop: Header=BB8_4187 Depth=2
	s_or_b32 exec_lo, exec_lo, s40
	s_and_saveexec_b32 s40, s12
	s_delay_alu instid0(SALU_CYCLE_1)
	s_xor_b32 s40, exec_lo, s40
	s_cbranch_execz .LBB8_4331
.LBB8_4259:                             ;   in Loop: Header=BB8_4187 Depth=2
	v_and_b32_e32 v2, 16, v30
	s_delay_alu instid0(VALU_DEP_1) | instskip(SKIP_1) | instid1(SALU_CYCLE_1)
	v_cmp_ne_u32_e32 vcc_lo, 0, v2
	s_and_b32 s41, vcc_lo, s13
	s_and_saveexec_b32 s13, s41
	s_cbranch_execz .LBB8_4261
; %bb.4260:                             ;   in Loop: Header=BB8_4187 Depth=2
	global_wb scope:SCOPE_SYS
	s_wait_storecnt 0x0
	s_wait_loadcnt_dscnt 0x0
	global_inv scope:SCOPE_SYS
.LBB8_4261:                             ;   in Loop: Header=BB8_4187 Depth=2
	s_or_b32 exec_lo, exec_lo, s13
	s_and_not1_saveexec_b32 s13, s40
	s_cbranch_execz .LBB8_4350
	s_branch .LBB8_4332
.LBB8_4262:                             ;   in Loop: Header=BB8_4187 Depth=2
	s_mov_b32 s40, 0
.LBB8_4263:                             ;   in Loop: Header=BB8_4187 Depth=2
	v_dual_cndmask_b32 v2, 0, v91, s13 :: v_dual_mov_b32 v4, 0
	s_and_not1_b32 vcc_lo, exec_lo, s41
	s_delay_alu instid0(VALU_DEP_1)
	v_lshlrev_b32_e32 v52, 1, v2
	s_cbranch_vccnz .LBB8_4271
; %bb.4264:                             ;   in Loop: Header=BB8_4187 Depth=2
	s_delay_alu instid0(VALU_DEP_1) | instskip(SKIP_3) | instid1(VALU_DEP_2)
	v_ashrrev_i32_e32 v4, 31, v52
	v_add_nc_u64_e32 v[76:77], v[74:75], v[100:101]
	s_mov_b32 s41, 0
	s_mov_b32 s13, exec_lo
                                        ; implicit-def: $vgpr8_vgpr9
                                        ; implicit-def: $vgpr12_vgpr13
                                        ; implicit-def: $vgpr16_vgpr17
                                        ; implicit-def: $vgpr20_vgpr21
	v_lshrrev_b32_e32 v4, 21, v4
	s_delay_alu instid0(VALU_DEP_1) | instskip(NEXT) | instid1(VALU_DEP_1)
	v_add_nc_u32_e32 v4, v52, v4
	v_ashrrev_i32_e32 v4, 11, v4
	s_delay_alu instid0(VALU_DEP_1) | instskip(NEXT) | instid1(VALU_DEP_1)
	v_sub_nc_u32_e32 v28, v4, v110
	v_cmpx_lt_i32_e32 0, v28
	s_cbranch_execz .LBB8_4273
; %bb.4265:                             ;   in Loop: Header=BB8_4187 Depth=2
	v_add_nc_u64_e32 v[78:79], v[72:73], v[100:101]
	s_mov_b32 s75, 0
                                        ; implicit-def: $sgpr74
                                        ; implicit-def: $vgpr8_vgpr9
                                        ; implicit-def: $vgpr12_vgpr13
                                        ; implicit-def: $vgpr16_vgpr17
                                        ; implicit-def: $vgpr20_vgpr21
	s_branch .LBB8_4267
.LBB8_4266:                             ;   in Loop: Header=BB8_4267 Depth=3
	s_or_b32 exec_lo, exec_lo, s76
	s_delay_alu instid0(VALU_DEP_1) | instskip(NEXT) | instid1(VALU_DEP_3)
	v_sub_nc_u32_e32 v28, v5, v28
	v_add_nc_u64_e32 v[54:55], v[76:77], v[88:89]
	s_wait_loadcnt 0x3
	global_store_b128 v[76:77], v[36:39], off th:TH_STORE_NT
	s_wait_loadcnt 0x2
	global_store_b128 v[76:77], v[48:51], off offset:512 th:TH_STORE_NT
	s_wait_loadcnt 0x1
	global_store_b128 v[76:77], v[24:27], off offset:1024 th:TH_STORE_NT
	;; [unrolled: 2-line block ×3, first 2 shown]
	v_add_nc_u64_e32 v[78:79], v[78:79], v[88:89]
	v_cmp_gt_i32_e32 vcc_lo, 1, v28
	s_wait_xcnt 0x0
	v_add_nc_u64_e32 v[76:77], 0x800, v[54:55]
	s_or_b32 s41, vcc_lo, s41
	s_and_not1_b32 s74, s74, exec_lo
	s_and_b32 s76, s75, exec_lo
	s_delay_alu instid0(SALU_CYCLE_1)
	s_or_b32 s74, s74, s76
	s_and_not1_b32 exec_lo, exec_lo, s41
	s_cbranch_execz .LBB8_4272
.LBB8_4267:                             ;   Parent Loop BB8_47 Depth=1
                                        ;     Parent Loop BB8_4187 Depth=2
                                        ; =>    This Inner Loop Header: Depth=3
	s_clause 0x3
	global_load_b128 v[36:39], v[78:79], off th:TH_LOAD_NT
	global_load_b128 v[48:51], v[78:79], off offset:512 th:TH_LOAD_NT
	global_load_b128 v[24:27], v[78:79], off offset:1024 th:TH_LOAD_NT
	;; [unrolled: 1-line block ×3, first 2 shown]
	s_wait_xcnt 0x0
	s_and_saveexec_b32 s76, s75
	s_cbranch_execz .LBB8_4269
; %bb.4268:                             ;   in Loop: Header=BB8_4267 Depth=3
	s_clause 0x3
	global_store_b128 v[76:77], v[8:11], off th:TH_STORE_NT
	global_store_b128 v[76:77], v[12:15], off offset:512 th:TH_STORE_NT
	global_store_b128 v[76:77], v[16:19], off offset:1024 th:TH_STORE_NT
	;; [unrolled: 1-line block ×3, first 2 shown]
	s_wait_xcnt 0x0
	v_add_nc_u64_e32 v[76:77], v[76:77], v[40:41]
.LBB8_4269:                             ;   in Loop: Header=BB8_4267 Depth=3
	s_or_b32 exec_lo, exec_lo, s76
	v_dual_mov_b32 v28, 0 :: v_dual_sub_nc_u32 v5, v28, v84
	v_add_nc_u64_e32 v[78:79], v[78:79], v[40:41]
	v_mov_b64_e32 v[88:89], 0
	s_delay_alu instid0(VALU_DEP_3)
	v_cmp_lt_i32_e64 s75, 0, v5
	s_and_saveexec_b32 s76, s75
	s_cbranch_execz .LBB8_4266
; %bb.4270:                             ;   in Loop: Header=BB8_4267 Depth=3
	s_clause 0x3
	global_load_b128 v[8:11], v[78:79], off th:TH_LOAD_NT
	global_load_b128 v[12:15], v[78:79], off offset:512 th:TH_LOAD_NT
	global_load_b128 v[16:19], v[78:79], off offset:1024 th:TH_LOAD_NT
	;; [unrolled: 1-line block ×3, first 2 shown]
	s_wait_xcnt 0x0
	v_add_nc_u64_e32 v[78:79], 0x800, v[78:79]
	v_mov_b64_e32 v[88:89], v[102:103]
	v_mov_b32_e32 v28, v84
	s_branch .LBB8_4266
.LBB8_4271:                             ;   in Loop: Header=BB8_4187 Depth=2
	v_dual_mov_b32 v8, v0 :: v_dual_mov_b32 v5, v109
	s_and_saveexec_b32 s13, s40
	s_cbranch_execnz .LBB8_4292
	s_branch .LBB8_4312
.LBB8_4272:                             ;   in Loop: Header=BB8_4187 Depth=2
	s_or_b32 exec_lo, exec_lo, s41
	s_delay_alu instid0(SALU_CYCLE_1)
	s_and_b32 s41, s74, exec_lo
.LBB8_4273:                             ;   in Loop: Header=BB8_4187 Depth=2
	s_or_b32 exec_lo, exec_lo, s13
	s_and_saveexec_b32 s13, s41
	s_cbranch_execz .LBB8_4275
; %bb.4274:                             ;   in Loop: Header=BB8_4187 Depth=2
	s_clause 0x3
	global_store_b128 v[76:77], v[8:11], off th:TH_STORE_NT
	global_store_b128 v[76:77], v[12:15], off offset:512 th:TH_STORE_NT
	global_store_b128 v[76:77], v[16:19], off offset:1024 th:TH_STORE_NT
	;; [unrolled: 1-line block ×3, first 2 shown]
.LBB8_4275:                             ;   in Loop: Header=BB8_4187 Depth=2
	s_wait_xcnt 0x0
	s_or_b32 exec_lo, exec_lo, s13
	v_lshlrev_b32_e32 v20, 11, v4
	s_mov_b32 s41, exec_lo
                                        ; implicit-def: $vgpr4
                                        ; implicit-def: $vgpr8
                                        ; implicit-def: $vgpr5
	s_delay_alu instid0(VALU_DEP_1)
	v_cmpx_ne_u32_e64 v52, v20
	s_cbranch_execz .LBB8_4291
; %bb.4276:                             ;   in Loop: Header=BB8_4187 Depth=2
	v_lshlrev_b32_e32 v4, 5, v28
	v_sub_nc_u32_e32 v8, v52, v20
	s_mov_b32 s75, 0
	s_mov_b32 s74, exec_lo
	s_delay_alu instid0(VALU_DEP_2) | instskip(NEXT) | instid1(VALU_DEP_2)
	v_sub_nc_u32_e32 v4, v109, v4
	v_ashrrev_i32_e32 v10, 31, v8
	s_delay_alu instid0(VALU_DEP_2) | instskip(NEXT) | instid1(VALU_DEP_1)
	v_ashrrev_i32_e32 v5, 31, v4
	v_lshrrev_b32_e32 v5, 27, v5
	s_delay_alu instid0(VALU_DEP_1) | instskip(NEXT) | instid1(VALU_DEP_1)
	v_add_nc_u32_e32 v5, v4, v5
	v_and_b32_e32 v9, 0xffffffe0, v5
	v_ashrrev_i32_e32 v5, 5, v5
	s_delay_alu instid0(VALU_DEP_2) | instskip(NEXT) | instid1(VALU_DEP_1)
	v_dual_sub_nc_u32 v21, v4, v9 :: v_dual_lshrrev_b32 v4, 23, v10
	v_dual_lshlrev_b32 v9, 4, v21 :: v_dual_add_nc_u32 v4, v8, v4
	s_delay_alu instid0(VALU_DEP_1) | instskip(NEXT) | instid1(VALU_DEP_2)
	v_lshl_add_u32 v9, v5, 9, v9
	v_and_b32_e32 v22, 0xfffffe00, v4
	s_delay_alu instid0(VALU_DEP_1) | instskip(NEXT) | instid1(VALU_DEP_1)
	v_dual_add_nc_u32 v10, v9, v20 :: v_dual_sub_nc_u32 v23, v8, v22
	v_dual_ashrrev_i32 v4, 9, v4 :: v_dual_ashrrev_i32 v11, 31, v10
	s_delay_alu instid0(VALU_DEP_2) | instskip(NEXT) | instid1(VALU_DEP_2)
	v_cmp_lt_i32_e32 vcc_lo, 15, v23
	v_add_nc_u64_e32 v[16:17], v[10:11], v[74:75]
	s_delay_alu instid0(VALU_DEP_3) | instskip(SKIP_1) | instid1(VALU_DEP_2)
	v_add_co_ci_u32_e64 v12, null, 0, v4, vcc_lo
	v_sub_nc_u32_e32 v4, v8, v9
                                        ; implicit-def: $vgpr8_vgpr9
	v_sub_nc_u32_e32 v24, v12, v5
	s_delay_alu instid0(VALU_DEP_2)
	v_cmpx_lt_i32_e32 15, v4
	s_cbranch_execz .LBB8_4286
; %bb.4277:                             ;   in Loop: Header=BB8_4187 Depth=2
	v_add_nc_u64_e32 v[18:19], v[10:11], v[72:73]
	s_mov_b32 s77, 0
                                        ; implicit-def: $sgpr76
                                        ; implicit-def: $vgpr8_vgpr9
	s_branch .LBB8_4279
.LBB8_4278:                             ;   in Loop: Header=BB8_4279 Depth=3
	s_or_b32 exec_lo, exec_lo, s13
	s_delay_alu instid0(VALU_DEP_1) | instskip(SKIP_3) | instid1(SALU_CYCLE_1)
	v_cmp_gt_i32_e64 s13, 16, v4
	s_or_b32 s75, s13, s75
	s_and_not1_b32 s13, s76, exec_lo
	s_and_b32 s76, s77, exec_lo
	s_or_b32 s76, s13, s76
	s_and_not1_b32 exec_lo, exec_lo, s75
	s_cbranch_execz .LBB8_4285
.LBB8_4279:                             ;   Parent Loop BB8_47 Depth=1
                                        ;     Parent Loop BB8_4187 Depth=2
                                        ; =>    This Inner Loop Header: Depth=3
	global_load_b128 v[12:15], v[18:19], off th:TH_LOAD_NT
	s_wait_xcnt 0x0
	s_and_saveexec_b32 s13, s77
	s_cbranch_execz .LBB8_4281
; %bb.4280:                             ;   in Loop: Header=BB8_4279 Depth=3
	v_add_nc_u64_e32 v[26:27], v[16:17], v[44:45]
	global_store_b128 v[16:17], v[8:11], off th:TH_STORE_NT
	s_wait_xcnt 0x0
	v_mov_b64_e32 v[16:17], v[26:27]
.LBB8_4281:                             ;   in Loop: Header=BB8_4279 Depth=3
	s_or_b32 exec_lo, exec_lo, s13
	v_sub_nc_u32_e32 v4, v4, v122
	v_add_nc_u64_e32 v[18:19], v[18:19], v[44:45]
	s_delay_alu instid0(VALU_DEP_2)
	v_cmp_lt_i32_e64 s77, 15, v4
	s_and_saveexec_b32 s13, s77
	s_cbranch_execz .LBB8_4283
; %bb.4282:                             ;   in Loop: Header=BB8_4279 Depth=3
	global_load_b128 v[8:11], v[18:19], off th:TH_LOAD_NT
	s_wait_xcnt 0x0
	v_add_nc_u64_e32 v[18:19], 0x200, v[18:19]
.LBB8_4283:                             ;   in Loop: Header=BB8_4279 Depth=3
	s_or_b32 exec_lo, exec_lo, s13
	s_wait_loadcnt 0x0
	global_store_b128 v[16:17], v[12:15], off th:TH_STORE_NT
	s_wait_xcnt 0x0
	v_add_nc_u64_e32 v[16:17], 0x200, v[16:17]
	v_sub_nc_u32_e32 v24, v24, v84
	s_and_saveexec_b32 s13, s77
	s_cbranch_execz .LBB8_4278
; %bb.4284:                             ;   in Loop: Header=BB8_4279 Depth=3
	v_add_nc_u64_e32 v[18:19], v[18:19], v[116:117]
	s_delay_alu instid0(VALU_DEP_3)
	v_add_nc_u64_e32 v[16:17], v[16:17], v[116:117]
	v_sub_nc_u32_e32 v24, v24, v84
	v_sub_nc_u32_e32 v4, v4, v122
	s_branch .LBB8_4278
.LBB8_4285:                             ;   in Loop: Header=BB8_4187 Depth=2
	s_or_b32 exec_lo, exec_lo, s75
	s_delay_alu instid0(SALU_CYCLE_1)
	s_and_b32 s75, s76, exec_lo
.LBB8_4286:                             ;   in Loop: Header=BB8_4187 Depth=2
	s_or_b32 exec_lo, exec_lo, s74
	s_and_saveexec_b32 s13, s75
	s_cbranch_execz .LBB8_4288
; %bb.4287:                             ;   in Loop: Header=BB8_4187 Depth=2
	global_store_b128 v[16:17], v[8:11], off th:TH_STORE_NT
.LBB8_4288:                             ;   in Loop: Header=BB8_4187 Depth=2
	s_wait_xcnt 0x0
	s_or_b32 exec_lo, exec_lo, s13
	v_and_b32_e32 v9, 14, v52
	s_mov_b32 s75, s40
	s_mov_b32 s74, exec_lo
                                        ; implicit-def: $vgpr4
                                        ; implicit-def: $vgpr8
                                        ; implicit-def: $vgpr5
	s_delay_alu instid0(VALU_DEP_1) | instskip(NEXT) | instid1(VALU_DEP_1)
	v_cndmask_b32_e32 v52, v23, v9, vcc_lo
	v_cmpx_ne_u32_e32 0, v52
	s_cbranch_execz .LBB8_4290
; %bb.4289:                             ;   in Loop: Header=BB8_4187 Depth=2
	v_cmp_lt_i32_e64 s13, 0, v24
	s_or_b32 s75, s40, exec_lo
	v_dual_sub_nc_u32 v5, v23, v9 :: v_dual_cndmask_b32 v4, 0, v84, s13
	s_delay_alu instid0(VALU_DEP_1) | instskip(NEXT) | instid1(VALU_DEP_1)
	v_dual_cndmask_b32 v5, 0, v5 :: v_dual_sub_nc_u32 v4, v4, v24
	v_lshl_add_u32 v8, v4, 5, v21
	s_delay_alu instid0(VALU_DEP_1) | instskip(NEXT) | instid1(VALU_DEP_1)
	v_ashrrev_i32_e32 v4, 31, v8
	v_lshrrev_b32_e32 v4, 27, v4
	s_delay_alu instid0(VALU_DEP_1) | instskip(NEXT) | instid1(VALU_DEP_1)
	v_add_nc_u32_e32 v4, v8, v4
	v_and_b32_e32 v9, 0xffffffe0, v4
	v_add3_u32 v4, v22, v20, v5
	s_delay_alu instid0(VALU_DEP_2)
	v_sub_nc_u32_e32 v5, v8, v9
.LBB8_4290:                             ;   in Loop: Header=BB8_4187 Depth=2
	s_or_b32 exec_lo, exec_lo, s74
	s_delay_alu instid0(SALU_CYCLE_1) | instskip(SKIP_1) | instid1(SALU_CYCLE_1)
	s_and_not1_b32 s13, s40, exec_lo
	s_and_b32 s40, s75, exec_lo
	s_or_b32 s40, s13, s40
.LBB8_4291:                             ;   in Loop: Header=BB8_4187 Depth=2
	s_or_b32 exec_lo, exec_lo, s41
	s_and_saveexec_b32 s13, s40
	s_cbranch_execz .LBB8_4312
.LBB8_4292:                             ;   in Loop: Header=BB8_4187 Depth=2
	s_delay_alu instid0(VALU_DEP_1) | instskip(SKIP_2) | instid1(VALU_DEP_1)
	v_ashrrev_i32_e32 v9, 31, v8
	s_mov_b32 s41, 0
	s_mov_b32 s40, exec_lo
                                        ; implicit-def: $vgpr15
                                        ; implicit-def: $vgpr16
                                        ; implicit-def: $vgpr17
                                        ; implicit-def: $vgpr18
                                        ; implicit-def: $vgpr19
                                        ; implicit-def: $vgpr20
                                        ; implicit-def: $vgpr21
                                        ; implicit-def: $vgpr22
	v_lshrrev_b32_e32 v9, 27, v9
	s_delay_alu instid0(VALU_DEP_1) | instskip(NEXT) | instid1(VALU_DEP_1)
	v_dual_add_nc_u32 v8, v8, v9 :: v_dual_ashrrev_i32 v9, 31, v52
	v_dual_ashrrev_i32 v8, 5, v8 :: v_dual_lshlrev_b32 v11, 1, v5
	s_delay_alu instid0(VALU_DEP_1) | instskip(NEXT) | instid1(VALU_DEP_1)
	v_lshlrev_b32_e32 v10, 9, v8
	v_add3_u32 v10, v4, v11, v10
	s_delay_alu instid0(VALU_DEP_1) | instskip(NEXT) | instid1(VALU_DEP_1)
	v_dual_lshrrev_b32 v9, 23, v9 :: v_dual_ashrrev_i32 v11, 31, v10
	v_add_nc_u32_e32 v9, v52, v9
	s_delay_alu instid0(VALU_DEP_1) | instskip(NEXT) | instid1(VALU_DEP_1)
	v_ashrrev_i32_e32 v14, 9, v9
	v_sub_nc_u32_e32 v23, v14, v8
	s_delay_alu instid0(VALU_DEP_4) | instskip(NEXT) | instid1(VALU_DEP_2)
	v_add_nc_u64_e32 v[8:9], v[74:75], v[10:11]
	v_cmpx_lt_i32_e32 0, v23
	s_cbranch_execz .LBB8_4300
; %bb.4293:                             ;   in Loop: Header=BB8_4187 Depth=2
	v_add_nc_u64_e32 v[10:11], v[10:11], v[72:73]
	s_mov_b32 s75, 0
                                        ; implicit-def: $sgpr74
                                        ; implicit-def: $vgpr15
                                        ; implicit-def: $vgpr16
                                        ; implicit-def: $vgpr17
                                        ; implicit-def: $vgpr18
                                        ; implicit-def: $vgpr19
                                        ; implicit-def: $vgpr20
                                        ; implicit-def: $vgpr21
                                        ; implicit-def: $vgpr22
	s_branch .LBB8_4295
.LBB8_4294:                             ;   in Loop: Header=BB8_4295 Depth=3
	s_or_b32 exec_lo, exec_lo, s76
	s_delay_alu instid0(VALU_DEP_1) | instskip(NEXT) | instid1(VALU_DEP_3)
	v_sub_nc_u32_e32 v23, v23, v34
	v_add_nc_u64_e32 v[34:35], v[8:9], v[12:13]
	s_wait_loadcnt_dscnt 0x707
	flat_store_b16 v[8:9], v24 th:TH_STORE_NT
	s_wait_loadcnt_dscnt 0x607
	flat_store_b16 v[8:9], v25 offset:64 th:TH_STORE_NT
	s_wait_loadcnt_dscnt 0x507
	flat_store_b16 v[8:9], v26 offset:128 th:TH_STORE_NT
	;; [unrolled: 2-line block ×7, first 2 shown]
	v_add_nc_u64_e32 v[10:11], v[10:11], v[12:13]
	v_cmp_gt_i32_e32 vcc_lo, 1, v23
	s_wait_xcnt 0x0
	v_add_nc_u64_e32 v[8:9], 0x200, v[34:35]
	s_or_b32 s41, vcc_lo, s41
	s_and_not1_b32 s74, s74, exec_lo
	s_and_b32 s76, s75, exec_lo
	s_delay_alu instid0(SALU_CYCLE_1)
	s_or_b32 s74, s74, s76
	s_and_not1_b32 exec_lo, exec_lo, s41
	s_cbranch_execz .LBB8_4299
.LBB8_4295:                             ;   Parent Loop BB8_47 Depth=1
                                        ;     Parent Loop BB8_4187 Depth=2
                                        ; =>    This Inner Loop Header: Depth=3
	s_clause 0x7
	flat_load_u16 v24, v[10:11] th:TH_LOAD_NT
	flat_load_u16 v25, v[10:11] offset:64 th:TH_LOAD_NT
	flat_load_u16 v26, v[10:11] offset:128 th:TH_LOAD_NT
	;; [unrolled: 1-line block ×7, first 2 shown]
	s_wait_xcnt 0x0
	s_and_saveexec_b32 s76, s75
	s_cbranch_execz .LBB8_4297
; %bb.4296:                             ;   in Loop: Header=BB8_4295 Depth=3
	s_clause 0x7
	flat_store_b16 v[8:9], v15 th:TH_STORE_NT
	flat_store_b16 v[8:9], v16 offset:64 th:TH_STORE_NT
	flat_store_b16 v[8:9], v17 offset:128 th:TH_STORE_NT
	;; [unrolled: 1-line block ×7, first 2 shown]
	s_wait_xcnt 0x0
	v_add_nc_u64_e32 v[8:9], v[8:9], v[44:45]
.LBB8_4297:                             ;   in Loop: Header=BB8_4295 Depth=3
	s_or_b32 exec_lo, exec_lo, s76
	v_dual_mov_b32 v34, 0 :: v_dual_sub_nc_u32 v23, v23, v84
	v_add_nc_u64_e32 v[10:11], v[10:11], v[44:45]
	v_mov_b64_e32 v[12:13], 0
	s_delay_alu instid0(VALU_DEP_3)
	v_cmp_lt_i32_e64 s75, 0, v23
	s_and_saveexec_b32 s76, s75
	s_cbranch_execz .LBB8_4294
; %bb.4298:                             ;   in Loop: Header=BB8_4295 Depth=3
	s_clause 0x7
	flat_load_u16 v15, v[10:11] th:TH_LOAD_NT
	flat_load_u16 v16, v[10:11] offset:64 th:TH_LOAD_NT
	flat_load_u16 v17, v[10:11] offset:128 th:TH_LOAD_NT
	;; [unrolled: 1-line block ×7, first 2 shown]
	s_wait_xcnt 0x0
	v_add_nc_u64_e32 v[10:11], 0x200, v[10:11]
	v_mov_b64_e32 v[12:13], v[116:117]
	v_mov_b32_e32 v34, v84
	s_branch .LBB8_4294
.LBB8_4299:                             ;   in Loop: Header=BB8_4187 Depth=2
	s_or_b32 exec_lo, exec_lo, s41
	s_delay_alu instid0(SALU_CYCLE_1)
	s_and_b32 s41, s74, exec_lo
.LBB8_4300:                             ;   in Loop: Header=BB8_4187 Depth=2
	s_or_b32 exec_lo, exec_lo, s40
	s_and_saveexec_b32 s40, s41
	s_cbranch_execz .LBB8_4302
; %bb.4301:                             ;   in Loop: Header=BB8_4187 Depth=2
	s_clause 0x7
	flat_store_b16 v[8:9], v15 th:TH_STORE_NT
	flat_store_b16 v[8:9], v16 offset:64 th:TH_STORE_NT
	flat_store_b16 v[8:9], v17 offset:128 th:TH_STORE_NT
	;; [unrolled: 1-line block ×7, first 2 shown]
.LBB8_4302:                             ;   in Loop: Header=BB8_4187 Depth=2
	s_wait_xcnt 0x0
	s_or_b32 exec_lo, exec_lo, s40
	v_lshlrev_b32_e32 v8, 9, v14
	s_delay_alu instid0(VALU_DEP_1)
	v_cmp_ne_u32_e32 vcc_lo, v52, v8
	s_and_b32 exec_lo, exec_lo, vcc_lo
	s_cbranch_execz .LBB8_4312
; %bb.4303:                             ;   in Loop: Header=BB8_4187 Depth=2
	v_lshlrev_b32_e32 v9, 5, v23
	s_delay_alu instid0(VALU_DEP_1) | instskip(NEXT) | instid1(VALU_DEP_1)
	v_sub_nc_u32_e32 v5, v5, v9
	v_ashrrev_i32_e32 v9, 31, v5
	s_delay_alu instid0(VALU_DEP_1) | instskip(NEXT) | instid1(VALU_DEP_1)
	v_lshrrev_b32_e32 v9, 27, v9
	v_add_nc_u32_e32 v9, v5, v9
	s_delay_alu instid0(VALU_DEP_1) | instskip(NEXT) | instid1(VALU_DEP_1)
	v_and_b32_e32 v10, 0x7fffffe0, v9
	v_dual_lshlrev_b32 v9, 1, v9 :: v_dual_sub_nc_u32 v5, v5, v10
	s_delay_alu instid0(VALU_DEP_1) | instskip(NEXT) | instid1(VALU_DEP_2)
	v_and_b32_e32 v9, 0xffffffc0, v9
	v_lshlrev_b32_e32 v5, 1, v5
	s_delay_alu instid0(VALU_DEP_1) | instskip(NEXT) | instid1(VALU_DEP_1)
	v_add3_u32 v8, v9, v5, v8
	v_sub_nc_u32_e32 v5, v52, v8
	s_delay_alu instid0(VALU_DEP_1)
	v_cmp_lt_i32_e32 vcc_lo, 1, v5
	s_and_b32 exec_lo, exec_lo, vcc_lo
	s_cbranch_execz .LBB8_4312
; %bb.4304:                             ;   in Loop: Header=BB8_4187 Depth=2
	v_add_nc_u32_e32 v10, v8, v4
	s_mov_b32 s74, 0
	s_mov_b32 s40, 0
                                        ; implicit-def: $sgpr41
                                        ; implicit-def: $vgpr4
	s_delay_alu instid0(VALU_DEP_1) | instskip(NEXT) | instid1(VALU_DEP_1)
	v_ashrrev_i32_e32 v11, 31, v10
	v_add_nc_u64_e32 v[8:9], v[74:75], v[10:11]
	v_add_nc_u64_e32 v[10:11], v[10:11], v[72:73]
	s_branch .LBB8_4306
.LBB8_4305:                             ;   in Loop: Header=BB8_4306 Depth=3
	s_or_b32 exec_lo, exec_lo, s75
	s_delay_alu instid0(VALU_DEP_1) | instskip(NEXT) | instid1(VALU_DEP_3)
	v_sub_nc_u32_e32 v5, v5, v15
	v_add_nc_u64_e32 v[16:17], v[8:9], v[12:13]
	s_wait_loadcnt_dscnt 0x0
	flat_store_b16 v[8:9], v14 th:TH_STORE_NT
	v_add_nc_u64_e32 v[10:11], v[10:11], v[12:13]
	v_cmp_gt_i32_e32 vcc_lo, 2, v5
	s_wait_xcnt 0x0
	v_add_nc_u64_e32 v[8:9], 64, v[16:17]
	s_or_b32 s40, vcc_lo, s40
	s_and_not1_b32 s41, s41, exec_lo
	s_and_b32 s75, s74, exec_lo
	s_delay_alu instid0(SALU_CYCLE_1)
	s_or_b32 s41, s41, s75
	s_and_not1_b32 exec_lo, exec_lo, s40
	s_cbranch_execz .LBB8_4310
.LBB8_4306:                             ;   Parent Loop BB8_47 Depth=1
                                        ;     Parent Loop BB8_4187 Depth=2
                                        ; =>    This Inner Loop Header: Depth=3
	flat_load_u16 v14, v[10:11] th:TH_LOAD_NT
	s_wait_xcnt 0x0
	s_and_saveexec_b32 s75, s74
	s_cbranch_execz .LBB8_4308
; %bb.4307:                             ;   in Loop: Header=BB8_4306 Depth=3
	v_add_nc_u64_e32 v[12:13], v[8:9], v[46:47]
	flat_store_b16 v[8:9], v4 th:TH_STORE_NT
	s_wait_xcnt 0x0
	v_mov_b64_e32 v[8:9], v[12:13]
.LBB8_4308:                             ;   in Loop: Header=BB8_4306 Depth=3
	s_or_b32 exec_lo, exec_lo, s75
	v_dual_sub_nc_u32 v5, v5, v123 :: v_dual_mov_b32 v15, 0
	v_add_nc_u64_e32 v[10:11], v[10:11], v[46:47]
	v_mov_b64_e32 v[12:13], 0
	s_delay_alu instid0(VALU_DEP_3)
	v_cmp_lt_i32_e64 s74, 1, v5
	s_and_saveexec_b32 s75, s74
	s_cbranch_execz .LBB8_4305
; %bb.4309:                             ;   in Loop: Header=BB8_4306 Depth=3
	flat_load_u16 v4, v[10:11] th:TH_LOAD_NT
	s_wait_xcnt 0x0
	v_add_nc_u64_e32 v[10:11], 64, v[10:11]
	v_mov_b64_e32 v[12:13], v[118:119]
	v_mov_b32_e32 v15, v123
	s_branch .LBB8_4305
.LBB8_4310:                             ;   in Loop: Header=BB8_4187 Depth=2
	s_or_b32 exec_lo, exec_lo, s40
	s_delay_alu instid0(SALU_CYCLE_1)
	s_and_b32 exec_lo, exec_lo, s41
	s_cbranch_execz .LBB8_4312
; %bb.4311:                             ;   in Loop: Header=BB8_4187 Depth=2
	flat_store_b16 v[8:9], v4 th:TH_STORE_NT
.LBB8_4312:                             ;   in Loop: Header=BB8_4187 Depth=2
	s_wait_xcnt 0x0
	s_or_b32 exec_lo, exec_lo, s13
	v_cmp_lt_i32_e64 s13, 0, v2
	s_and_saveexec_b32 s40, s2
	s_cbranch_execz .LBB8_4258
.LBB8_4313:                             ;   in Loop: Header=BB8_4187 Depth=2
	s_and_saveexec_b32 s41, s3
	s_delay_alu instid0(SALU_CYCLE_1)
	s_xor_b32 s41, exec_lo, s41
	s_cbranch_execz .LBB8_4328
; %bb.4314:                             ;   in Loop: Header=BB8_4187 Depth=2
	s_and_saveexec_b32 s74, s6
	s_cbranch_execz .LBB8_4327
; %bb.4315:                             ;   in Loop: Header=BB8_4187 Depth=2
	s_mov_b32 s76, exec_lo
	s_mov_b32 s75, exec_lo
	v_mbcnt_lo_u32_b32 v2, s76, 0
	global_wb scope:SCOPE_DEV
	s_wait_storecnt 0x0
	s_wait_loadcnt_dscnt 0x0
	global_inv scope:SCOPE_DEV
	v_cmpx_eq_u32_e32 0, v2
	s_cbranch_execz .LBB8_4317
; %bb.4316:                             ;   in Loop: Header=BB8_4187 Depth=2
	s_bcnt1_i32_b32 s76, s76
	s_delay_alu instid0(SALU_CYCLE_1)
	v_mov_b32_e32 v2, s76
	s_wait_loadcnt 0x0
	ds_add_u64 v0, v[2:3]
	s_trap 2
.LBB8_4317:                             ;   in Loop: Header=BB8_4187 Depth=2
	s_or_b32 exec_lo, exec_lo, s75
	s_trap 2
	ds_load_b64 v[4:5], v0
	s_wait_dscnt 0x0
	v_add_nc_u64_e32 v[80:81], v[80:81], v[84:85]
	s_mov_b32 s75, exec_lo
	s_delay_alu instid0(VALU_DEP_1)
	v_cmpx_lt_u64_e64 v[4:5], v[80:81]
	s_cbranch_execz .LBB8_4326
; %bb.4318:                             ;   in Loop: Header=BB8_4187 Depth=2
	s_mov_b32 s76, 0
	s_mov_b32 s79, 0
                                        ; implicit-def: $sgpr77
                                        ; implicit-def: $sgpr78
	s_branch .LBB8_4320
.LBB8_4319:                             ;   in Loop: Header=BB8_4320 Depth=3
	s_or_b32 exec_lo, exec_lo, s89
	s_delay_alu instid0(SALU_CYCLE_1) | instskip(NEXT) | instid1(SALU_CYCLE_1)
	s_and_b32 s88, exec_lo, s90
	s_or_b32 s76, s88, s76
	s_and_not1_b32 s77, s77, exec_lo
	s_and_b32 s88, s78, exec_lo
	s_delay_alu instid0(SALU_CYCLE_1)
	s_or_b32 s77, s77, s88
	s_and_not1_b32 exec_lo, exec_lo, s76
	s_cbranch_execz .LBB8_4324
.LBB8_4320:                             ;   Parent Loop BB8_47 Depth=1
                                        ;     Parent Loop BB8_4187 Depth=2
                                        ; =>    This Inner Loop Header: Depth=3
	s_add_co_i32 s79, s79, 1
	s_delay_alu instid0(SALU_CYCLE_1) | instskip(SKIP_1) | instid1(SALU_CYCLE_1)
	s_cmp_lg_u32 s79, 0x2710
	s_cselect_b32 s88, -1, 0
	s_and_b32 vcc_lo, exec_lo, s88
	s_cbranch_vccz .LBB8_4322
; %bb.4321:                             ;   in Loop: Header=BB8_4320 Depth=3
	s_mov_b32 s90, -1
	s_or_b32 s78, s78, exec_lo
	s_and_saveexec_b32 s89, s88
	s_cbranch_execz .LBB8_4319
	s_branch .LBB8_4323
.LBB8_4322:                             ;   in Loop: Header=BB8_4320 Depth=3
	s_trap 2
	ds_load_b64 v[4:5], v0
	s_and_not1_b32 s88, s88, exec_lo
	s_mov_b32 s79, 0
	s_wait_loadcnt_dscnt 0x0
	flat_load_b32 v2, v[4:5] scope:SCOPE_SYS
	s_wait_loadcnt_dscnt 0x0
	global_inv scope:SCOPE_SYS
	v_cmp_eq_u32_e32 vcc_lo, 0, v2
	s_and_b32 s89, vcc_lo, exec_lo
	s_delay_alu instid0(SALU_CYCLE_1)
	s_or_b32 s88, s88, s89
	s_mov_b32 s90, -1
	s_or_b32 s78, s78, exec_lo
	s_and_saveexec_b32 s89, s88
	s_cbranch_execz .LBB8_4319
.LBB8_4323:                             ;   in Loop: Header=BB8_4320 Depth=3
	s_sleep 1
	s_trap 2
	ds_load_b64 v[4:5], v0
	s_wait_dscnt 0x0
	s_and_not1_b32 s78, s78, exec_lo
	v_cmp_ge_u64_e32 vcc_lo, v[4:5], v[80:81]
	s_or_not1_b32 s90, vcc_lo, exec_lo
	s_branch .LBB8_4319
.LBB8_4324:                             ;   in Loop: Header=BB8_4187 Depth=2
	s_or_b32 exec_lo, exec_lo, s76
	s_and_saveexec_b32 s76, s77
	s_delay_alu instid0(SALU_CYCLE_1)
	s_xor_b32 s76, exec_lo, s76
	s_cbranch_execz .LBB8_4326
; %bb.4325:                             ;   in Loop: Header=BB8_4187 Depth=2
	ds_store_b32 v0, v111
	s_trap 2
.LBB8_4326:                             ;   in Loop: Header=BB8_4187 Depth=2
	s_or_b32 exec_lo, exec_lo, s75
	;;#ASMSTART
	s_wakeup
	;;#ASMEND
.LBB8_4327:                             ;   in Loop: Header=BB8_4187 Depth=2
	s_or_b32 exec_lo, exec_lo, s74
.LBB8_4328:                             ;   in Loop: Header=BB8_4187 Depth=2
	s_and_not1_saveexec_b32 s41, s41
	s_cbranch_execz .LBB8_4330
; %bb.4329:                             ;   in Loop: Header=BB8_4187 Depth=2
	global_wb scope:SCOPE_DEV
	s_wait_storecnt 0x0
	s_wait_loadcnt_dscnt 0x0
	global_inv scope:SCOPE_DEV
	s_barrier_signal -1
	s_barrier_wait -1
.LBB8_4330:                             ;   in Loop: Header=BB8_4187 Depth=2
	s_or_b32 exec_lo, exec_lo, s41
	s_delay_alu instid0(SALU_CYCLE_1) | instskip(SKIP_1) | instid1(SALU_CYCLE_1)
	s_or_b32 exec_lo, exec_lo, s40
	s_and_saveexec_b32 s40, s12
	s_xor_b32 s40, exec_lo, s40
	s_cbranch_execnz .LBB8_4259
.LBB8_4331:                             ;   in Loop: Header=BB8_4187 Depth=2
	s_and_not1_saveexec_b32 s13, s40
	s_cbranch_execz .LBB8_4350
.LBB8_4332:                             ;   in Loop: Header=BB8_4187 Depth=2
	s_and_saveexec_b32 s40, s3
	s_delay_alu instid0(SALU_CYCLE_1)
	s_xor_b32 s40, exec_lo, s40
	s_cbranch_execz .LBB8_4347
; %bb.4333:                             ;   in Loop: Header=BB8_4187 Depth=2
	s_and_saveexec_b32 s41, s6
	s_cbranch_execz .LBB8_4346
; %bb.4334:                             ;   in Loop: Header=BB8_4187 Depth=2
	s_mov_b32 s75, exec_lo
	s_mov_b32 s74, exec_lo
	v_mbcnt_lo_u32_b32 v2, s75, 0
	;;#ASMSTART
	s_waitcnt lgkmcnt(0) vmcnt(0)
	;;#ASMEND
	s_delay_alu instid0(VALU_DEP_1)
	v_cmpx_eq_u32_e32 0, v2
	s_cbranch_execz .LBB8_4336
; %bb.4335:                             ;   in Loop: Header=BB8_4187 Depth=2
	s_bcnt1_i32_b32 s75, s75
	s_delay_alu instid0(SALU_CYCLE_1)
	v_mov_b32_e32 v2, s75
	s_wait_storecnt 0x0
	s_wait_loadcnt_dscnt 0x0
	ds_add_u64 v0, v[2:3]
	s_trap 2
.LBB8_4336:                             ;   in Loop: Header=BB8_4187 Depth=2
	s_or_b32 exec_lo, exec_lo, s74
	s_trap 2
	ds_load_b64 v[4:5], v0
	s_wait_dscnt 0x0
	v_add_nc_u64_e32 v[80:81], v[80:81], v[84:85]
	s_mov_b32 s74, exec_lo
	s_delay_alu instid0(VALU_DEP_1)
	v_cmpx_lt_u64_e64 v[4:5], v[80:81]
	s_cbranch_execz .LBB8_4345
; %bb.4337:                             ;   in Loop: Header=BB8_4187 Depth=2
	s_mov_b32 s75, 0
	s_mov_b32 s78, 0
                                        ; implicit-def: $sgpr76
                                        ; implicit-def: $sgpr77
	s_branch .LBB8_4339
.LBB8_4338:                             ;   in Loop: Header=BB8_4339 Depth=3
	s_or_b32 exec_lo, exec_lo, s88
	s_delay_alu instid0(SALU_CYCLE_1) | instskip(NEXT) | instid1(SALU_CYCLE_1)
	s_and_b32 s79, exec_lo, s89
	s_or_b32 s75, s79, s75
	s_and_not1_b32 s76, s76, exec_lo
	s_and_b32 s79, s77, exec_lo
	s_delay_alu instid0(SALU_CYCLE_1)
	s_or_b32 s76, s76, s79
	s_and_not1_b32 exec_lo, exec_lo, s75
	s_cbranch_execz .LBB8_4343
.LBB8_4339:                             ;   Parent Loop BB8_47 Depth=1
                                        ;     Parent Loop BB8_4187 Depth=2
                                        ; =>    This Inner Loop Header: Depth=3
	s_add_co_i32 s78, s78, 1
	s_delay_alu instid0(SALU_CYCLE_1) | instskip(SKIP_1) | instid1(SALU_CYCLE_1)
	s_cmp_lg_u32 s78, 0x2710
	s_cselect_b32 s79, -1, 0
	s_and_b32 vcc_lo, exec_lo, s79
	s_cbranch_vccz .LBB8_4341
; %bb.4340:                             ;   in Loop: Header=BB8_4339 Depth=3
	s_mov_b32 s89, -1
	s_or_b32 s77, s77, exec_lo
	s_and_saveexec_b32 s88, s79
	s_cbranch_execz .LBB8_4338
	s_branch .LBB8_4342
.LBB8_4341:                             ;   in Loop: Header=BB8_4339 Depth=3
	s_trap 2
	ds_load_b64 v[4:5], v0
	s_and_not1_b32 s79, s79, exec_lo
	s_mov_b32 s78, 0
	s_wait_storecnt 0x0
	s_wait_loadcnt_dscnt 0x0
	flat_load_b32 v2, v[4:5] scope:SCOPE_SYS
	s_wait_loadcnt_dscnt 0x0
	global_inv scope:SCOPE_SYS
	v_cmp_eq_u32_e32 vcc_lo, 0, v2
	s_and_b32 s88, vcc_lo, exec_lo
	s_delay_alu instid0(SALU_CYCLE_1)
	s_or_b32 s79, s79, s88
	s_mov_b32 s89, -1
	s_or_b32 s77, s77, exec_lo
	s_and_saveexec_b32 s88, s79
	s_cbranch_execz .LBB8_4338
.LBB8_4342:                             ;   in Loop: Header=BB8_4339 Depth=3
	s_sleep 1
	s_trap 2
	ds_load_b64 v[4:5], v0
	s_wait_dscnt 0x0
	s_and_not1_b32 s77, s77, exec_lo
	v_cmp_ge_u64_e32 vcc_lo, v[4:5], v[80:81]
	s_or_not1_b32 s89, vcc_lo, exec_lo
	s_branch .LBB8_4338
.LBB8_4343:                             ;   in Loop: Header=BB8_4187 Depth=2
	s_or_b32 exec_lo, exec_lo, s75
	s_and_saveexec_b32 s75, s76
	s_delay_alu instid0(SALU_CYCLE_1)
	s_xor_b32 s75, exec_lo, s75
	s_cbranch_execz .LBB8_4345
; %bb.4344:                             ;   in Loop: Header=BB8_4187 Depth=2
	ds_store_b32 v0, v111
	s_trap 2
.LBB8_4345:                             ;   in Loop: Header=BB8_4187 Depth=2
	s_or_b32 exec_lo, exec_lo, s74
	;;#ASMSTART
	s_wakeup
	;;#ASMEND
.LBB8_4346:                             ;   in Loop: Header=BB8_4187 Depth=2
	s_or_b32 exec_lo, exec_lo, s41
.LBB8_4347:                             ;   in Loop: Header=BB8_4187 Depth=2
	s_and_not1_saveexec_b32 s40, s40
	s_cbranch_execz .LBB8_4349
; %bb.4348:                             ;   in Loop: Header=BB8_4187 Depth=2
	;;#ASMSTART
	s_waitcnt lgkmcnt(0) vmcnt(0)
	;;#ASMEND
	s_barrier_signal -1
	s_barrier_wait -1
.LBB8_4349:                             ;   in Loop: Header=BB8_4187 Depth=2
	s_or_b32 exec_lo, exec_lo, s40
.LBB8_4350:                             ;   in Loop: Header=BB8_4187 Depth=2
	s_delay_alu instid0(SALU_CYCLE_1) | instskip(SKIP_2) | instid1(VALU_DEP_1)
	s_or_b32 exec_lo, exec_lo, s13
	v_and_b32_e32 v2, 32, v30
	s_mov_b32 s13, exec_lo
	v_cmpx_ne_u32_e32 0, v2
	s_cbranch_execz .LBB8_4186
; %bb.4351:                             ;   in Loop: Header=BB8_4187 Depth=2
	v_add_nc_u64_e32 v[58:59], 2, v[58:59]
	global_wb scope:SCOPE_SYS
	s_wait_storecnt 0x0
	s_wait_loadcnt_dscnt 0x0
	flat_store_b64 v[64:65], v[58:59] scope:SCOPE_SYS
	s_branch .LBB8_4186
.LBB8_4352:                             ;   in Loop: Header=BB8_47 Depth=1
	s_or_b32 exec_lo, exec_lo, s15
.LBB8_4353:                             ;   in Loop: Header=BB8_47 Depth=1
	s_delay_alu instid0(SALU_CYCLE_1) | instskip(NEXT) | instid1(VALU_DEP_1)
	s_or_b32 exec_lo, exec_lo, s14
	v_cmp_gt_i32_e32 vcc_lo, 2, v2
	s_mov_b32 s14, exec_lo
	s_clause 0x1
	scratch_load_b64 v[18:19], off, s33 offset:256
	scratch_load_b64 v[24:25], off, s33 offset:288
	s_and_b32 s13, s14, vcc_lo
	s_wait_xcnt 0x0
	s_mov_b32 exec_lo, s13
	s_cbranch_execnz .LBB8_4354
; %bb.4466:                             ;   in Loop: Header=BB8_47 Depth=1
	s_add_pc_i64 .LBB8_46-.Lpost_addpc3
.Lpost_addpc3:
.LBB8_4354:                             ;   in Loop: Header=BB8_47 Depth=1
	v_cmp_eq_u32_e64 s18, 0, v2
	s_mov_b32 s15, 0
	s_branch .LBB8_4356
.LBB8_4355:                             ;   in Loop: Header=BB8_4356 Depth=2
	s_wait_xcnt 0x0
	s_or_b32 exec_lo, exec_lo, s13
	v_add_nc_u32_e32 v60, v91, v60
	s_mov_b32 s18, 0
	s_and_not1_b32 exec_lo, exec_lo, s15
	s_cbranch_execnz .LBB8_4356
; %bb.4468:                             ;   in Loop: Header=BB8_47 Depth=1
	s_add_pc_i64 .LBB8_45-.Lpost_addpc4
.Lpost_addpc4:
.LBB8_4356:                             ;   Parent Loop BB8_47 Depth=1
                                        ; =>  This Loop Header: Depth=2
                                        ;       Child Loop BB8_4362 Depth 3
                                        ;       Child Loop BB8_4386 Depth 3
	;; [unrolled: 1-line block ×3, first 2 shown]
	v_and_b32_e32 v2, 4, v30
	s_mov_b32 s27, exec_lo
	s_delay_alu instid0(VALU_DEP_1)
	v_cmpx_ne_u32_e32 0, v2
	s_cbranch_execz .LBB8_4378
; %bb.4357:                             ;   in Loop: Header=BB8_4356 Depth=2
	v_add_nc_u64_e32 v[8:9], 2, v[58:59]
	s_mov_b32 s40, exec_lo
	s_wait_loadcnt_dscnt 0x1
	s_delay_alu instid0(VALU_DEP_1)
	v_cmpx_lt_u64_e64 v[82:83], v[8:9]
	s_cbranch_execz .LBB8_4369
; %bb.4358:                             ;   in Loop: Header=BB8_4356 Depth=2
	v_and_b32_e32 v2, 64, v30
	s_mov_b32 s41, 0
	s_mov_b32 s77, 0
                                        ; implicit-def: $sgpr74
                                        ; implicit-def: $sgpr75
                                        ; implicit-def: $sgpr76
	s_delay_alu instid0(VALU_DEP_1)
	v_cmp_eq_u32_e32 vcc_lo, 0, v2
	s_branch .LBB8_4362
.LBB8_4359:                             ;   in Loop: Header=BB8_4362 Depth=3
	s_wait_loadcnt_dscnt 0x0
	v_cmp_ge_u64_e64 s13, v[82:83], v[8:9]
	s_or_b32 s88, s88, exec_lo
	s_or_not1_b32 s79, s13, exec_lo
.LBB8_4360:                             ;   in Loop: Header=BB8_4362 Depth=3
	s_or_b32 exec_lo, exec_lo, s90
	s_delay_alu instid0(SALU_CYCLE_1)
	s_and_not1_b32 s13, s76, exec_lo
	s_and_b32 s76, s88, exec_lo
	s_and_not1_b32 s75, s75, exec_lo
	s_and_b32 s79, s79, exec_lo
	s_or_b32 s76, s13, s76
	s_or_b32 s75, s75, s79
.LBB8_4361:                             ;   in Loop: Header=BB8_4362 Depth=3
	s_or_b32 exec_lo, exec_lo, s78
	s_delay_alu instid0(SALU_CYCLE_1) | instskip(NEXT) | instid1(SALU_CYCLE_1)
	s_and_b32 s13, exec_lo, s75
	s_or_b32 s41, s13, s41
	s_and_not1_b32 s13, s74, exec_lo
	s_and_b32 s74, s76, exec_lo
	s_delay_alu instid0(SALU_CYCLE_1)
	s_or_b32 s74, s13, s74
	s_and_not1_b32 exec_lo, exec_lo, s41
	s_cbranch_execz .LBB8_4366
.LBB8_4362:                             ;   Parent Loop BB8_47 Depth=1
                                        ;     Parent Loop BB8_4356 Depth=2
                                        ; =>    This Inner Loop Header: Depth=3
	s_sleep 1
	s_wait_loadcnt_dscnt 0x0
	flat_load_b64 v[82:83], v[64:65] scope:SCOPE_SYS
	s_or_b32 s76, s76, exec_lo
	s_or_b32 s75, s75, exec_lo
                                        ; implicit-def: $vgpr2
	s_wait_xcnt 0x0
	s_and_saveexec_b32 s78, vcc_lo
	s_cbranch_execz .LBB8_4361
; %bb.4363:                             ;   in Loop: Header=BB8_4362 Depth=3
	s_cmp_lt_i32 s77, 0x270f
	s_mov_b32 s79, -1
	s_cselect_b32 s89, -1, 0
	s_cmp_gt_i32 s77, 0x270e
	s_cbranch_scc0 .LBB8_4365
; %bb.4364:                             ;   in Loop: Header=BB8_4362 Depth=3
	s_trap 2
	ds_load_b64 v[4:5], v0
	s_and_not1_b32 s77, s89, exec_lo
	s_mov_b32 s88, 0
	s_wait_storecnt 0x0
	s_wait_loadcnt_dscnt 0x0
	flat_load_b32 v2, v[4:5] scope:SCOPE_SYS
	s_wait_loadcnt_dscnt 0x0
	global_inv scope:SCOPE_SYS
	v_cmp_eq_u32_e64 s13, 0, v2
	s_and_b32 s13, s13, exec_lo
	s_delay_alu instid0(SALU_CYCLE_1)
	s_or_b32 s89, s77, s13
	s_mov_b32 s77, 0
	s_and_saveexec_b32 s90, s89
	s_cbranch_execz .LBB8_4360
	s_branch .LBB8_4359
.LBB8_4365:                             ;   in Loop: Header=BB8_4362 Depth=3
	s_add_co_i32 s77, s77, 1
	s_mov_b32 s88, -1
                                        ; implicit-def: $vgpr2
	s_and_saveexec_b32 s90, s89
	s_cbranch_execz .LBB8_4360
	s_branch .LBB8_4359
.LBB8_4366:                             ;   in Loop: Header=BB8_4356 Depth=2
	s_or_b32 exec_lo, exec_lo, s41
	s_xor_b32 s13, s74, -1
	s_delay_alu instid0(SALU_CYCLE_1) | instskip(NEXT) | instid1(SALU_CYCLE_1)
	s_and_saveexec_b32 s41, s13
	s_xor_b32 s13, exec_lo, s41
	s_cbranch_execz .LBB8_4368
; %bb.4367:                             ;   in Loop: Header=BB8_4356 Depth=2
	v_or_b32_e32 v30, 64, v30
	s_wait_storecnt 0x0
	s_wait_loadcnt_dscnt 0x0
	ds_store_b32 v0, v2
	s_trap 2
.LBB8_4368:                             ;   in Loop: Header=BB8_4356 Depth=2
	s_or_b32 exec_lo, exec_lo, s13
.LBB8_4369:                             ;   in Loop: Header=BB8_4356 Depth=2
	s_delay_alu instid0(SALU_CYCLE_1) | instskip(SKIP_3) | instid1(VALU_DEP_1)
	s_or_b32 exec_lo, exec_lo, s40
	v_and_b32_e32 v2, 0x100, v30
	s_mov_b32 s13, -1
	;;#ASMSTART
	s_wakeup
	;;#ASMEND
                                        ; implicit-def: $vgpr10_vgpr11
	v_cmp_ne_u32_e32 vcc_lo, 0, v2
	v_and_b32_e32 v2, 7, v58
	s_and_saveexec_b32 s40, vcc_lo
	s_cbranch_execz .LBB8_4373
; %bb.4370:                             ;   in Loop: Header=BB8_4356 Depth=2
	s_delay_alu instid0(VALU_DEP_1)
	v_mad_nc_u64_u32 v[12:13], v2, 24, v[6:7]
	s_mov_b32 s41, exec_lo
                                        ; implicit-def: $vgpr10_vgpr11
	flat_load_b32 v4, v[12:13]
	s_wait_loadcnt_dscnt 0x0
	v_cmp_ne_u32_e32 vcc_lo, 1, v4
	s_wait_xcnt 0x0
	v_cmpx_eq_u32_e32 1, v4
	s_cbranch_execz .LBB8_4372
; %bb.4371:                             ;   in Loop: Header=BB8_4356 Depth=2
	flat_load_b32 v4, v[12:13] offset:4 scope:SCOPE_SYS
	s_wait_loadcnt_dscnt 0x0
	v_ashrrev_i32_e32 v5, 31, v4
	s_delay_alu instid0(VALU_DEP_1)
	v_lshrrev_b64 v[10:11], 1, v[4:5]
.LBB8_4372:                             ;   in Loop: Header=BB8_4356 Depth=2
	s_wait_xcnt 0x0
	s_or_b32 exec_lo, exec_lo, s41
	s_delay_alu instid0(SALU_CYCLE_1)
	s_or_not1_b32 s13, vcc_lo, exec_lo
.LBB8_4373:                             ;   in Loop: Header=BB8_4356 Depth=2
	s_or_b32 exec_lo, exec_lo, s40
	s_and_saveexec_b32 s40, s13
; %bb.4374:                             ;   in Loop: Header=BB8_4356 Depth=2
	v_mul_u64_e32 v[10:11], v[2:3], v[66:67]
; %bb.4375:                             ;   in Loop: Header=BB8_4356 Depth=2
	s_or_b32 exec_lo, exec_lo, s40
	v_and_b32_e32 v2, 0x2000, v30
	s_delay_alu instid0(VALU_DEP_2)
	v_lshl_add_u64 v[4:5], v[10:11], 1, v[68:69]
	s_mov_b32 s13, exec_lo
	ds_store_b64 v0, v[4:5] offset:720
	v_cmpx_ne_u32_e32 0, v2
	s_cbranch_execz .LBB8_4377
; %bb.4376:                             ;   in Loop: Header=BB8_4356 Depth=2
	ds_load_b64 v[4:5], v0 offset:872
	s_wait_dscnt 0x0
	v_add_nc_u64_e32 v[4:5], 1, v[4:5]
	ds_store_b64 v0, v[4:5] offset:872
.LBB8_4377:                             ;   in Loop: Header=BB8_4356 Depth=2
	s_or_b32 exec_lo, exec_lo, s13
	v_mov_b64_e32 v[58:59], v[8:9]
.LBB8_4378:                             ;   in Loop: Header=BB8_4356 Depth=2
	s_or_b32 exec_lo, exec_lo, s27
	s_xor_b32 s13, s18, -1
	s_delay_alu instid0(SALU_CYCLE_1) | instskip(NEXT) | instid1(SALU_CYCLE_1)
	s_and_b32 s13, exec_lo, s13
	s_or_b32 s15, s13, s15
	s_and_saveexec_b32 s13, s2
	s_cbranch_execz .LBB8_4397
; %bb.4379:                             ;   in Loop: Header=BB8_4356 Depth=2
	s_and_saveexec_b32 s18, s3
	s_delay_alu instid0(SALU_CYCLE_1)
	s_xor_b32 s18, exec_lo, s18
	s_cbranch_execz .LBB8_4394
; %bb.4380:                             ;   in Loop: Header=BB8_4356 Depth=2
	s_and_saveexec_b32 s27, s6
	s_cbranch_execz .LBB8_4393
; %bb.4381:                             ;   in Loop: Header=BB8_4356 Depth=2
	s_mov_b32 s41, exec_lo
	s_mov_b32 s40, exec_lo
	v_mbcnt_lo_u32_b32 v2, s41, 0
	global_wb scope:SCOPE_DEV
	s_wait_storecnt 0x0
	s_wait_loadcnt_dscnt 0x0
	global_inv scope:SCOPE_DEV
	v_cmpx_eq_u32_e32 0, v2
	s_cbranch_execz .LBB8_4383
; %bb.4382:                             ;   in Loop: Header=BB8_4356 Depth=2
	s_bcnt1_i32_b32 s41, s41
	s_delay_alu instid0(SALU_CYCLE_1)
	v_mov_b32_e32 v2, s41
	s_wait_loadcnt 0x0
	ds_add_u64 v0, v[2:3]
	s_trap 2
.LBB8_4383:                             ;   in Loop: Header=BB8_4356 Depth=2
	s_or_b32 exec_lo, exec_lo, s40
	s_trap 2
	ds_load_b64 v[4:5], v0
	s_wait_dscnt 0x0
	v_add_nc_u64_e32 v[80:81], v[80:81], v[84:85]
	s_mov_b32 s40, exec_lo
	s_delay_alu instid0(VALU_DEP_1)
	v_cmpx_lt_u64_e64 v[4:5], v[80:81]
	s_cbranch_execz .LBB8_4392
; %bb.4384:                             ;   in Loop: Header=BB8_4356 Depth=2
	s_mov_b32 s41, 0
	s_mov_b32 s76, 0
                                        ; implicit-def: $sgpr74
                                        ; implicit-def: $sgpr75
	s_branch .LBB8_4386
.LBB8_4385:                             ;   in Loop: Header=BB8_4386 Depth=3
	s_or_b32 exec_lo, exec_lo, s78
	s_delay_alu instid0(SALU_CYCLE_1) | instskip(NEXT) | instid1(SALU_CYCLE_1)
	s_and_b32 s77, exec_lo, s79
	s_or_b32 s41, s77, s41
	s_and_not1_b32 s74, s74, exec_lo
	s_and_b32 s77, s75, exec_lo
	s_delay_alu instid0(SALU_CYCLE_1)
	s_or_b32 s74, s74, s77
	s_and_not1_b32 exec_lo, exec_lo, s41
	s_cbranch_execz .LBB8_4390
.LBB8_4386:                             ;   Parent Loop BB8_47 Depth=1
                                        ;     Parent Loop BB8_4356 Depth=2
                                        ; =>    This Inner Loop Header: Depth=3
	s_add_co_i32 s76, s76, 1
	s_delay_alu instid0(SALU_CYCLE_1) | instskip(SKIP_1) | instid1(SALU_CYCLE_1)
	s_cmp_lg_u32 s76, 0x2710
	s_cselect_b32 s77, -1, 0
	s_and_b32 vcc_lo, exec_lo, s77
	s_cbranch_vccz .LBB8_4388
; %bb.4387:                             ;   in Loop: Header=BB8_4386 Depth=3
	s_mov_b32 s79, -1
	s_or_b32 s75, s75, exec_lo
	s_and_saveexec_b32 s78, s77
	s_cbranch_execz .LBB8_4385
	s_branch .LBB8_4389
.LBB8_4388:                             ;   in Loop: Header=BB8_4386 Depth=3
	s_trap 2
	ds_load_b64 v[4:5], v0
	s_and_not1_b32 s77, s77, exec_lo
	s_mov_b32 s76, 0
	s_wait_loadcnt_dscnt 0x0
	flat_load_b32 v2, v[4:5] scope:SCOPE_SYS
	s_wait_loadcnt_dscnt 0x0
	global_inv scope:SCOPE_SYS
	v_cmp_eq_u32_e32 vcc_lo, 0, v2
	s_and_b32 s78, vcc_lo, exec_lo
	s_delay_alu instid0(SALU_CYCLE_1)
	s_or_b32 s77, s77, s78
	s_mov_b32 s79, -1
	s_or_b32 s75, s75, exec_lo
	s_and_saveexec_b32 s78, s77
	s_cbranch_execz .LBB8_4385
.LBB8_4389:                             ;   in Loop: Header=BB8_4386 Depth=3
	s_sleep 1
	s_trap 2
	ds_load_b64 v[4:5], v0
	s_wait_dscnt 0x0
	s_and_not1_b32 s75, s75, exec_lo
	v_cmp_ge_u64_e32 vcc_lo, v[4:5], v[80:81]
	s_or_not1_b32 s79, vcc_lo, exec_lo
	s_branch .LBB8_4385
.LBB8_4390:                             ;   in Loop: Header=BB8_4356 Depth=2
	s_or_b32 exec_lo, exec_lo, s41
	s_and_saveexec_b32 s41, s74
	s_delay_alu instid0(SALU_CYCLE_1)
	s_xor_b32 s41, exec_lo, s41
	s_cbranch_execz .LBB8_4392
; %bb.4391:                             ;   in Loop: Header=BB8_4356 Depth=2
	ds_store_b32 v0, v111
	s_trap 2
.LBB8_4392:                             ;   in Loop: Header=BB8_4356 Depth=2
	s_or_b32 exec_lo, exec_lo, s40
	;;#ASMSTART
	s_wakeup
	;;#ASMEND
.LBB8_4393:                             ;   in Loop: Header=BB8_4356 Depth=2
	s_or_b32 exec_lo, exec_lo, s27
.LBB8_4394:                             ;   in Loop: Header=BB8_4356 Depth=2
	s_and_not1_saveexec_b32 s18, s18
	s_cbranch_execz .LBB8_4396
; %bb.4395:                             ;   in Loop: Header=BB8_4356 Depth=2
	global_wb scope:SCOPE_DEV
	s_wait_storecnt 0x0
	s_wait_loadcnt_dscnt 0x0
	global_inv scope:SCOPE_DEV
	s_barrier_signal -1
	s_barrier_wait -1
.LBB8_4396:                             ;   in Loop: Header=BB8_4356 Depth=2
	s_or_b32 exec_lo, exec_lo, s18
.LBB8_4397:                             ;   in Loop: Header=BB8_4356 Depth=2
	s_delay_alu instid0(SALU_CYCLE_1) | instskip(SKIP_1) | instid1(VALU_DEP_1)
	s_or_b32 exec_lo, exec_lo, s13
	v_sub_nc_u32_e32 v2, v90, v60
	v_min_i32_e32 v91, v91, v2
	s_and_saveexec_b32 s13, s12
	s_delay_alu instid0(SALU_CYCLE_1)
	s_xor_b32 s18, exec_lo, s13
	s_cbranch_execz .LBB8_4401
; %bb.4398:                             ;   in Loop: Header=BB8_4356 Depth=2
	s_trap 2
	ds_load_b32 v2, v0
	v_cmp_lt_i32_e32 vcc_lo, 0, v91
	s_wait_dscnt 0x0
	v_readfirstlane_b32 s13, v2
	v_and_b32_e32 v2, 16, v30
	s_cmp_eq_u32 s13, 0
	s_delay_alu instid0(VALU_DEP_1) | instskip(SKIP_1) | instid1(SALU_CYCLE_1)
	v_cmp_ne_u32_e64 s13, 0, v2
	s_cselect_b32 s27, -1, 0
	s_and_b32 s27, vcc_lo, s27
	s_delay_alu instid0(SALU_CYCLE_1) | instskip(NEXT) | instid1(SALU_CYCLE_1)
	s_and_b32 s27, s13, s27
	s_and_saveexec_b32 s13, s27
	s_cbranch_execz .LBB8_4400
; %bb.4399:                             ;   in Loop: Header=BB8_4356 Depth=2
	global_wb scope:SCOPE_SYS
	s_wait_loadcnt 0x0
	s_wait_storecnt 0x0
	global_inv scope:SCOPE_SYS
.LBB8_4400:                             ;   in Loop: Header=BB8_4356 Depth=2
	s_or_b32 exec_lo, exec_lo, s13
.LBB8_4401:                             ;   in Loop: Header=BB8_4356 Depth=2
	s_and_not1_saveexec_b32 s13, s18
	s_cbranch_execz .LBB8_4420
; %bb.4402:                             ;   in Loop: Header=BB8_4356 Depth=2
	s_and_saveexec_b32 s18, s3
	s_delay_alu instid0(SALU_CYCLE_1)
	s_xor_b32 s18, exec_lo, s18
	s_cbranch_execz .LBB8_4417
; %bb.4403:                             ;   in Loop: Header=BB8_4356 Depth=2
	s_and_saveexec_b32 s27, s6
	s_cbranch_execz .LBB8_4416
; %bb.4404:                             ;   in Loop: Header=BB8_4356 Depth=2
	s_mov_b32 s41, exec_lo
	s_mov_b32 s40, exec_lo
	v_mbcnt_lo_u32_b32 v2, s41, 0
	;;#ASMSTART
	s_waitcnt lgkmcnt(0) vmcnt(0)
	;;#ASMEND
	s_delay_alu instid0(VALU_DEP_1)
	v_cmpx_eq_u32_e32 0, v2
	s_cbranch_execz .LBB8_4406
; %bb.4405:                             ;   in Loop: Header=BB8_4356 Depth=2
	s_bcnt1_i32_b32 s41, s41
	s_delay_alu instid0(SALU_CYCLE_1)
	v_mov_b32_e32 v2, s41
	s_wait_storecnt 0x0
	s_wait_loadcnt_dscnt 0x0
	ds_add_u64 v0, v[2:3]
	s_trap 2
.LBB8_4406:                             ;   in Loop: Header=BB8_4356 Depth=2
	s_or_b32 exec_lo, exec_lo, s40
	s_trap 2
	ds_load_b64 v[4:5], v0
	s_wait_dscnt 0x0
	v_add_nc_u64_e32 v[80:81], v[80:81], v[84:85]
	s_mov_b32 s40, exec_lo
	s_delay_alu instid0(VALU_DEP_1)
	v_cmpx_lt_u64_e64 v[4:5], v[80:81]
	s_cbranch_execz .LBB8_4415
; %bb.4407:                             ;   in Loop: Header=BB8_4356 Depth=2
	s_mov_b32 s41, 0
	s_mov_b32 s76, 0
                                        ; implicit-def: $sgpr74
                                        ; implicit-def: $sgpr75
	s_branch .LBB8_4409
.LBB8_4408:                             ;   in Loop: Header=BB8_4409 Depth=3
	s_or_b32 exec_lo, exec_lo, s78
	s_delay_alu instid0(SALU_CYCLE_1) | instskip(NEXT) | instid1(SALU_CYCLE_1)
	s_and_b32 s77, exec_lo, s79
	s_or_b32 s41, s77, s41
	s_and_not1_b32 s74, s74, exec_lo
	s_and_b32 s77, s75, exec_lo
	s_delay_alu instid0(SALU_CYCLE_1)
	s_or_b32 s74, s74, s77
	s_and_not1_b32 exec_lo, exec_lo, s41
	s_cbranch_execz .LBB8_4413
.LBB8_4409:                             ;   Parent Loop BB8_47 Depth=1
                                        ;     Parent Loop BB8_4356 Depth=2
                                        ; =>    This Inner Loop Header: Depth=3
	s_add_co_i32 s76, s76, 1
	s_delay_alu instid0(SALU_CYCLE_1) | instskip(SKIP_1) | instid1(SALU_CYCLE_1)
	s_cmp_lg_u32 s76, 0x2710
	s_cselect_b32 s77, -1, 0
	s_and_b32 vcc_lo, exec_lo, s77
	s_cbranch_vccz .LBB8_4411
; %bb.4410:                             ;   in Loop: Header=BB8_4409 Depth=3
	s_mov_b32 s79, -1
	s_or_b32 s75, s75, exec_lo
	s_and_saveexec_b32 s78, s77
	s_cbranch_execz .LBB8_4408
	s_branch .LBB8_4412
.LBB8_4411:                             ;   in Loop: Header=BB8_4409 Depth=3
	s_trap 2
	ds_load_b64 v[4:5], v0
	s_and_not1_b32 s77, s77, exec_lo
	s_mov_b32 s76, 0
	s_wait_storecnt 0x0
	s_wait_loadcnt_dscnt 0x0
	flat_load_b32 v2, v[4:5] scope:SCOPE_SYS
	s_wait_loadcnt_dscnt 0x0
	global_inv scope:SCOPE_SYS
	v_cmp_eq_u32_e32 vcc_lo, 0, v2
	s_and_b32 s78, vcc_lo, exec_lo
	s_delay_alu instid0(SALU_CYCLE_1)
	s_or_b32 s77, s77, s78
	s_mov_b32 s79, -1
	s_or_b32 s75, s75, exec_lo
	s_and_saveexec_b32 s78, s77
	s_cbranch_execz .LBB8_4408
.LBB8_4412:                             ;   in Loop: Header=BB8_4409 Depth=3
	s_sleep 1
	s_trap 2
	ds_load_b64 v[4:5], v0
	s_wait_dscnt 0x0
	s_and_not1_b32 s75, s75, exec_lo
	v_cmp_ge_u64_e32 vcc_lo, v[4:5], v[80:81]
	s_or_not1_b32 s79, vcc_lo, exec_lo
	s_branch .LBB8_4408
.LBB8_4413:                             ;   in Loop: Header=BB8_4356 Depth=2
	s_or_b32 exec_lo, exec_lo, s41
	s_and_saveexec_b32 s41, s74
	s_delay_alu instid0(SALU_CYCLE_1)
	s_xor_b32 s41, exec_lo, s41
	s_cbranch_execz .LBB8_4415
; %bb.4414:                             ;   in Loop: Header=BB8_4356 Depth=2
	ds_store_b32 v0, v111
	s_trap 2
.LBB8_4415:                             ;   in Loop: Header=BB8_4356 Depth=2
	s_or_b32 exec_lo, exec_lo, s40
	;;#ASMSTART
	s_wakeup
	;;#ASMEND
.LBB8_4416:                             ;   in Loop: Header=BB8_4356 Depth=2
	s_or_b32 exec_lo, exec_lo, s27
.LBB8_4417:                             ;   in Loop: Header=BB8_4356 Depth=2
	s_and_not1_saveexec_b32 s18, s18
	s_cbranch_execz .LBB8_4419
; %bb.4418:                             ;   in Loop: Header=BB8_4356 Depth=2
	;;#ASMSTART
	s_waitcnt lgkmcnt(0) vmcnt(0)
	;;#ASMEND
	s_barrier_signal -1
	s_barrier_wait -1
.LBB8_4419:                             ;   in Loop: Header=BB8_4356 Depth=2
	s_or_b32 exec_lo, exec_lo, s18
.LBB8_4420:                             ;   in Loop: Header=BB8_4356 Depth=2
	s_delay_alu instid0(SALU_CYCLE_1) | instskip(SKIP_2) | instid1(VALU_DEP_1)
	s_or_b32 exec_lo, exec_lo, s13
	v_and_b32_e32 v2, 32, v30
	s_mov_b32 s13, exec_lo
	v_cmpx_ne_u32_e32 0, v2
	s_cbranch_execz .LBB8_4355
; %bb.4421:                             ;   in Loop: Header=BB8_4356 Depth=2
	v_add_nc_u64_e32 v[58:59], 2, v[58:59]
	global_wb scope:SCOPE_SYS
	s_wait_storecnt 0x0
	s_wait_loadcnt_dscnt 0x0
	flat_store_b64 v[64:65], v[58:59] scope:SCOPE_SYS
	s_branch .LBB8_4355
.LBB8_4422:
	s_or_b32 exec_lo, exec_lo, s73
	s_clause 0x1
	scratch_load_b64 v[22:23], off, s33 offset:296
	scratch_load_b32 v8, off, s33 offset:304
.LBB8_4423:
	s_wait_xcnt 0x0
	s_or_b32 exec_lo, exec_lo, s43
	v_and_b32_e32 v0, 0x800, v30
	s_mov_b32 s1, exec_lo
	s_delay_alu instid0(VALU_DEP_1)
	v_cmpx_eq_u32_e32 0, v0
	s_cbranch_execz .LBB8_4456
; %bb.4424:
	v_and_b32_e32 v0, 48, v30
	s_mov_b32 s0, exec_lo
	s_delay_alu instid0(VALU_DEP_1)
	v_cmpx_ne_u32_e32 0, v0
	s_cbranch_execz .LBB8_4426
; %bb.4425:
	s_wait_loadcnt 0x1
	flat_store_b64 v[22:23], v[58:59] offset:104
.LBB8_4426:
	s_wait_xcnt 0x0
	s_or_b32 exec_lo, exec_lo, s0
	v_and_b32_e32 v0, 0x88, v30
	s_mov_b32 s2, exec_lo
	s_delay_alu instid0(VALU_DEP_1)
	v_cmpx_eq_u32_e32 0x88, v0
	s_cbranch_execz .LBB8_4436
; %bb.4427:
	v_add_nc_u32_e32 v0, 6, v58
	s_mov_b32 s3, 0
	s_delay_alu instid0(VALU_DEP_1) | instskip(NEXT) | instid1(VALU_DEP_1)
	v_and_b32_e32 v0, 7, v0
	v_mad_nc_u64_u32 v[2:3], v0, 24, v[6:7]
	v_and_b32_e32 v0, 64, v30
	s_delay_alu instid0(VALU_DEP_1)
	v_cmp_eq_u32_e64 s0, 0, v0
	s_wait_dscnt 0x0
	flat_load_b64 v[4:5], v[2:3] offset:8 scope:SCOPE_SYS
	s_wait_loadcnt_dscnt 0x0
	v_cmp_ne_u64_e32 vcc_lo, -1, v[4:5]
	s_and_b32 s0, vcc_lo, s0
	s_wait_xcnt 0x0
	s_and_b32 exec_lo, exec_lo, s0
	s_cbranch_execz .LBB8_4436
; %bb.4428:
	s_mov_b32 s5, 0
                                        ; implicit-def: $sgpr0
                                        ; implicit-def: $sgpr4
	s_branch .LBB8_4431
.LBB8_4429:                             ;   in Loop: Header=BB8_4431 Depth=1
	flat_load_b64 v[4:5], v[2:3] offset:8 scope:SCOPE_SYS
	s_wait_loadcnt 0x0
	s_and_not1_b32 s4, s4, exec_lo
	s_wait_dscnt 0x0
	v_cmp_eq_u64_e32 vcc_lo, -1, v[4:5]
	s_or_not1_b32 s7, vcc_lo, exec_lo
.LBB8_4430:                             ;   in Loop: Header=BB8_4431 Depth=1
	s_wait_xcnt 0x0
	s_or_b32 exec_lo, exec_lo, s10
	s_delay_alu instid0(SALU_CYCLE_1) | instskip(NEXT) | instid1(SALU_CYCLE_1)
	s_and_b32 s6, exec_lo, s7
	s_or_b32 s3, s6, s3
	s_and_not1_b32 s0, s0, exec_lo
	s_and_b32 s6, s4, exec_lo
	s_delay_alu instid0(SALU_CYCLE_1)
	s_or_b32 s0, s0, s6
	s_and_not1_b32 exec_lo, exec_lo, s3
	s_cbranch_execz .LBB8_4434
.LBB8_4431:                             ; =>This Inner Loop Header: Depth=1
	s_cmp_lt_i32 s5, 0x270f
	s_cselect_b32 s6, -1, 0
	s_delay_alu instid0(SALU_CYCLE_1)
	s_and_b32 vcc_lo, exec_lo, s6
	s_cbranch_vccnz .LBB8_4433
; %bb.4432:                             ;   in Loop: Header=BB8_4431 Depth=1
	s_trap 2
	ds_load_b64 v[4:5], v0
	s_and_not1_b32 s6, s6, exec_lo
	s_mov_b32 s5, 0
	s_wait_storecnt_dscnt 0x0
	flat_load_b32 v0, v[4:5] scope:SCOPE_SYS
	s_wait_loadcnt_dscnt 0x0
	global_inv scope:SCOPE_SYS
	v_cmp_eq_u32_e32 vcc_lo, 0, v0
	s_and_b32 s7, vcc_lo, exec_lo
	s_delay_alu instid0(SALU_CYCLE_1)
	s_or_b32 s6, s6, s7
	s_mov_b32 s7, -1
	s_or_b32 s4, s4, exec_lo
	s_wait_xcnt 0x0
	s_and_saveexec_b32 s10, s6
	s_cbranch_execz .LBB8_4430
	s_branch .LBB8_4429
.LBB8_4433:                             ;   in Loop: Header=BB8_4431 Depth=1
	s_add_co_i32 s5, s5, 1
                                        ; implicit-def: $vgpr0
	s_mov_b32 s7, -1
	s_or_b32 s4, s4, exec_lo
	s_and_saveexec_b32 s10, s6
	s_cbranch_execz .LBB8_4430
	s_branch .LBB8_4429
.LBB8_4434:
	s_or_b32 exec_lo, exec_lo, s3
	s_and_saveexec_b32 s3, s0
	s_delay_alu instid0(SALU_CYCLE_1)
	s_xor_b32 s3, exec_lo, s3
	s_cbranch_execz .LBB8_4436
; %bb.4435:
	s_wait_loadcnt 0x0
	s_wait_storecnt 0x0
	ds_store_b32 v0, v0
	s_trap 2
.LBB8_4436:
	s_or_b32 exec_lo, exec_lo, s2
	v_and_b32_e32 v0, 0x2000, v30
	s_mov_b32 s0, exec_lo
	s_delay_alu instid0(VALU_DEP_1)
	v_cmpx_ne_u32_e32 0, v0
	s_cbranch_execz .LBB8_4438
; %bb.4437:
	s_trap 2
	s_wait_dscnt 0x0
	scratch_load_b64 v[4:5], off, s33 offset:308 th:TH_LOAD_LU ; 8-byte Folded Reload
	ds_load_b64 v[2:3], v0
	s_wait_loadcnt_dscnt 0x0
	flat_store_b64 v[4:5], v[2:3] offset:16
.LBB8_4438:
	s_wait_xcnt 0x0
	s_or_b32 exec_lo, exec_lo, s0
	v_cmp_ne_u32_e32 vcc_lo, 32, v1
	s_and_b32 exec_lo, exec_lo, vcc_lo
	s_cbranch_execz .LBB8_4456
; %bb.4439:
	s_mov_b32 s0, exec_lo
	s_wait_loadcnt 0x0
	v_cmpx_ne_u32_e64 v1, v8
	s_xor_b32 s0, exec_lo, s0
	s_cbranch_execz .LBB8_4454
; %bb.4440:
	v_and_b32_e32 v0, 31, v31
	s_mov_b32 s2, exec_lo
	s_delay_alu instid0(VALU_DEP_1)
	v_cmpx_eq_u32_e32 0, v0
	s_cbranch_execz .LBB8_4453
; %bb.4441:
	s_mov_b32 s4, exec_lo
	s_mov_b32 s3, exec_lo
	v_mbcnt_lo_u32_b32 v0, s4, 0
	global_wb scope:SCOPE_DEV
	s_wait_storecnt_dscnt 0x0
	global_inv scope:SCOPE_DEV
	v_cmpx_eq_u32_e32 0, v0
	s_cbranch_execz .LBB8_4443
; %bb.4442:
	s_bcnt1_i32_b32 s4, s4
	s_delay_alu instid0(SALU_CYCLE_1)
	v_dual_mov_b32 v3, 0 :: v_dual_mov_b32 v2, s4
	s_wait_loadcnt 0x0
	ds_add_u64 v0, v[2:3]
	s_trap 2
.LBB8_4443:
	s_or_b32 exec_lo, exec_lo, s3
	s_trap 2
	ds_load_b64 v[2:3], v0
	s_wait_dscnt 0x0
	v_dual_mov_b32 v1, 0 :: v_dual_lshrrev_b32 v0, 5, v1
	s_mov_b32 s3, exec_lo
	s_delay_alu instid0(VALU_DEP_1) | instskip(NEXT) | instid1(VALU_DEP_1)
	v_add_nc_u64_e32 v[0:1], v[80:81], v[0:1]
	v_cmpx_lt_u64_e64 v[2:3], v[0:1]
	s_cbranch_execz .LBB8_4452
; %bb.4444:
	s_mov_b32 s4, 0
	s_mov_b32 s7, 0
                                        ; implicit-def: $sgpr5
                                        ; implicit-def: $sgpr6
	s_branch .LBB8_4446
.LBB8_4445:                             ;   in Loop: Header=BB8_4446 Depth=1
	s_or_b32 exec_lo, exec_lo, s11
	s_delay_alu instid0(SALU_CYCLE_1) | instskip(NEXT) | instid1(SALU_CYCLE_1)
	s_and_b32 s10, exec_lo, s12
	s_or_b32 s4, s10, s4
	s_and_not1_b32 s5, s5, exec_lo
	s_and_b32 s10, s6, exec_lo
	s_delay_alu instid0(SALU_CYCLE_1)
	s_or_b32 s5, s5, s10
	s_and_not1_b32 exec_lo, exec_lo, s4
	s_cbranch_execz .LBB8_4450
.LBB8_4446:                             ; =>This Inner Loop Header: Depth=1
	s_add_co_i32 s7, s7, 1
	s_delay_alu instid0(SALU_CYCLE_1) | instskip(SKIP_1) | instid1(SALU_CYCLE_1)
	s_cmp_lg_u32 s7, 0x2710
	s_cselect_b32 s10, -1, 0
	s_and_b32 vcc_lo, exec_lo, s10
	s_cbranch_vccz .LBB8_4448
; %bb.4447:                             ;   in Loop: Header=BB8_4446 Depth=1
	s_mov_b32 s12, -1
	s_or_b32 s6, s6, exec_lo
	s_and_saveexec_b32 s11, s10
	s_cbranch_execz .LBB8_4445
	s_branch .LBB8_4449
.LBB8_4448:                             ;   in Loop: Header=BB8_4446 Depth=1
	s_trap 2
	ds_load_b64 v[2:3], v0
	s_and_not1_b32 s10, s10, exec_lo
	s_mov_b32 s7, 0
	s_wait_loadcnt_dscnt 0x0
	flat_load_b32 v2, v[2:3] scope:SCOPE_SYS
	s_wait_loadcnt_dscnt 0x0
	global_inv scope:SCOPE_SYS
	v_cmp_eq_u32_e32 vcc_lo, 0, v2
	s_and_b32 s11, vcc_lo, exec_lo
	s_delay_alu instid0(SALU_CYCLE_1)
	s_or_b32 s10, s10, s11
	s_mov_b32 s12, -1
	s_or_b32 s6, s6, exec_lo
	s_and_saveexec_b32 s11, s10
	s_cbranch_execz .LBB8_4445
.LBB8_4449:                             ;   in Loop: Header=BB8_4446 Depth=1
	s_sleep 1
	s_trap 2
	ds_load_b64 v[2:3], v0
	s_wait_dscnt 0x0
	s_and_not1_b32 s6, s6, exec_lo
	v_cmp_ge_u64_e32 vcc_lo, v[2:3], v[0:1]
	s_or_not1_b32 s12, vcc_lo, exec_lo
	s_branch .LBB8_4445
.LBB8_4450:
	s_or_b32 exec_lo, exec_lo, s4
	s_and_saveexec_b32 s4, s5
	s_delay_alu instid0(SALU_CYCLE_1)
	s_xor_b32 s4, exec_lo, s4
	s_cbranch_execz .LBB8_4452
; %bb.4451:
	v_mov_b32_e32 v0, 1
	ds_store_b32 v0, v0
	s_trap 2
.LBB8_4452:
	s_or_b32 exec_lo, exec_lo, s3
	;;#ASMSTART
	s_wakeup
	;;#ASMEND
.LBB8_4453:
	s_or_b32 exec_lo, exec_lo, s2
.LBB8_4454:
	s_and_not1_saveexec_b32 s0, s0
	s_cbranch_execz .LBB8_4456
; %bb.4455:
	global_wb scope:SCOPE_DEV
	s_wait_storecnt 0x0
	s_wait_loadcnt_dscnt 0x0
	global_inv scope:SCOPE_DEV
	s_barrier_signal -1
	s_barrier_wait -1
.LBB8_4456:
	s_or_b32 exec_lo, exec_lo, s1
.LBB8_4457:
	s_and_not1_saveexec_b32 s21, s42
	s_cbranch_execz .LBB8_4459
; %bb.4458:
	s_get_pc_i64 s[0:1]
	s_add_nc_u64 s[0:1], s[0:1], __PRETTY_FUNCTION__._ZN10PrimitivesI12hip_bfloat1613FuncPreMulSumIS0_E12FanSymmetricILi1EELi0E11ProtoSimpleILi2ELi2ELi0ELi2ELi0ELi0EELi0ELb0ELi0ELi1ELi0EEC2EiiPKiS9_PKvPvmhhhP15ncclDevWorkCollP14ncclDevWorkP2pii@rel64+4
	s_get_pc_i64 s[2:3]
	s_add_nc_u64 s[2:3], s[2:3], __assert_fail@rel64+4
	v_dual_mov_b32 v0, s0 :: v_dual_mov_b32 v1, s1
	s_swap_pc_i64 s[30:31], s[2:3]
	; divergent unreachable
.LBB8_4459:
	s_or_b32 exec_lo, exec_lo, s21
	s_clause 0x2e
	scratch_load_b32 v126, off, s33
	scratch_load_b32 v125, off, s33 offset:4
	scratch_load_b32 v124, off, s33 offset:8
	;; [unrolled: 1-line block ×46, first 2 shown]
	v_readlane_b32 s30, v127, 0
	v_readlane_b32 s31, v127, 1
	s_mov_b32 s32, s33
	s_wait_xcnt 0x0
	s_or_saveexec_b32 s0, -1
	scratch_load_b32 v127, off, s33 offset:316 ; 4-byte Folded Reload
	s_wait_xcnt 0x0
	s_mov_b32 exec_lo, s0
	s_mov_b32 s33, s94
	s_wait_loadcnt_dscnt 0x0
	s_set_pc_i64 s[30:31]
.Lfunc_end8:
	.size	_ZN12_GLOBAL__N_17runRingI12hip_bfloat1613FuncPreMulSumIS1_E11ProtoSimpleILi2ELi2ELi0ELi2ELi0ELi0EELi0ELi0ELi2ELi1EEEviiP15ncclDevWorkColl, .Lfunc_end8-_ZN12_GLOBAL__N_17runRingI12hip_bfloat1613FuncPreMulSumIS1_E11ProtoSimpleILi2ELi2ELi0ELi2ELi0ELi0EELi0ELi0ELi2ELi1EEEviiP15ncclDevWorkColl
                                        ; -- End function
	.set .L_ZN12_GLOBAL__N_17runRingI12hip_bfloat1613FuncPreMulSumIS1_E11ProtoSimpleILi2ELi2ELi0ELi2ELi0ELi0EELi0ELi0ELi2ELi1EEEviiP15ncclDevWorkColl.num_vgpr, max(128, .L__assert_fail.num_vgpr)
	.set .L_ZN12_GLOBAL__N_17runRingI12hip_bfloat1613FuncPreMulSumIS1_E11ProtoSimpleILi2ELi2ELi0ELi2ELi0ELi0EELi0ELi0ELi2ELi1EEEviiP15ncclDevWorkColl.num_agpr, max(0, .L__assert_fail.num_agpr)
	.set .L_ZN12_GLOBAL__N_17runRingI12hip_bfloat1613FuncPreMulSumIS1_E11ProtoSimpleILi2ELi2ELi0ELi2ELi0ELi0EELi0ELi0ELi2ELi1EEEviiP15ncclDevWorkColl.numbered_sgpr, max(95, .L__assert_fail.numbered_sgpr)
	.set .L_ZN12_GLOBAL__N_17runRingI12hip_bfloat1613FuncPreMulSumIS1_E11ProtoSimpleILi2ELi2ELi0ELi2ELi0ELi0EELi0ELi0ELi2ELi1EEEviiP15ncclDevWorkColl.num_named_barrier, max(0, .L__assert_fail.num_named_barrier)
	.set .L_ZN12_GLOBAL__N_17runRingI12hip_bfloat1613FuncPreMulSumIS1_E11ProtoSimpleILi2ELi2ELi0ELi2ELi0ELi0EELi0ELi0ELi2ELi1EEEviiP15ncclDevWorkColl.private_seg_size, 336+max(.L__assert_fail.private_seg_size)
	.set .L_ZN12_GLOBAL__N_17runRingI12hip_bfloat1613FuncPreMulSumIS1_E11ProtoSimpleILi2ELi2ELi0ELi2ELi0ELi0EELi0ELi0ELi2ELi1EEEviiP15ncclDevWorkColl.uses_vcc, or(1, .L__assert_fail.uses_vcc)
	.set .L_ZN12_GLOBAL__N_17runRingI12hip_bfloat1613FuncPreMulSumIS1_E11ProtoSimpleILi2ELi2ELi0ELi2ELi0ELi0EELi0ELi0ELi2ELi1EEEviiP15ncclDevWorkColl.uses_flat_scratch, or(1, .L__assert_fail.uses_flat_scratch)
	.set .L_ZN12_GLOBAL__N_17runRingI12hip_bfloat1613FuncPreMulSumIS1_E11ProtoSimpleILi2ELi2ELi0ELi2ELi0ELi0EELi0ELi0ELi2ELi1EEEviiP15ncclDevWorkColl.has_dyn_sized_stack, or(0, .L__assert_fail.has_dyn_sized_stack)
	.set .L_ZN12_GLOBAL__N_17runRingI12hip_bfloat1613FuncPreMulSumIS1_E11ProtoSimpleILi2ELi2ELi0ELi2ELi0ELi0EELi0ELi0ELi2ELi1EEEviiP15ncclDevWorkColl.has_recursion, or(1, .L__assert_fail.has_recursion)
	.set .L_ZN12_GLOBAL__N_17runRingI12hip_bfloat1613FuncPreMulSumIS1_E11ProtoSimpleILi2ELi2ELi0ELi2ELi0ELi0EELi0ELi0ELi2ELi1EEEviiP15ncclDevWorkColl.has_indirect_call, or(0, .L__assert_fail.has_indirect_call)
	.section	.AMDGPU.csdata,"",@progbits
; Function info:
; codeLenInByte = 138544
; TotalNumSgprs: 97
; NumVgprs: 128
; ScratchSize: 400
; MemoryBound: 1
	.text
	.p2align	2                               ; -- Begin function _Z54ncclDevFunc_AllReduce_RING_SIMPLE_PreMulSum_bf16_0_1_2v
	.type	_Z54ncclDevFunc_AllReduce_RING_SIMPLE_PreMulSum_bf16_0_1_2v,@function
_Z54ncclDevFunc_AllReduce_RING_SIMPLE_PreMulSum_bf16_0_1_2v: ; @_Z54ncclDevFunc_AllReduce_RING_SIMPLE_PreMulSum_bf16_0_1_2v
; %bb.0:
	s_wait_loadcnt_dscnt 0x0
	s_wait_kmcnt 0x0
	s_mov_b32 s0, s33
	s_mov_b32 s33, s32
	s_or_saveexec_b32 s1, -1
	scratch_store_b32 off, v42, s33 offset:12 ; 4-byte Folded Spill
	s_wait_xcnt 0x0
	s_mov_b32 exec_lo, s1
	v_writelane_b32 v42, s0, 7
	s_add_co_i32 s32, s32, 32
	s_clause 0x2
	scratch_store_b32 off, v40, s33 offset:8
	; meta instruction
	scratch_store_b32 off, v41, s33 offset:4
	; meta instruction
	scratch_store_b32 off, v127, s33
	v_writelane_b32 v42, s34, 0
	v_writelane_b32 v42, s35, 1
	;; [unrolled: 1-line block ×7, first 2 shown]
	s_trap 2
	ds_load_b32 v0, v0
	s_wait_xcnt 0x2
	v_mov_b32_e32 v40, v31
	s_mov_b32 s95, s12
	s_mov_b64 s[34:35], s[8:9]
	s_mov_b32 s2, exec_lo
	s_wait_xcnt 0x1
	v_and_b32_e32 v41, 0x3ff, v40
	s_wait_dscnt 0x0
	s_wait_xcnt 0x0
	s_delay_alu instid0(VALU_DEP_1)
	v_cmpx_lt_i32_e64 v41, v0
	s_cbranch_execz .LBB9_5
; %bb.1:
	s_load_b32 s0, s[34:35], 0x0
	s_bfe_u32 s1, ttmp6, 0x4000c
	s_and_b32 s3, ttmp6, 15
	s_add_co_i32 s1, s1, 1
	s_getreg_b32 s4, hwreg(HW_REG_IB_STS2, 6, 4)
	s_mul_i32 s1, ttmp9, s1
	v_mov_b32_e32 v2, v41
	s_add_co_i32 s3, s3, s1
	s_cmp_eq_u32 s4, 0
                                        ; implicit-def: $vgpr3
	s_cselect_b32 s1, ttmp9, s3
	s_mov_b32 s3, 0
	s_wait_kmcnt 0x0
	s_cmp_lt_u32 s1, s0
	s_mov_b32 s1, 0
	s_cselect_b32 s0, 12, 18
	s_delay_alu instid0(SALU_CYCLE_1)
	s_add_nc_u64 s[4:5], s[34:35], s[0:1]
	s_load_u16 s0, s[4:5], 0x0
	s_trap 2
	ds_load_b32 v1, v0
	s_wait_dscnt 0x0
	s_wait_kmcnt 0x0
	v_mul_lo_u32 v1, v1, s0
	s_branch .LBB9_3
.LBB9_2:                                ;   in Loop: Header=BB9_3 Depth=1
	s_or_b32 exec_lo, exec_lo, s4
	v_dual_add_nc_u32 v2, s0, v2 :: v_dual_add_nc_u32 v3, v3, v1
	s_delay_alu instid0(VALU_DEP_1) | instskip(SKIP_1) | instid1(SALU_CYCLE_1)
	v_cmp_ge_i32_e32 vcc_lo, v2, v0
	s_or_b32 s3, vcc_lo, s3
	s_and_not1_b32 exec_lo, exec_lo, s3
	s_cbranch_execz .LBB9_5
.LBB9_3:                                ; =>This Inner Loop Header: Depth=1
	ds_load_b32 v4, v3
	s_mov_b32 s4, exec_lo
	s_wait_dscnt 0x0
	v_and_b32_e32 v4, 0x1000000, v4
	s_delay_alu instid0(VALU_DEP_1)
	v_cmpx_ne_u32_e32 0, v4
	s_cbranch_execz .LBB9_2
; %bb.4:                                ;   in Loop: Header=BB9_3 Depth=1
	ds_load_b64 v[4:5], v3 offset:104
	s_wait_dscnt 0x0
	flat_load_u16 v4, v[4:5]
	s_wait_xcnt 0x0
	v_mov_b32_e32 v5, s1
	s_wait_loadcnt_dscnt 0x0
	v_and_b32_e32 v4, 0xffff, v4
	ds_store_b64 v3, v[4:5] offset:104
	s_branch .LBB9_2
.LBB9_5:
	s_or_b32 exec_lo, exec_lo, s2
	s_wait_storecnt_dscnt 0x0
	s_barrier_signal -1
	s_barrier_wait -1
	s_trap 2
	ds_load_b32 v0, v0
	s_wait_dscnt 0x0
	v_cmp_gt_i32_e32 vcc_lo, 1, v0
	s_cbranch_vccnz .LBB9_13
; %bb.6:
	s_mov_b32 vcc_hi, 0
	s_get_pc_i64 s[36:37]
	s_add_nc_u64 s[36:37], s[36:37], _ZN12_GLOBAL__N_17runRingI12hip_bfloat1613FuncPreMulSumIS1_E11ProtoSimpleILi2ELi2ELi0ELi2ELi0ELi0EELi0ELi0ELi2ELi1EEEviiP15ncclDevWorkColl@rel64+4
	s_branch .LBB9_8
.LBB9_7:                                ;   in Loop: Header=BB9_8 Depth=1
	s_or_b32 exec_lo, exec_lo, s38
	s_trap 2
	ds_load_b32 v0, v0
	s_add_co_i32 vcc_hi, vcc_hi, 1
	s_wait_dscnt 0x0
	v_cmp_lt_i32_e32 vcc_lo, vcc_hi, v0
	s_cbranch_vccz .LBB9_13
.LBB9_8:                                ; =>This Inner Loop Header: Depth=1
	s_trap 2
	ds_load_b32 v0, v0
	s_cmp_eq_u32 vcc_hi, 0
	s_cbranch_scc1 .LBB9_11
; %bb.9:                                ;   in Loop: Header=BB9_8 Depth=1
	s_trap 2
	s_wait_dscnt 0x0
	ds_load_b32 v1, v0
	s_wait_dscnt 0x0
	v_xor_b32_e32 v1, v1, v0
	s_delay_alu instid0(VALU_DEP_1) | instskip(NEXT) | instid1(VALU_DEP_1)
	v_and_b32_e32 v1, 0xff0000, v1
	v_cmp_eq_u32_e32 vcc_lo, 0, v1
	s_cbranch_vccnz .LBB9_11
; %bb.10:                               ;   in Loop: Header=BB9_8 Depth=1
	s_barrier_signal -1
	s_barrier_wait -1
	ds_load_b32 v0, v0
.LBB9_11:                               ;   in Loop: Header=BB9_8 Depth=1
	s_wait_dscnt 0x0
	v_lshrrev_b32_e32 v0, 11, v0
	s_mov_b32 s38, exec_lo
	s_delay_alu instid0(VALU_DEP_1) | instskip(NEXT) | instid1(VALU_DEP_1)
	v_and_b32_e32 v1, 0x1fe0, v0
	v_cmpx_lt_u32_e64 v41, v1
	s_cbranch_execz .LBB9_7
; %bb.12:                               ;   in Loop: Header=BB9_8 Depth=1
	s_mov_b64 s[0:1], src_shared_base
	v_dual_mov_b32 v31, v40 :: v_dual_mov_b32 v0, v41
	v_mov_b32_e32 v3, s1
	s_mov_b64 s[8:9], s[34:35]
	s_mov_b32 s12, s95
	s_swap_pc_i64 s[30:31], s[36:37]
	s_branch .LBB9_7
.LBB9_13:
	s_clause 0x2
	scratch_load_b32 v127, off, s33
	scratch_load_b32 v41, off, s33 offset:4
	scratch_load_b32 v40, off, s33 offset:8
	v_readlane_b32 s30, v42, 5
	v_readlane_b32 s31, v42, 6
	;; [unrolled: 1-line block ×7, first 2 shown]
	s_mov_b32 s32, s33
	v_readlane_b32 s0, v42, 7
	s_wait_xcnt 0x0
	s_or_saveexec_b32 s1, -1
	scratch_load_b32 v42, off, s33 offset:12 ; 4-byte Folded Reload
	s_wait_xcnt 0x0
	s_mov_b32 exec_lo, s1
	s_mov_b32 s33, s0
	s_wait_loadcnt 0x0
	s_set_pc_i64 s[30:31]
.Lfunc_end9:
	.size	_Z54ncclDevFunc_AllReduce_RING_SIMPLE_PreMulSum_bf16_0_1_2v, .Lfunc_end9-_Z54ncclDevFunc_AllReduce_RING_SIMPLE_PreMulSum_bf16_0_1_2v
                                        ; -- End function
	.set .L_Z54ncclDevFunc_AllReduce_RING_SIMPLE_PreMulSum_bf16_0_1_2v.num_vgpr, max(128, .L_ZN12_GLOBAL__N_17runRingI12hip_bfloat1613FuncPreMulSumIS1_E11ProtoSimpleILi2ELi2ELi0ELi2ELi0ELi0EELi0ELi0ELi2ELi1EEEviiP15ncclDevWorkColl.num_vgpr)
	.set .L_Z54ncclDevFunc_AllReduce_RING_SIMPLE_PreMulSum_bf16_0_1_2v.num_agpr, max(0, .L_ZN12_GLOBAL__N_17runRingI12hip_bfloat1613FuncPreMulSumIS1_E11ProtoSimpleILi2ELi2ELi0ELi2ELi0ELi0EELi0ELi0ELi2ELi1EEEviiP15ncclDevWorkColl.num_agpr)
	.set .L_Z54ncclDevFunc_AllReduce_RING_SIMPLE_PreMulSum_bf16_0_1_2v.numbered_sgpr, max(96, .L_ZN12_GLOBAL__N_17runRingI12hip_bfloat1613FuncPreMulSumIS1_E11ProtoSimpleILi2ELi2ELi0ELi2ELi0ELi0EELi0ELi0ELi2ELi1EEEviiP15ncclDevWorkColl.numbered_sgpr)
	.set .L_Z54ncclDevFunc_AllReduce_RING_SIMPLE_PreMulSum_bf16_0_1_2v.num_named_barrier, max(0, .L_ZN12_GLOBAL__N_17runRingI12hip_bfloat1613FuncPreMulSumIS1_E11ProtoSimpleILi2ELi2ELi0ELi2ELi0ELi0EELi0ELi0ELi2ELi1EEEviiP15ncclDevWorkColl.num_named_barrier)
	.set .L_Z54ncclDevFunc_AllReduce_RING_SIMPLE_PreMulSum_bf16_0_1_2v.private_seg_size, 32+max(.L_ZN12_GLOBAL__N_17runRingI12hip_bfloat1613FuncPreMulSumIS1_E11ProtoSimpleILi2ELi2ELi0ELi2ELi0ELi0EELi0ELi0ELi2ELi1EEEviiP15ncclDevWorkColl.private_seg_size)
	.set .L_Z54ncclDevFunc_AllReduce_RING_SIMPLE_PreMulSum_bf16_0_1_2v.uses_vcc, or(1, .L_ZN12_GLOBAL__N_17runRingI12hip_bfloat1613FuncPreMulSumIS1_E11ProtoSimpleILi2ELi2ELi0ELi2ELi0ELi0EELi0ELi0ELi2ELi1EEEviiP15ncclDevWorkColl.uses_vcc)
	.set .L_Z54ncclDevFunc_AllReduce_RING_SIMPLE_PreMulSum_bf16_0_1_2v.uses_flat_scratch, or(1, .L_ZN12_GLOBAL__N_17runRingI12hip_bfloat1613FuncPreMulSumIS1_E11ProtoSimpleILi2ELi2ELi0ELi2ELi0ELi0EELi0ELi0ELi2ELi1EEEviiP15ncclDevWorkColl.uses_flat_scratch)
	.set .L_Z54ncclDevFunc_AllReduce_RING_SIMPLE_PreMulSum_bf16_0_1_2v.has_dyn_sized_stack, or(0, .L_ZN12_GLOBAL__N_17runRingI12hip_bfloat1613FuncPreMulSumIS1_E11ProtoSimpleILi2ELi2ELi0ELi2ELi0ELi0EELi0ELi0ELi2ELi1EEEviiP15ncclDevWorkColl.has_dyn_sized_stack)
	.set .L_Z54ncclDevFunc_AllReduce_RING_SIMPLE_PreMulSum_bf16_0_1_2v.has_recursion, or(1, .L_ZN12_GLOBAL__N_17runRingI12hip_bfloat1613FuncPreMulSumIS1_E11ProtoSimpleILi2ELi2ELi0ELi2ELi0ELi0EELi0ELi0ELi2ELi1EEEviiP15ncclDevWorkColl.has_recursion)
	.set .L_Z54ncclDevFunc_AllReduce_RING_SIMPLE_PreMulSum_bf16_0_1_2v.has_indirect_call, or(0, .L_ZN12_GLOBAL__N_17runRingI12hip_bfloat1613FuncPreMulSumIS1_E11ProtoSimpleILi2ELi2ELi0ELi2ELi0ELi0EELi0ELi0ELi2ELi1EEEviiP15ncclDevWorkColl.has_indirect_call)
	.section	.AMDGPU.csdata,"",@progbits
; Function info:
; codeLenInByte = 852
; TotalNumSgprs: 98
; NumVgprs: 128
; ScratchSize: 432
; MemoryBound: 0
	.text
	.p2align	2                               ; -- Begin function _ZN12_GLOBAL__N_17runRingI12hip_bfloat1613FuncPreMulSumIS1_E11ProtoSimpleILi2ELi2ELi0ELi4ELi0ELi0EELi0ELi0ELi4ELi0EEEviiP15ncclDevWorkColl
	.type	_ZN12_GLOBAL__N_17runRingI12hip_bfloat1613FuncPreMulSumIS1_E11ProtoSimpleILi2ELi2ELi0ELi4ELi0ELi0EELi0ELi0ELi4ELi0EEEviiP15ncclDevWorkColl,@function
_ZN12_GLOBAL__N_17runRingI12hip_bfloat1613FuncPreMulSumIS1_E11ProtoSimpleILi2ELi2ELi0ELi4ELi0ELi0EELi0ELi0ELi4ELi0EEEviiP15ncclDevWorkColl: ; @_ZN12_GLOBAL__N_17runRingI12hip_bfloat1613FuncPreMulSumIS1_E11ProtoSimpleILi2ELi2ELi0ELi4ELi0ELi0EELi0ELi0ELi4ELi0EEEviiP15ncclDevWorkColl
; %bb.0:
	s_wait_loadcnt_dscnt 0x0
	s_wait_kmcnt 0x0
	s_mov_b32 s79, s33
	s_mov_b32 s33, s32
	s_or_saveexec_b32 s0, -1
	scratch_store_b32 off, v127, s33 offset:300 ; 4-byte Folded Spill
	s_wait_xcnt 0x0
	s_mov_b32 exec_lo, s0
	s_addk_co_i32 s32, 0x140
	s_clause 0x2e
	scratch_store_b32 off, v40, s33 offset:184
	; meta instruction
	scratch_store_b32 off, v41, s33 offset:180
	; meta instruction
	;; [unrolled: 2-line block ×46, first 2 shown]
	scratch_store_b32 off, v126, s33
	v_writelane_b32 v127, s30, 0
	v_writelane_b32 v127, s31, 1
	v_mov_b32_e32 v19, v1
	s_trap 2
	flat_load_b32 v1, v[2:3]
	ds_load_b32 v4, v0
	s_mov_b32 s0, exec_lo
                                        ; implicit-def: $vgpr14_vgpr15
                                        ; implicit-def: $vgpr8_vgpr9
                                        ; kill: killed $vgpr8_vgpr9
                                        ; implicit-def: $vgpr20_vgpr21
	s_wait_dscnt 0x0
	v_readfirstlane_b32 s16, v4
	s_wait_loadcnt 0x0
	v_and_b32_e32 v6, 0xff, v1
	s_wait_xcnt 0x0
	s_delay_alu instid0(VALU_DEP_1)
	v_cmpx_ne_u32_e64 v4, v6
	s_xor_b32 s0, exec_lo, s0
	s_cbranch_execz .LBB10_6
; %bb.1:
	v_bfe_u32 v5, v1, 8, 8
	v_not_b32_e32 v1, v6
	s_mov_b32 s1, exec_lo
                                        ; implicit-def: $vgpr14_vgpr15
                                        ; implicit-def: $vgpr6_vgpr7
                                        ; kill: killed $vgpr6_vgpr7
                                        ; implicit-def: $vgpr20_vgpr21
	s_delay_alu instid0(VALU_DEP_2)
	v_cmpx_ne_u32_e64 v4, v5
	s_xor_b32 s1, exec_lo, s1
	s_cbranch_execz .LBB10_3
; %bb.2:
	s_clause 0x1
	flat_load_b128 v[6:9], v[2:3] offset:72
	flat_load_b64 v[10:11], v[2:3] offset:96
	v_add_nc_u32_e32 v1, v4, v1
                                        ; implicit-def: $vgpr5
	s_wait_loadcnt_dscnt 0x101
	s_delay_alu instid0(VALU_DEP_1) | instskip(SKIP_3) | instid1(VALU_DEP_3)
	v_mad_nc_u64_u32 v[6:7], v8, v1, v[6:7]
	s_wait_loadcnt_dscnt 0x0
	v_lshrrev_b64 v[14:15], 13, v[10:11]
	v_mov_b64_e32 v[20:21], v[8:9]
	v_mad_u32 v4, v9, v1, v7
	v_ashrrev_i32_e32 v1, 31, v1
	s_delay_alu instid0(VALU_DEP_1)
	v_mad_u32 v7, v8, v1, v4
                                        ; implicit-def: $vgpr1
	scratch_store_b64 off, v[6:7], s33 offset:248 ; 8-byte Folded Spill
.LBB10_3:
	s_wait_xcnt 0x0
	s_and_not1_saveexec_b32 s1, s1
	s_cbranch_execz .LBB10_5
; %bb.4:
	s_clause 0x1
	flat_load_b128 v[6:9], v[2:3] offset:72
	flat_load_b128 v[20:23], v[2:3] offset:88
	s_wait_loadcnt_dscnt 0x0
	v_dual_add_nc_u32 v1, v5, v1 :: v_dual_lshrrev_b32 v14, 2, v23
	s_delay_alu instid0(VALU_DEP_1) | instskip(NEXT) | instid1(VALU_DEP_1)
	v_mad_nc_u64_u32 v[6:7], v8, v1, v[6:7]
	v_mad_u32 v4, v9, v1, v7
	v_ashrrev_i32_e32 v1, 31, v1
	s_delay_alu instid0(VALU_DEP_1)
	v_mad_u32 v7, v8, v1, v4
	scratch_store_b64 off, v[6:7], s33 offset:248 ; 8-byte Folded Spill
.LBB10_5:
	s_wait_xcnt 0x0
	s_or_b32 exec_lo, exec_lo, s1
.LBB10_6:
	s_and_not1_saveexec_b32 s0, s0
	s_cbranch_execz .LBB10_8
; %bb.7:
	s_clause 0x1
	flat_load_b64 v[4:5], v[2:3] offset:96
	flat_load_b64 v[20:21], v[2:3] offset:72
	s_wait_loadcnt_dscnt 0x101
	v_lshlrev_b64_e32 v[14:15], 8, v[4:5]
	v_mov_b64_e32 v[4:5], 0
	scratch_store_b64 off, v[4:5], s33 offset:248 ; 8-byte Folded Spill
.LBB10_8:
	s_wait_xcnt 0x0
	s_or_b32 exec_lo, exec_lo, s0
	s_trap 2
	ds_load_b64 v[4:5], v0
	s_mov_b32 s1, 0
	s_mov_b32 s2, exec_lo
	s_wait_dscnt 0x0
	v_cmp_ne_u32_e32 vcc_lo, -1, v4
	v_cndmask_b32_e64 v4, 0, 1, vcc_lo
	v_cmp_ne_u32_e32 vcc_lo, -1, v5
	s_delay_alu instid0(VALU_DEP_2) | instskip(NEXT) | instid1(VALU_DEP_1)
	v_add_co_ci_u32_e64 v5, null, 0, v4, vcc_lo
	v_lshlrev_b32_e32 v1, 1, v5
	s_delay_alu instid0(VALU_DEP_1)
	v_cmpx_le_u32_e64 v1, v19
	s_xor_b32 s42, exec_lo, s2
	s_cbranch_execz .LBB10_2968
; %bb.9:
	s_clause 0x3
	flat_load_b128 v[10:13], v[2:3] offset:16
	flat_load_b64 v[16:17], v[2:3] offset:104
	flat_load_u16 v7, v[2:3] offset:8
	flat_load_b32 v6, v[2:3] offset:4
	s_trap 2
	s_load_b32 s0, s[8:9], 0x0
	s_bfe_u32 s2, ttmp6, 0x4000c
	s_and_b32 s3, ttmp6, 15
	s_add_co_i32 s2, s2, 1
	s_getreg_b32 s4, hwreg(HW_REG_IB_STS2, 6, 4)
	s_mul_i32 s2, ttmp9, s2
	v_dual_mov_b32 v1, 0 :: v_dual_mov_b32 v30, 4
	s_add_co_i32 s3, s3, s2
	s_cmp_eq_u32 s4, 0
	ds_load_b32 v8, v0
	s_cselect_b32 s2, ttmp9, s3
	s_wait_kmcnt 0x0
	s_cmp_lt_u32 s2, s0
	s_cselect_b32 s0, 12, 18
	s_delay_alu instid0(SALU_CYCLE_1)
	s_add_nc_u64 s[0:1], s[8:9], s[0:1]
	global_load_u16 v1, v1, s[0:1]
	s_wait_xcnt 0x0
	s_mov_b32 s1, exec_lo
	s_wait_dscnt 0x0
	v_readfirstlane_b32 s6, v8
	v_cmpx_ge_u32_e64 v0, v4
	s_cbranch_execz .LBB10_19
; %bb.10:
	v_cmp_ge_u32_e64 s0, v0, v5
                                        ; implicit-def: $vgpr30
	s_and_saveexec_b32 s2, s0
	s_delay_alu instid0(SALU_CYCLE_1)
	s_xor_b32 s0, exec_lo, s2
	s_cbranch_execz .LBB10_16
; %bb.11:
	v_cndmask_b32_e64 v8, 0, 1, vcc_lo
	s_mov_b32 s2, exec_lo
	s_delay_alu instid0(VALU_DEP_1) | instskip(NEXT) | instid1(VALU_DEP_1)
	v_sub_nc_u32_e32 v8, v19, v8
	v_cmpx_ge_u32_e64 v0, v8
	s_xor_b32 s2, exec_lo, s2
; %bb.12:
                                        ; implicit-def: $vgpr5
; %bb.13:
	s_delay_alu instid0(SALU_CYCLE_1)
	s_or_saveexec_b32 s2, s2
	v_mov_b32_e32 v30, 16
	s_xor_b32 exec_lo, exec_lo, s2
; %bb.14:
	v_sub_nc_u32_e32 v5, v19, v5
	s_delay_alu instid0(VALU_DEP_1)
	v_cmp_lt_i32_e32 vcc_lo, v0, v5
	v_cndmask_b32_e64 v30, 32, 0, vcc_lo
; %bb.15:
	s_or_b32 exec_lo, exec_lo, s2
.LBB10_16:
	s_and_not1_saveexec_b32 s0, s0
; %bb.17:
	v_mov_b32_e32 v30, 8
; %bb.18:
	s_or_b32 exec_lo, exec_lo, s0
.LBB10_19:
	s_delay_alu instid0(SALU_CYCLE_1) | instskip(NEXT) | instid1(VALU_DEP_1)
	s_or_b32 exec_lo, exec_lo, s1
	v_and_b32_e32 v5, 36, v30
	s_delay_alu instid0(VALU_DEP_1)
	v_cmp_ne_u32_e32 vcc_lo, 0, v5
	v_mov_b32_e32 v5, -1
	s_and_saveexec_b32 s0, vcc_lo
	s_cbranch_execz .LBB10_21
; %bb.20:
	s_trap 2
	ds_load_b32 v5, v0
.LBB10_21:
	s_or_b32 exec_lo, exec_lo, s0
	v_and_b32_e32 v8, 24, v30
	s_mov_b32 s1, exec_lo
	s_delay_alu instid0(VALU_DEP_1)
	v_cmpx_ne_u32_e32 0, v8
	s_cbranch_execz .LBB10_23
; %bb.22:
	s_trap 2
	s_wait_dscnt 0x0
	ds_load_b32 v5, v0
.LBB10_23:
	s_or_b32 exec_lo, exec_lo, s1
	s_wait_loadcnt 0x1
	v_lshrrev_b64 v[8:9], 31, v[6:7]
	v_mov_b64_e32 v[22:23], 0
	v_mov_b64_e32 v[6:7], 0
                                        ; implicit-def: $vgpr34
                                        ; implicit-def: $vgpr116_vgpr117
                                        ; implicit-def: $vgpr36_vgpr37
                                        ; implicit-def: $vgpr50_vgpr51
                                        ; implicit-def: $vgpr32_vgpr33
	s_delay_alu instid0(VALU_DEP_3)
	v_and_b32_e32 v15, 3, v8
                                        ; implicit-def: $vgpr8_vgpr9
                                        ; kill: killed $vgpr8_vgpr9
	s_and_saveexec_b32 s0, vcc_lo
	s_cbranch_execz .LBB10_33
; %bb.24:
	s_trap 2
	ds_load_b64 v[6:7], v0
	v_and_b32_e32 v8, 0xffff, v15
	s_wait_dscnt 0x0
	v_readfirstlane_b32 s2, v6
	v_readfirstlane_b32 s3, v7
	flat_load_b64 v[6:7], v5, s[2:3] scale_offset
	s_wait_loadcnt_dscnt 0x0
	v_mad_nc_u64_u32 v[8:9], 0xa8, v8, v[6:7]
	flat_load_b32 v6, v[8:9] offset:640
	s_wait_loadcnt_dscnt 0x0
	v_cmp_eq_u32_e32 vcc_lo, 1, v6
                                        ; implicit-def: $vgpr6_vgpr7
                                        ; kill: killed $vgpr6_vgpr7
	s_wait_xcnt 0x0
	s_and_saveexec_b32 s1, vcc_lo
	s_cbranch_execz .LBB10_26
; %bb.25:
	flat_load_b64 v[22:23], v[8:9] offset:648
	v_or_b32_e32 v30, 0x2000, v30
	s_wait_loadcnt_dscnt 0x0
	flat_load_b64 v[6:7], v[22:23]
	s_trap 2
	scratch_store_b64 off, v[22:23], s33 offset:292 ; 8-byte Folded Spill
	s_wait_loadcnt_dscnt 0x0
	ds_store_b64 v0, v[6:7]
	flat_load_b64 v[6:7], v[22:23] offset:8
	s_wait_loadcnt_dscnt 0x0
	ds_store_b64 v0, v[6:7]
	flat_load_b64 v[6:7], v[22:23] offset:16
	s_wait_loadcnt_dscnt 0x0
	ds_store_b64 v0, v[6:7]
.LBB10_26:
	s_wait_xcnt 0x0
	s_or_b32 exec_lo, exec_lo, s1
	flat_load_b64 v[6:7], v[8:9] offset:608
	s_mov_b32 s1, exec_lo
                                        ; implicit-def: $vgpr32_vgpr33
	s_wait_loadcnt_dscnt 0x0
	v_add_nc_u64_e32 v[116:117], 3, v[6:7]
	v_and_b32_e32 v6, 32, v30
	s_delay_alu instid0(VALU_DEP_2) | instskip(SKIP_1) | instid1(VALU_DEP_2)
	v_and_b32_e32 v116, -4, v116
	s_wait_xcnt 0x0
	v_cmpx_ne_u32_e32 0, v6
	s_cbranch_execz .LBB10_28
; %bb.27:
	flat_load_b64 v[32:33], v[8:9] offset:560
	global_wb scope:SCOPE_SYS
	s_wait_storecnt 0x0
	s_wait_xcnt 0x0
	s_wait_loadcnt_dscnt 0x0
	flat_store_b64 v[32:33], v[116:117] scope:SCOPE_SYS
.LBB10_28:
	s_wait_xcnt 0x0
	s_or_b32 exec_lo, exec_lo, s1
	v_add_nc_u64_e32 v[22:23], 0x1f8, v[8:9]
	v_mov_b64_e32 v[6:7], 0
	v_and_b32_e32 v18, 4, v30
	s_mov_b32 s1, exec_lo
                                        ; implicit-def: $vgpr34
                                        ; implicit-def: $vgpr36_vgpr37
                                        ; implicit-def: $vgpr50_vgpr51
	s_delay_alu instid0(VALU_DEP_1)
	v_cmpx_ne_u32_e32 0, v18
	s_cbranch_execz .LBB10_32
; %bb.29:
	v_and_b32_e32 v6, 0x800, v30
	s_mov_b32 s2, exec_lo
	s_delay_alu instid0(VALU_DEP_1)
	v_cmpx_eq_u32_e32 0, v6
	s_cbranch_execz .LBB10_31
; %bb.30:
	s_trap 2
	ds_store_b64 v0, v[22:23]
.LBB10_31:
	s_or_b32 exec_lo, exec_lo, s2
	flat_load_b64 v[32:33], v[8:9] offset:552
	s_wait_loadcnt_dscnt 0x0
	flat_load_b64 v[50:51], v[32:33] scope:SCOPE_SYS
	s_clause 0x2
	flat_load_b32 v18, v[8:9] offset:576
	flat_load_b64 v[6:7], v[8:9] offset:600
	flat_load_b64 v[36:37], v[8:9] offset:520
	s_wait_xcnt 0x0
	v_or_b32_e32 v8, 0x100, v30
	s_wait_loadcnt_dscnt 0x202
	v_ashrrev_i32_e32 v34, 1, v18
	s_wait_loadcnt_dscnt 0x101
	v_cmp_eq_u64_e32 vcc_lo, 0, v[6:7]
	v_cndmask_b32_e32 v30, v8, v30, vcc_lo
.LBB10_32:
	s_or_b32 exec_lo, exec_lo, s1
.LBB10_33:
	s_delay_alu instid0(SALU_CYCLE_1) | instskip(NEXT) | instid1(VALU_DEP_1)
	s_or_b32 exec_lo, exec_lo, s0
	v_and_b32_e32 v8, 24, v30
	s_mov_b32 s0, exec_lo
                                        ; implicit-def: $vgpr38_vgpr39
	s_delay_alu instid0(VALU_DEP_1)
	v_cmpx_ne_u32_e32 0, v8
	s_cbranch_execz .LBB10_41
; %bb.34:
	s_trap 2
	ds_load_b64 v[6:7], v0
	s_mov_b32 s1, exec_lo
                                        ; implicit-def: $vgpr38_vgpr39
	s_wait_dscnt 0x0
	v_readfirstlane_b32 s2, v6
	v_readfirstlane_b32 s3, v7
	flat_load_b64 v[6:7], v5, s[2:3] scale_offset
	s_wait_xcnt 0x0
	v_and_b32_e32 v5, 0xffff, v15
	s_wait_loadcnt_dscnt 0x0
	s_delay_alu instid0(VALU_DEP_1)
	v_mad_nc_u64_u32 v[22:23], 0xa8, v5, v[6:7]
	v_or_b32_e32 v5, 0x100, v30
	flat_load_b128 v[6:9], v[22:23] offset:96
	s_wait_loadcnt_dscnt 0x0
	v_cmp_eq_u64_e32 vcc_lo, 0, v[6:7]
	v_cndmask_b32_e32 v30, v5, v30, vcc_lo
	s_delay_alu instid0(VALU_DEP_1) | instskip(SKIP_1) | instid1(VALU_DEP_1)
	v_and_b32_e32 v5, 16, v30
	s_wait_xcnt 0x0
	v_cmpx_ne_u32_e32 0, v5
	s_cbranch_execz .LBB10_36
; %bb.35:
	s_clause 0x2
	flat_load_b64 v[32:33], v[22:23] offset:48
	flat_load_b64 v[38:39], v[22:23] offset:120
	;; [unrolled: 1-line block ×3, first 2 shown]
.LBB10_36:
	s_wait_xcnt 0x0
	s_or_b32 exec_lo, exec_lo, s1
	v_add_nc_u64_e32 v[116:117], 3, v[8:9]
	v_and_b32_e32 v5, 8, v30
	s_mov_b32 s1, exec_lo
	s_delay_alu instid0(VALU_DEP_2) | instskip(NEXT) | instid1(VALU_DEP_2)
	v_and_b32_e32 v116, -4, v116
	v_cmpx_ne_u32_e32 0, v5
	s_cbranch_execz .LBB10_40
; %bb.37:
	v_and_b32_e32 v5, 0x800, v30
	s_mov_b32 s2, exec_lo
	s_delay_alu instid0(VALU_DEP_1)
	v_cmpx_eq_u32_e32 0, v5
	s_cbranch_execz .LBB10_39
; %bb.38:
	s_trap 2
	ds_store_b64 v0, v[22:23]
.LBB10_39:
	s_or_b32 exec_lo, exec_lo, s2
	s_wait_loadcnt_dscnt 0x202
	flat_load_b64 v[32:33], v[22:23] offset:56
	s_wait_loadcnt_dscnt 0x0
	flat_load_b64 v[50:51], v[32:33] scope:SCOPE_SYS
	s_clause 0x1
	flat_load_b32 v5, v[22:23] offset:72
	flat_load_b64 v[36:37], v[22:23] offset:16
	s_wait_loadcnt_dscnt 0x101
	v_ashrrev_i32_e32 v34, 1, v5
.LBB10_40:
	s_wait_xcnt 0x0
	s_or_b32 exec_lo, exec_lo, s1
.LBB10_41:
	s_delay_alu instid0(SALU_CYCLE_1)
	s_or_b32 exec_lo, exec_lo, s0
	v_cmp_eq_u32_e64 s0, 0, v0
	s_and_saveexec_b32 s1, s0
	s_cbranch_execz .LBB10_43
; %bb.42:
	flat_load_b64 v[8:9], v[2:3] offset:32
	ds_store_2addr_b64 v0, v[12:13], v[10:11] offset1:1
	s_trap 2
	s_wait_loadcnt_dscnt 0x1
	ds_store_b64 v0, v[8:9]
	ds_store_b64 v0, v[16:17]
.LBB10_43:
	s_wait_xcnt 0x0
	s_or_b32 exec_lo, exec_lo, s1
	v_mov_b64_e32 v[48:49], 0
	s_wait_loadcnt 0x0
	v_and_b32_e32 v8, 0xffff, v1
	s_mov_b32 s43, exec_lo
	v_cmpx_lt_i64_e32 0, v[20:21]
	s_cbranch_execz .LBB10_2934
; %bb.44:
	flat_load_b32 v1, v[2:3] offset:4
	s_wait_xcnt 0x0
	v_and_b32_e32 v2, 0x1fffff00, v14
	s_wait_dscnt 0x1
	v_dual_mov_b32 v3, 0 :: v_dual_bitop2_b32 v5, 31, v31 bitop3:0x40
	s_ashr_i32 s17, s16, 31
	v_dual_ashrrev_i32 v35, 31, v34 :: v_dual_lshrrev_b32 v52, 5, v19
	s_delay_alu instid0(VALU_DEP_2)
	v_mul_u64_e32 v[46:47], s[16:17], v[2:3]
	s_ashr_i32 s7, s6, 31
	s_clause 0x1
	scratch_store_b64 off, v[22:23], s33 offset:280
	scratch_store_b32 off, v8, s33 offset:288
	v_cmp_ne_u32_e64 s3, v19, v8
	s_wait_xcnt 0x0
	v_dual_mov_b32 v89, 1 :: v_dual_lshlrev_b32 v8, 1, v19
	s_lshr_b32 s7, s7, 29
	v_dual_mov_b32 v71, v3 :: v_dual_lshlrev_b32 v70, 9, v52
	s_add_co_i32 s13, s6, s7
	s_add_co_i32 s44, s16, s16
	s_not_b32 s12, s16
	v_and_b32_e32 v82, 0x3fc0, v8
	s_ashr_i32 s14, s13, 4
	s_cmp_gt_i32 s16, 0
	v_dual_mov_b32 v97, v3 :: v_dual_add_nc_u32 v98, 0xfffffe00, v70
	s_cselect_b32 s12, s12, -1
	s_ashr_i32 s13, s13, 31
	v_subrev_nc_u32_e32 v100, 64, v82
	s_lshr_b32 s13, s13, 28
	v_dual_lshrrev_b32 v10, 5, v0 :: v_dual_bitop2_b32 v9, 31, v0 bitop3:0x40
	s_add_co_i32 s24, s12, s44
	s_add_co_i32 s14, s14, s13
	s_ashr_i32 s25, s24, 31
	s_ashr_i32 s45, s14, 4
	s_cmp_gt_i32 s16, 2
	v_ashrrev_i32_e32 v101, 31, v100
	v_cmp_eq_u32_e64 s6, 0, v5
	v_dual_lshlrev_b32 v5, 4, v9 :: v_dual_mov_b32 v69, v3
	s_cselect_b32 s46, -1, 0
	s_add_co_i32 s13, s16, 1
	v_cmp_ge_u32_e32 vcc_lo, v0, v19
	v_cmp_eq_u64_e64 s4, 0, v[38:39]
	v_cmp_ne_u64_e64 s5, 0, v[38:39]
	v_mov_b64_e32 v[40:41], 0
	v_mov_b64_e32 v[48:49], 0
	v_add_nc_u64_e32 v[102:103], 64, v[100:101]
	v_cmp_eq_u32_e64 s1, 32, v19
	v_cmp_ne_u32_e64 s2, 32, v19
	v_dual_mov_b32 v90, 0x90 :: v_dual_mov_b32 v53, v3
	v_dual_mov_b32 v91, 0x88 :: v_dual_lshlrev_b32 v68, 12, v52
	v_cmp_eq_u32_e64 s7, 0, v9
	v_cmp_lt_u32_e64 s10, v9, v4
	v_dual_mov_b32 v81, v3 :: v_dual_lshlrev_b32 v80, 10, v52
	v_mov_b32_e32 v83, v3
	v_cmp_le_u32_e64 s11, v9, v4
	v_dual_mov_b32 v9, v3 :: v_dual_lshlrev_b32 v86, 11, v52
	v_mov_b32_e32 v87, v3
	v_lshl_or_b32 v8, v10, 11, v5
	v_lshl_or_b32 v96, v10, 12, v5
	s_mov_b32 s19, 0
	s_mov_b64 s[20:21], 0xffffffff
	s_add_nc_u64 s[22:23], s[16:17], -1
	s_mov_b32 s59, 0
	s_clause 0x3
	scratch_store_b64 off, v[2:3], s33 offset:204
	scratch_store_b32 off, v31, s33 offset:276
	scratch_store_b32 off, v19, s33 offset:272
	scratch_store_b64 off, v[8:9], s33 offset:212
	s_trap 2
	s_clause 0x1
	scratch_store_b128 off, v[20:23], s33 offset:256
	scratch_store_b64 off, v[46:47], s33 offset:228
	s_wait_loadcnt_dscnt 0x0
	v_dual_ashrrev_i32 v99, 31, v98 :: v_dual_bitop2_b32 v1, 1, v1 bitop3:0x40
	s_delay_alu instid0(VALU_DEP_1)
	v_cmp_eq_u32_e64 s12, 1, v1
	s_xor_b32 s47, s12, -1
	s_cmp_ge_i32 s13, s16
	s_cselect_b32 s14, s16, 0
	s_add_co_i32 s56, s16, -2
	s_sub_co_i32 s28, s13, s14
	s_xor_b32 s57, vcc_lo, -1
	s_ashr_i32 s26, s17, 31
	s_sub_co_i32 s58, 0, s16
	s_ashr_i32 s29, s28, 31
	s_branch .LBB10_47
.LBB10_45:                              ;   in Loop: Header=BB10_47 Depth=1
	s_or_b32 exec_lo, exec_lo, s15
.LBB10_46:                              ;   in Loop: Header=BB10_47 Depth=1
	s_delay_alu instid0(SALU_CYCLE_1) | instskip(SKIP_4) | instid1(VALU_DEP_1)
	s_or_b32 exec_lo, exec_lo, s14
	scratch_load_b128 v[20:23], off, s33 offset:256 ; 16-byte Folded Reload
	s_wait_loadcnt 0x1
	v_add_nc_u64_e32 v[40:41], v[40:41], v[46:47]
	s_wait_loadcnt 0x0
	v_cmp_ge_i64_e32 vcc_lo, v[40:41], v[20:21]
	s_or_b32 s59, vcc_lo, s59
	s_wait_xcnt 0x0
	s_and_not1_b32 exec_lo, exec_lo, s59
	s_cbranch_execz .LBB10_2933
.LBB10_47:                              ; =>This Loop Header: Depth=1
                                        ;     Child Loop BB10_57 Depth 2
                                        ;       Child Loop BB10_65 Depth 3
                                        ;       Child Loop BB10_89 Depth 3
	;; [unrolled: 1-line block ×9, first 2 shown]
                                        ;     Child Loop BB10_555 Depth 2
                                        ;       Child Loop BB10_561 Depth 3
                                        ;       Child Loop BB10_585 Depth 3
	;; [unrolled: 1-line block ×3, first 2 shown]
                                        ;     Child Loop BB10_629 Depth 2
                                        ;       Child Loop BB10_632 Depth 3
                                        ;         Child Loop BB10_640 Depth 4
                                        ;         Child Loop BB10_668 Depth 4
	;; [unrolled: 1-line block ×9, first 2 shown]
                                        ;       Child Loop BB10_1232 Depth 3
                                        ;         Child Loop BB10_1238 Depth 4
                                        ;         Child Loop BB10_1266 Depth 4
	;; [unrolled: 1-line block ×3, first 2 shown]
                                        ;     Child Loop BB10_1307 Depth 2
                                        ;       Child Loop BB10_1315 Depth 3
                                        ;       Child Loop BB10_1343 Depth 3
	;; [unrolled: 1-line block ×5, first 2 shown]
                                        ;         Child Loop BB10_1715 Depth 4
                                        ;       Child Loop BB10_1723 Depth 3
                                        ;       Child Loop BB10_1855 Depth 3
                                        ;         Child Loop BB10_1864 Depth 4
                                        ;       Child Loop BB10_1877 Depth 3
                                        ;       Child Loop BB10_2138 Depth 3
	;; [unrolled: 1-line block ×6, first 2 shown]
                                        ;     Child Loop BB10_2396 Depth 2
                                        ;       Child Loop BB10_2402 Depth 3
                                        ;       Child Loop BB10_2430 Depth 3
	;; [unrolled: 1-line block ×3, first 2 shown]
                                        ;     Child Loop BB10_2471 Depth 2
                                        ;       Child Loop BB10_2474 Depth 3
                                        ;         Child Loop BB10_2482 Depth 4
                                        ;         Child Loop BB10_2510 Depth 4
	;; [unrolled: 1-line block ×5, first 2 shown]
                                        ;           Child Loop BB10_2562 Depth 5
                                        ;         Child Loop BB10_2569 Depth 4
                                        ;         Child Loop BB10_2574 Depth 4
                                        ;           Child Loop BB10_2575 Depth 5
                                        ;         Child Loop BB10_2587 Depth 4
                                        ;         Child Loop BB10_2592 Depth 4
	;; [unrolled: 1-line block ×6, first 2 shown]
                                        ;       Child Loop BB10_2651 Depth 3
                                        ;         Child Loop BB10_2657 Depth 4
                                        ;         Child Loop BB10_2685 Depth 4
	;; [unrolled: 1-line block ×3, first 2 shown]
                                        ;     Child Loop BB10_2729 Depth 2
                                        ;       Child Loop BB10_2737 Depth 3
                                        ;       Child Loop BB10_2761 Depth 3
	;; [unrolled: 1-line block ×9, first 2 shown]
                                        ;     Child Loop BB10_2867 Depth 2
                                        ;       Child Loop BB10_2873 Depth 3
                                        ;       Child Loop BB10_2897 Depth 3
	;; [unrolled: 1-line block ×3, first 2 shown]
	v_sub_nc_u64_e32 v[4:5], v[20:21], v[40:41]
	s_mov_b32 s40, exec_lo
	scratch_store_b64 off, v[4:5], s33 offset:196 ; 8-byte Folded Spill
	s_wait_xcnt 0x0
	v_cmpx_lt_i64_e64 v[4:5], v[46:47]
	s_cbranch_execz .LBB10_53
; %bb.48:                               ;   in Loop: Header=BB10_47 Depth=1
	scratch_load_b64 v[4:5], off, s33 offset:196 ; 8-byte Folded Reload
                                        ; implicit-def: $vgpr10_vgpr11
	s_mov_b32 s13, exec_lo
	s_wait_loadcnt 0x0
	v_add_nc_u64_e32 v[8:9], s[22:23], v[4:5]
	s_delay_alu instid0(VALU_DEP_1) | instskip(SKIP_1) | instid1(VALU_DEP_1)
	v_dual_mov_b32 v4, v3 :: v_dual_bitop2_b32 v5, s17, v9 bitop3:0x54
	s_wait_xcnt 0x0
	v_cmpx_ne_u64_e32 0, v[4:5]
	s_xor_b32 s41, exec_lo, s13
	s_cbranch_execz .LBB10_50
; %bb.49:                               ;   in Loop: Header=BB10_47 Depth=1
	s_mov_b32 s27, s26
	v_dual_mov_b32 v13, v3 :: v_dual_ashrrev_i32 v4, 31, v9
	s_add_nc_u64 s[14:15], s[16:17], s[26:27]
	v_mov_b32_e32 v17, v3
	s_xor_b64 s[14:15], s[14:15], s[26:27]
	s_delay_alu instid0(VALU_DEP_2) | instskip(SKIP_3) | instid1(VALU_DEP_1)
	v_mov_b32_e32 v5, v4
	s_cvt_f32_u32 s13, s14
	s_cvt_f32_u32 s18, s15
	s_sub_nc_u64 s[62:63], 0, s[14:15]
	v_add_nc_u64_e32 v[8:9], v[8:9], v[4:5]
	s_delay_alu instid0(SALU_CYCLE_1) | instskip(NEXT) | instid1(SALU_CYCLE_3)
	s_fmamk_f32 s13, s18, 0x4f800000, s13
	v_s_rcp_f32 s13, s13
	s_delay_alu instid0(VALU_DEP_1) | instskip(NEXT) | instid1(VALU_DEP_2)
	v_xor_b32_e32 v2, v8, v4
	v_xor_b32_e32 v12, v9, v4
	;; [unrolled: 1-line block ×3, first 2 shown]
	s_delay_alu instid0(TRANS32_DEP_1) | instskip(NEXT) | instid1(SALU_CYCLE_3)
	s_mul_f32 s13, s13, 0x5f7ffffc
	s_mul_f32 s18, s13, 0x2f800000
	s_delay_alu instid0(SALU_CYCLE_3) | instskip(NEXT) | instid1(SALU_CYCLE_3)
	s_trunc_f32 s18, s18
	s_fmamk_f32 s13, s18, 0xcf800000, s13
	s_cvt_u32_f32 s61, s18
	s_delay_alu instid0(SALU_CYCLE_2) | instskip(NEXT) | instid1(SALU_CYCLE_3)
	s_cvt_u32_f32 s60, s13
	s_mul_u64 s[72:73], s[62:63], s[60:61]
	s_delay_alu instid0(SALU_CYCLE_1)
	s_mul_hi_u32 s75, s60, s73
	s_mul_i32 s74, s60, s73
	s_mul_hi_u32 s18, s60, s72
	s_mul_i32 s27, s61, s72
	s_add_nc_u64 s[74:75], s[18:19], s[74:75]
	s_mul_hi_u32 s13, s61, s72
	s_mul_hi_u32 s76, s61, s73
	s_add_co_u32 s18, s74, s27
	s_add_co_ci_u32 s18, s75, s13
	s_mul_i32 s72, s61, s73
	s_add_co_ci_u32 s73, s76, 0
	s_delay_alu instid0(SALU_CYCLE_1) | instskip(NEXT) | instid1(SALU_CYCLE_1)
	s_add_nc_u64 s[72:73], s[18:19], s[72:73]
	s_add_co_u32 s60, s60, s72
	s_cselect_b32 s13, -1, 0
	s_delay_alu instid0(SALU_CYCLE_1) | instskip(SKIP_1) | instid1(SALU_CYCLE_1)
	s_cmp_lg_u32 s13, 0
	s_add_co_ci_u32 s61, s61, s73
	s_mul_u64 s[62:63], s[62:63], s[60:61]
	s_delay_alu instid0(SALU_CYCLE_1)
	s_mul_hi_u32 s73, s60, s63
	s_mul_i32 s72, s60, s63
	s_mul_hi_u32 s18, s60, s62
	s_mul_i32 s27, s61, s62
	s_add_nc_u64 s[72:73], s[18:19], s[72:73]
	s_mul_hi_u32 s13, s61, s62
	s_mul_hi_u32 s74, s61, s63
	s_add_co_u32 s18, s72, s27
	s_add_co_ci_u32 s18, s73, s13
	s_mul_i32 s62, s61, s63
	s_add_co_ci_u32 s63, s74, 0
	s_delay_alu instid0(SALU_CYCLE_1) | instskip(NEXT) | instid1(SALU_CYCLE_1)
	s_add_nc_u64 s[62:63], s[18:19], s[62:63]
	s_add_co_u32 s60, s60, s62
	s_cselect_b32 s13, -1, 0
	v_mul_hi_u32 v16, v2, s60
	s_cmp_lg_u32 s13, 0
	s_add_co_ci_u32 s18, s61, s63
	s_and_b64 s[62:63], s[60:61], s[20:21]
	v_mul_u64_e32 v[10:11], s[18:19], v[2:3]
	v_mul_u64_e32 v[8:9], s[62:63], v[12:13]
	;; [unrolled: 1-line block ×3, first 2 shown]
	s_delay_alu instid0(VALU_DEP_3) | instskip(NEXT) | instid1(VALU_DEP_1)
	v_add_nc_u64_e32 v[10:11], v[16:17], v[10:11]
	v_add_co_u32 v1, vcc_lo, v10, v8
	s_delay_alu instid0(VALU_DEP_2) | instskip(NEXT) | instid1(VALU_DEP_4)
	v_add_co_ci_u32_e32 v16, vcc_lo, v11, v9, vcc_lo
	v_add_co_ci_u32_e32 v15, vcc_lo, 0, v15, vcc_lo
	s_delay_alu instid0(VALU_DEP_1) | instskip(NEXT) | instid1(VALU_DEP_1)
	v_add_nc_u64_e32 v[8:9], v[16:17], v[14:15]
	v_mul_u64_e32 v[10:11], s[14:15], v[8:9]
	s_delay_alu instid0(VALU_DEP_1) | instskip(NEXT) | instid1(VALU_DEP_2)
	v_sub_nc_u32_e32 v1, v12, v11
	v_sub_co_u32 v2, vcc_lo, v2, v10
	s_delay_alu instid0(VALU_DEP_1) | instskip(NEXT) | instid1(VALU_DEP_3)
	v_sub_co_ci_u32_e64 v14, null, v12, v11, vcc_lo
	v_subrev_co_ci_u32_e64 v1, null, s15, v1, vcc_lo
	s_delay_alu instid0(VALU_DEP_3) | instskip(SKIP_1) | instid1(VALU_DEP_3)
	v_sub_co_u32 v5, s13, v2, s14
	v_add_nc_u64_e32 v[12:13], 1, v[8:9]
	v_subrev_co_ci_u32_e64 v1, null, 0, v1, s13
	s_delay_alu instid0(VALU_DEP_3) | instskip(SKIP_1) | instid1(VALU_DEP_3)
	v_cmp_le_u32_e32 vcc_lo, s14, v5
	v_cndmask_b32_e64 v5, 0, -1, vcc_lo
	v_cmp_le_u32_e32 vcc_lo, s15, v1
	v_cndmask_b32_e64 v10, 0, -1, vcc_lo
	;; [unrolled: 2-line block ×4, first 2 shown]
	v_cmp_eq_u32_e32 vcc_lo, s15, v1
	v_cndmask_b32_e32 v1, v10, v5, vcc_lo
	v_cmp_eq_u32_e32 vcc_lo, s15, v14
	v_add_nc_u64_e32 v[10:11], 2, v[8:9]
	v_cndmask_b32_e32 v2, v15, v2, vcc_lo
	s_delay_alu instid0(VALU_DEP_4) | instskip(NEXT) | instid1(VALU_DEP_2)
	v_cmp_ne_u32_e32 vcc_lo, 0, v1
	v_cmp_ne_u32_e64 s13, 0, v2
	s_delay_alu instid0(VALU_DEP_4) | instskip(NEXT) | instid1(VALU_DEP_1)
	v_dual_cndmask_b32 v1, v13, v11 :: v_dual_cndmask_b32 v2, v12, v10
	v_dual_cndmask_b32 v1, v9, v1, s13 :: v_dual_cndmask_b32 v2, v8, v2, s13
	s_delay_alu instid0(VALU_DEP_1) | instskip(NEXT) | instid1(VALU_DEP_2)
	v_dual_mov_b32 v5, v4 :: v_dual_bitop2_b32 v9, v1, v4 bitop3:0x14
	v_xor_b32_e32 v8, v2, v4
	s_delay_alu instid0(VALU_DEP_1)
	v_sub_nc_u64_e32 v[10:11], v[8:9], v[4:5]
                                        ; implicit-def: $vgpr8_vgpr9
.LBB10_50:                              ;   in Loop: Header=BB10_47 Depth=1
	s_and_not1_saveexec_b32 s13, s41
	s_cbranch_execz .LBB10_52
; %bb.51:                               ;   in Loop: Header=BB10_47 Depth=1
	v_cvt_f32_u32_e32 v1, s16
	s_delay_alu instid0(VALU_DEP_1) | instskip(SKIP_1) | instid1(TRANS32_DEP_1)
	v_rcp_iflag_f32_e32 v1, v1
	v_nop
	v_mul_f32_e32 v1, 0x4f7ffffe, v1
	s_delay_alu instid0(VALU_DEP_1) | instskip(NEXT) | instid1(VALU_DEP_1)
	v_cvt_u32_f32_e32 v1, v1
	v_mul_lo_u32 v2, s58, v1
	s_delay_alu instid0(VALU_DEP_1) | instskip(NEXT) | instid1(VALU_DEP_1)
	v_mul_hi_u32 v2, v1, v2
	v_add_nc_u32_e32 v1, v1, v2
	s_delay_alu instid0(VALU_DEP_1) | instskip(NEXT) | instid1(VALU_DEP_1)
	v_mul_hi_u32 v1, v8, v1
	v_mul_lo_u32 v2, v1, s16
	s_delay_alu instid0(VALU_DEP_1) | instskip(NEXT) | instid1(VALU_DEP_1)
	v_dual_add_nc_u32 v4, 1, v1 :: v_dual_sub_nc_u32 v2, v8, v2
	v_subrev_nc_u32_e32 v5, s16, v2
	v_cmp_le_u32_e32 vcc_lo, s16, v2
	s_delay_alu instid0(VALU_DEP_2) | instskip(NEXT) | instid1(VALU_DEP_1)
	v_dual_cndmask_b32 v2, v2, v5 :: v_dual_cndmask_b32 v1, v1, v4
	v_cmp_le_u32_e32 vcc_lo, s16, v2
	s_delay_alu instid0(VALU_DEP_2) | instskip(NEXT) | instid1(VALU_DEP_1)
	v_add_nc_u32_e32 v4, 1, v1
	v_cndmask_b32_e32 v2, v1, v4, vcc_lo
	s_delay_alu instid0(VALU_DEP_1)
	v_mov_b64_e32 v[10:11], v[2:3]
.LBB10_52:                              ;   in Loop: Header=BB10_47 Depth=1
	s_or_b32 exec_lo, exec_lo, s13
	s_delay_alu instid0(VALU_DEP_1) | instskip(NEXT) | instid1(VALU_DEP_1)
	v_add_nc_u64_e32 v[4:5], 7, v[10:11]
	v_and_b32_e32 v4, -8, v4
	scratch_store_b64 off, v[4:5], s33 offset:204 ; 8-byte Folded Spill
.LBB10_53:                              ;   in Loop: Header=BB10_47 Depth=1
	s_wait_xcnt 0x0
	s_or_b32 exec_lo, exec_lo, s40
	s_clause 0x2
	scratch_load_b64 v[8:9], off, s33 offset:204
	scratch_load_b64 v[4:5], off, s33 offset:196
	scratch_store_b64 off, v[40:41], s33 offset:220
	v_mov_b32_e32 v14, 0
	s_wait_loadcnt 0x1
	v_mul_u64_e32 v[118:119], s[24:25], v[8:9]
	s_wait_loadcnt 0x0
	s_delay_alu instid0(VALU_DEP_1) | instskip(NEXT) | instid1(VALU_DEP_1)
	v_sub_nc_u64_e32 v[4:5], v[4:5], v[118:119]
	v_min_i64 v[4:5], v[8:9], v[4:5]
	s_clause 0x1
	scratch_load_b64 v[8:9], off, s33 offset:248
	scratch_load_b64 v[10:11], off, s33 offset:220
	v_max_i32_e32 v46, 0, v4
	v_cmp_lt_i32_e32 vcc_lo, 0, v4
	s_delay_alu instid0(VALU_DEP_2) | instskip(SKIP_1) | instid1(VALU_DEP_1)
	v_add_nc_u32_e32 v1, 31, v46
	s_and_b32 s13, s57, vcc_lo
	v_lshrrev_b32_e32 v1, 1, v1
	s_delay_alu instid0(VALU_DEP_1) | instskip(NEXT) | instid1(VALU_DEP_1)
	v_and_b32_e32 v2, 0x3ffffff0, v1
	v_dual_mov_b32 v1, 0 :: v_dual_max_i32 v12, s45, v2
	s_wait_loadcnt 0x0
	v_add_nc_u64_e32 v[8:9], v[10:11], v[8:9]
	scratch_store_b64 off, v[8:9], s33 offset:188 ; 8-byte Folded Spill
	s_wait_xcnt 0x0
	s_and_saveexec_b32 s14, s13
	s_cbranch_execz .LBB10_551
; %bb.54:                               ;   in Loop: Header=BB10_47 Depth=1
	v_mov_b32_e32 v14, 0
	s_mov_b32 s27, 1
	s_mov_b32 s18, -1
	s_mov_b32 s15, 0
	scratch_store_b64 off, v[118:119], s33 offset:240 ; 8-byte Folded Spill
	s_branch .LBB10_57
.LBB10_55:                              ;   in Loop: Header=BB10_57 Depth=2
	s_wait_xcnt 0x0
	s_or_b32 exec_lo, exec_lo, s40
	v_add_nc_u64_e32 v[116:117], 2, v[116:117]
	global_wb scope:SCOPE_SYS
	s_wait_storecnt 0x0
	s_wait_loadcnt_dscnt 0x0
	flat_store_b64 v[32:33], v[116:117] scope:SCOPE_SYS
.LBB10_56:                              ;   in Loop: Header=BB10_57 Depth=2
	s_wait_xcnt 0x0
	s_or_b32 exec_lo, exec_lo, s13
	v_dual_mov_b32 v1, s27 :: v_dual_add_nc_u32 v14, v12, v14
	s_xor_b32 s13, s18, -1
	s_mov_b32 s18, 0
	s_mov_b32 s27, 2
	s_delay_alu instid0(VALU_DEP_1) | instskip(SKIP_1) | instid1(SALU_CYCLE_1)
	v_cmp_ge_i32_e32 vcc_lo, v14, v46
	s_or_b32 s13, s13, vcc_lo
	s_and_b32 s13, exec_lo, s13
	s_delay_alu instid0(SALU_CYCLE_1) | instskip(NEXT) | instid1(SALU_CYCLE_1)
	s_or_b32 s15, s13, s15
	s_and_not1_b32 exec_lo, exec_lo, s15
	s_cbranch_execz .LBB10_550
.LBB10_57:                              ;   Parent Loop BB10_47 Depth=1
                                        ; =>  This Loop Header: Depth=2
                                        ;       Child Loop BB10_65 Depth 3
                                        ;       Child Loop BB10_89 Depth 3
                                        ;       Child Loop BB10_110 Depth 3
                                        ;       Child Loop BB10_137 Depth 3
                                        ;       Child Loop BB10_398 Depth 3
                                        ;       Child Loop BB10_436 Depth 3
                                        ;       Child Loop BB10_505 Depth 3
                                        ;       Child Loop BB10_517 Depth 3
                                        ;       Child Loop BB10_536 Depth 3
	s_wait_xcnt 0x0
	s_and_saveexec_b32 s13, s0
	s_cbranch_execz .LBB10_59
; %bb.58:                               ;   in Loop: Header=BB10_57 Depth=2
	s_trap 2
	scratch_load_b64 v[8:9], off, s33 offset:188 ; 8-byte Folded Reload
	ds_load_b64 v[4:5], v0
	v_ashrrev_i32_e32 v15, 31, v14
	s_wait_loadcnt_dscnt 0x0
	v_lshl_add_u64 v[4:5], v[8:9], 1, v[4:5]
	s_delay_alu instid0(VALU_DEP_1) | instskip(NEXT) | instid1(VALU_DEP_1)
	v_lshl_add_u64 v[4:5], v[118:119], 1, v[4:5]
	v_lshl_add_u64 v[4:5], v[14:15], 1, v[4:5]
	ds_store_b64 v0, v[4:5]
	v_mov_b64_e32 v[4:5], 0
	ds_store_b64 v0, v[4:5]
.LBB10_59:                              ;   in Loop: Header=BB10_57 Depth=2
	s_wait_xcnt 0x0
	s_or_b32 exec_lo, exec_lo, s13
	v_sub_nc_u32_e32 v1, v46, v14
	v_and_b32_e32 v2, 8, v30
	s_mov_b32 s40, exec_lo
	s_delay_alu instid0(VALU_DEP_2) | instskip(NEXT) | instid1(VALU_DEP_2)
	v_min_i32_e32 v12, v12, v1
	v_cmpx_ne_u32_e32 0, v2
	s_cbranch_execz .LBB10_81
; %bb.60:                               ;   in Loop: Header=BB10_57 Depth=2
	s_wait_loadcnt_dscnt 0x1
	v_add_nc_u64_e32 v[4:5], 8, v[50:51]
	v_add_nc_u64_e32 v[8:9], 2, v[116:117]
	s_mov_b32 s41, exec_lo
	s_delay_alu instid0(VALU_DEP_1)
	v_cmpx_lt_u64_e64 v[4:5], v[8:9]
	s_cbranch_execz .LBB10_72
; %bb.61:                               ;   in Loop: Header=BB10_57 Depth=2
	v_and_b32_e32 v1, 64, v30
	s_mov_b32 s60, 0
	s_mov_b32 s72, 0
                                        ; implicit-def: $sgpr61
                                        ; implicit-def: $sgpr62
                                        ; implicit-def: $sgpr63
	s_delay_alu instid0(VALU_DEP_1)
	v_cmp_eq_u32_e32 vcc_lo, 0, v1
	s_branch .LBB10_65
.LBB10_62:                              ;   in Loop: Header=BB10_65 Depth=3
	s_wait_loadcnt_dscnt 0x0
	v_add_nc_u64_e32 v[4:5], 8, v[50:51]
	s_or_b32 s75, s75, exec_lo
	s_delay_alu instid0(VALU_DEP_1)
	v_cmp_ge_u64_e64 s13, v[4:5], v[8:9]
	s_or_not1_b32 s74, s13, exec_lo
.LBB10_63:                              ;   in Loop: Header=BB10_65 Depth=3
	s_or_b32 exec_lo, exec_lo, s77
	s_delay_alu instid0(SALU_CYCLE_1)
	s_and_not1_b32 s13, s63, exec_lo
	s_and_b32 s63, s75, exec_lo
	s_and_not1_b32 s62, s62, exec_lo
	s_and_b32 s74, s74, exec_lo
	s_or_b32 s63, s13, s63
	s_or_b32 s62, s62, s74
.LBB10_64:                              ;   in Loop: Header=BB10_65 Depth=3
	s_or_b32 exec_lo, exec_lo, s73
	s_delay_alu instid0(SALU_CYCLE_1) | instskip(NEXT) | instid1(SALU_CYCLE_1)
	s_and_b32 s13, exec_lo, s62
	s_or_b32 s60, s13, s60
	s_and_not1_b32 s13, s61, exec_lo
	s_and_b32 s61, s63, exec_lo
	s_delay_alu instid0(SALU_CYCLE_1)
	s_or_b32 s61, s13, s61
	s_and_not1_b32 exec_lo, exec_lo, s60
	s_cbranch_execz .LBB10_69
.LBB10_65:                              ;   Parent Loop BB10_47 Depth=1
                                        ;     Parent Loop BB10_57 Depth=2
                                        ; =>    This Inner Loop Header: Depth=3
	s_sleep 1
	s_wait_loadcnt_dscnt 0x0
	flat_load_b64 v[50:51], v[32:33] scope:SCOPE_SYS
	s_or_b32 s63, s63, exec_lo
	s_or_b32 s62, s62, exec_lo
                                        ; implicit-def: $vgpr1
	s_wait_xcnt 0x0
	s_and_saveexec_b32 s73, vcc_lo
	s_cbranch_execz .LBB10_64
; %bb.66:                               ;   in Loop: Header=BB10_65 Depth=3
	s_cmp_lt_i32 s72, 0x270f
	s_mov_b32 s74, -1
	s_cselect_b32 s76, -1, 0
	s_cmp_gt_i32 s72, 0x270e
	s_cbranch_scc0 .LBB10_68
; %bb.67:                               ;   in Loop: Header=BB10_65 Depth=3
	s_trap 2
	ds_load_b64 v[4:5], v0
	s_and_not1_b32 s72, s76, exec_lo
	s_mov_b32 s75, 0
	s_wait_storecnt 0x0
	s_wait_loadcnt_dscnt 0x0
	flat_load_b32 v1, v[4:5] scope:SCOPE_SYS
	s_wait_loadcnt_dscnt 0x0
	global_inv scope:SCOPE_SYS
	v_cmp_eq_u32_e64 s13, 0, v1
	s_and_b32 s13, s13, exec_lo
	s_delay_alu instid0(SALU_CYCLE_1)
	s_or_b32 s76, s72, s13
	s_mov_b32 s72, 0
	s_wait_xcnt 0x0
	s_and_saveexec_b32 s77, s76
	s_cbranch_execz .LBB10_63
	s_branch .LBB10_62
.LBB10_68:                              ;   in Loop: Header=BB10_65 Depth=3
	s_add_co_i32 s72, s72, 1
	s_mov_b32 s75, -1
                                        ; implicit-def: $vgpr1
	s_and_saveexec_b32 s77, s76
	s_cbranch_execz .LBB10_63
	s_branch .LBB10_62
.LBB10_69:                              ;   in Loop: Header=BB10_57 Depth=2
	s_or_b32 exec_lo, exec_lo, s60
	s_xor_b32 s13, s61, -1
	s_delay_alu instid0(SALU_CYCLE_1) | instskip(NEXT) | instid1(SALU_CYCLE_1)
	s_and_saveexec_b32 s60, s13
	s_xor_b32 s13, exec_lo, s60
	s_cbranch_execz .LBB10_71
; %bb.70:                               ;   in Loop: Header=BB10_57 Depth=2
	v_or_b32_e32 v30, 64, v30
	s_wait_storecnt 0x0
	s_wait_loadcnt_dscnt 0x0
	ds_store_b32 v0, v1
	s_trap 2
.LBB10_71:                              ;   in Loop: Header=BB10_57 Depth=2
	s_or_b32 exec_lo, exec_lo, s13
.LBB10_72:                              ;   in Loop: Header=BB10_57 Depth=2
	s_delay_alu instid0(SALU_CYCLE_1) | instskip(SKIP_4) | instid1(VALU_DEP_1)
	s_or_b32 exec_lo, exec_lo, s41
	v_and_b32_e32 v1, 0x100, v30
	s_mov_b32 s41, 0
	s_mov_b32 s13, exec_lo
	;;#ASMSTART
	s_wakeup
	;;#ASMEND
                                        ; implicit-def: $vgpr10_vgpr11
	v_cmpx_ne_u32_e32 0, v1
	s_xor_b32 s13, exec_lo, s13
	s_cbranch_execz .LBB10_93
; %bb.73:                               ;   in Loop: Header=BB10_57 Depth=2
	v_and_b32_e32 v2, 7, v116
	v_ashrrev_i32_e32 v13, 31, v12
	s_mov_b32 s41, -1
	s_mov_b32 s60, exec_lo
                                        ; implicit-def: $vgpr10_vgpr11
	s_delay_alu instid0(VALU_DEP_2) | instskip(NEXT) | instid1(VALU_DEP_2)
	v_mad_nc_u64_u32 v[18:19], v2, 24, v[6:7]
	v_lshlrev_b64_e32 v[4:5], 1, v[12:13]
	s_clause 0x1
	flat_load_b32 v1, v[18:19]
	flat_store_b64 v[18:19], v[4:5] offset:8
	s_wait_loadcnt_dscnt 0x1
	s_wait_xcnt 0x0
	v_cmpx_eq_u32_e32 1, v1
	s_cbranch_execz .LBB10_75
; %bb.74:                               ;   in Loop: Header=BB10_57 Depth=2
	flat_load_b32 v4, v[18:19] offset:4 scope:SCOPE_SYS
	s_xor_b32 s41, exec_lo, -1
	s_wait_loadcnt_dscnt 0x0
	v_ashrrev_i32_e32 v5, 31, v4
	s_delay_alu instid0(VALU_DEP_1)
	v_lshrrev_b64 v[10:11], 1, v[4:5]
.LBB10_75:                              ;   in Loop: Header=BB10_57 Depth=2
	s_wait_xcnt 0x0
	s_or_b32 exec_lo, exec_lo, s60
	s_delay_alu instid0(SALU_CYCLE_1)
	s_and_b32 s41, s41, exec_lo
                                        ; implicit-def: $vgpr116_vgpr117
	s_and_not1_saveexec_b32 s13, s13
	s_cbranch_execnz .LBB10_94
.LBB10_76:                              ;   in Loop: Header=BB10_57 Depth=2
	s_or_b32 exec_lo, exec_lo, s13
	s_and_saveexec_b32 s13, s41
.LBB10_77:                              ;   in Loop: Header=BB10_57 Depth=2
	v_mul_u64_e32 v[10:11], v[2:3], v[34:35]
.LBB10_78:                              ;   in Loop: Header=BB10_57 Depth=2
	s_or_b32 exec_lo, exec_lo, s13
	v_and_b32_e32 v1, 0x2000, v30
	s_delay_alu instid0(VALU_DEP_2)
	v_lshl_add_u64 v[4:5], v[10:11], 1, v[36:37]
	s_mov_b32 s13, exec_lo
	ds_store_b64 v0, v[4:5] offset:784
	v_cmpx_ne_u32_e32 0, v1
	s_cbranch_execz .LBB10_80
; %bb.79:                               ;   in Loop: Header=BB10_57 Depth=2
	ds_load_b64 v[4:5], v0 offset:872
	s_wait_dscnt 0x0
	v_add_nc_u64_e32 v[4:5], 1, v[4:5]
	ds_store_b64 v0, v[4:5] offset:872
.LBB10_80:                              ;   in Loop: Header=BB10_57 Depth=2
	s_or_b32 exec_lo, exec_lo, s13
	v_mov_b64_e32 v[116:117], v[8:9]
.LBB10_81:                              ;   in Loop: Header=BB10_57 Depth=2
	s_or_b32 exec_lo, exec_lo, s40
	s_and_saveexec_b32 s13, s2
	s_cbranch_execz .LBB10_102
; %bb.82:                               ;   in Loop: Header=BB10_57 Depth=2
	s_and_saveexec_b32 s40, s3
	s_delay_alu instid0(SALU_CYCLE_1)
	s_xor_b32 s40, exec_lo, s40
	s_cbranch_execz .LBB10_99
; %bb.83:                               ;   in Loop: Header=BB10_57 Depth=2
	s_and_saveexec_b32 s41, s6
	s_cbranch_execz .LBB10_98
; %bb.84:                               ;   in Loop: Header=BB10_57 Depth=2
	s_mov_b32 s61, exec_lo
	s_mov_b32 s60, exec_lo
	v_mbcnt_lo_u32_b32 v1, s61, 0
	global_wb scope:SCOPE_DEV
	s_wait_storecnt 0x0
	s_wait_loadcnt_dscnt 0x0
	global_inv scope:SCOPE_DEV
	v_cmpx_eq_u32_e32 0, v1
	s_cbranch_execz .LBB10_86
; %bb.85:                               ;   in Loop: Header=BB10_57 Depth=2
	s_bcnt1_i32_b32 s61, s61
	s_delay_alu instid0(SALU_CYCLE_1)
	v_mov_b32_e32 v2, s61
	s_wait_loadcnt 0x0
	ds_add_u64 v0, v[2:3]
	s_trap 2
.LBB10_86:                              ;   in Loop: Header=BB10_57 Depth=2
	s_or_b32 exec_lo, exec_lo, s60
	s_trap 2
	ds_load_b64 v[4:5], v0
	s_wait_dscnt 0x0
	v_add_nc_u64_e32 v[48:49], v[48:49], v[52:53]
	s_mov_b32 s60, exec_lo
	s_delay_alu instid0(VALU_DEP_1)
	v_cmpx_lt_u64_e64 v[4:5], v[48:49]
	s_cbranch_execz .LBB10_97
; %bb.87:                               ;   in Loop: Header=BB10_57 Depth=2
	s_mov_b32 s61, 0
	s_mov_b32 s72, 0
                                        ; implicit-def: $sgpr62
                                        ; implicit-def: $sgpr63
	s_branch .LBB10_89
.LBB10_88:                              ;   in Loop: Header=BB10_89 Depth=3
	s_or_b32 exec_lo, exec_lo, s74
	s_delay_alu instid0(SALU_CYCLE_1) | instskip(NEXT) | instid1(SALU_CYCLE_1)
	s_and_b32 s73, exec_lo, s75
	s_or_b32 s61, s73, s61
	s_and_not1_b32 s62, s62, exec_lo
	s_and_b32 s73, s63, exec_lo
	s_delay_alu instid0(SALU_CYCLE_1)
	s_or_b32 s62, s62, s73
	s_and_not1_b32 exec_lo, exec_lo, s61
	s_cbranch_execz .LBB10_95
.LBB10_89:                              ;   Parent Loop BB10_47 Depth=1
                                        ;     Parent Loop BB10_57 Depth=2
                                        ; =>    This Inner Loop Header: Depth=3
	s_add_co_i32 s72, s72, 1
	s_delay_alu instid0(SALU_CYCLE_1) | instskip(SKIP_1) | instid1(SALU_CYCLE_1)
	s_cmp_lg_u32 s72, 0x2710
	s_cselect_b32 s73, -1, 0
	s_and_b32 vcc_lo, exec_lo, s73
	s_cbranch_vccz .LBB10_91
; %bb.90:                               ;   in Loop: Header=BB10_89 Depth=3
	s_mov_b32 s75, -1
	s_or_b32 s63, s63, exec_lo
	s_and_saveexec_b32 s74, s73
	s_cbranch_execz .LBB10_88
	s_branch .LBB10_92
.LBB10_91:                              ;   in Loop: Header=BB10_89 Depth=3
	s_trap 2
	ds_load_b64 v[4:5], v0
	s_and_not1_b32 s73, s73, exec_lo
	s_mov_b32 s72, 0
	s_wait_loadcnt_dscnt 0x0
	flat_load_b32 v1, v[4:5] scope:SCOPE_SYS
	s_wait_loadcnt_dscnt 0x0
	global_inv scope:SCOPE_SYS
	v_cmp_eq_u32_e32 vcc_lo, 0, v1
	s_and_b32 s74, vcc_lo, exec_lo
	s_delay_alu instid0(SALU_CYCLE_1)
	s_or_b32 s73, s73, s74
	s_mov_b32 s75, -1
	s_or_b32 s63, s63, exec_lo
	s_wait_xcnt 0x0
	s_and_saveexec_b32 s74, s73
	s_cbranch_execz .LBB10_88
.LBB10_92:                              ;   in Loop: Header=BB10_89 Depth=3
	s_sleep 1
	s_trap 2
	ds_load_b64 v[4:5], v0
	s_wait_dscnt 0x0
	s_and_not1_b32 s63, s63, exec_lo
	v_cmp_ge_u64_e32 vcc_lo, v[4:5], v[48:49]
	s_or_not1_b32 s75, vcc_lo, exec_lo
	s_branch .LBB10_88
.LBB10_93:                              ;   in Loop: Header=BB10_57 Depth=2
	s_and_not1_saveexec_b32 s13, s13
	s_cbranch_execz .LBB10_76
.LBB10_94:                              ;   in Loop: Header=BB10_57 Depth=2
	v_and_b32_e32 v2, 7, v116
	s_or_b32 s41, s41, exec_lo
	s_or_b32 exec_lo, exec_lo, s13
	s_and_saveexec_b32 s13, s41
	s_cbranch_execnz .LBB10_77
	s_branch .LBB10_78
.LBB10_95:                              ;   in Loop: Header=BB10_57 Depth=2
	s_or_b32 exec_lo, exec_lo, s61
	s_and_saveexec_b32 s61, s62
	s_delay_alu instid0(SALU_CYCLE_1)
	s_xor_b32 s61, exec_lo, s61
	s_cbranch_execz .LBB10_97
; %bb.96:                               ;   in Loop: Header=BB10_57 Depth=2
	ds_store_b32 v0, v89
	s_trap 2
.LBB10_97:                              ;   in Loop: Header=BB10_57 Depth=2
	s_or_b32 exec_lo, exec_lo, s60
	;;#ASMSTART
	s_wakeup
	;;#ASMEND
.LBB10_98:                              ;   in Loop: Header=BB10_57 Depth=2
	s_or_b32 exec_lo, exec_lo, s41
.LBB10_99:                              ;   in Loop: Header=BB10_57 Depth=2
	s_and_not1_saveexec_b32 s40, s40
	s_cbranch_execz .LBB10_101
; %bb.100:                              ;   in Loop: Header=BB10_57 Depth=2
	global_wb scope:SCOPE_DEV
	s_wait_storecnt 0x0
	s_wait_loadcnt_dscnt 0x0
	global_inv scope:SCOPE_DEV
	s_barrier_signal -1
	s_barrier_wait -1
.LBB10_101:                             ;   in Loop: Header=BB10_57 Depth=2
	s_or_b32 exec_lo, exec_lo, s40
.LBB10_102:                             ;   in Loop: Header=BB10_57 Depth=2
	s_delay_alu instid0(SALU_CYCLE_1) | instskip(SKIP_4) | instid1(VALU_DEP_1)
	s_or_b32 exec_lo, exec_lo, s13
	s_trap 2
	ds_load_b32 v1, v0
	v_and_b32_e32 v2, 0x4000, v30
	s_xor_b32 s13, s1, -1
	v_cmp_ne_u32_e32 vcc_lo, 0, v2
	s_and_b32 s40, s13, vcc_lo
	s_delay_alu instid0(SALU_CYCLE_1)
	s_and_saveexec_b32 s13, s40
	s_cbranch_execz .LBB10_121
; %bb.103:                              ;   in Loop: Header=BB10_57 Depth=2
	s_and_saveexec_b32 s40, s3
	s_delay_alu instid0(SALU_CYCLE_1)
	s_xor_b32 s40, exec_lo, s40
	s_cbranch_execz .LBB10_118
; %bb.104:                              ;   in Loop: Header=BB10_57 Depth=2
	s_and_saveexec_b32 s41, s6
	s_cbranch_execz .LBB10_117
; %bb.105:                              ;   in Loop: Header=BB10_57 Depth=2
	s_mov_b32 s61, exec_lo
	s_mov_b32 s60, exec_lo
	v_mbcnt_lo_u32_b32 v2, s61, 0
	global_wb scope:SCOPE_DEV
	s_wait_storecnt 0x0
	s_wait_loadcnt_dscnt 0x0
	global_inv scope:SCOPE_DEV
	v_cmpx_eq_u32_e32 0, v2
	s_cbranch_execz .LBB10_107
; %bb.106:                              ;   in Loop: Header=BB10_57 Depth=2
	s_bcnt1_i32_b32 s61, s61
	s_delay_alu instid0(SALU_CYCLE_1)
	v_mov_b32_e32 v2, s61
	s_wait_loadcnt 0x0
	ds_add_u64 v0, v[2:3]
	s_trap 2
.LBB10_107:                             ;   in Loop: Header=BB10_57 Depth=2
	s_or_b32 exec_lo, exec_lo, s60
	s_trap 2
	ds_load_b64 v[4:5], v0
	s_wait_dscnt 0x0
	v_add_nc_u64_e32 v[48:49], v[48:49], v[52:53]
	s_mov_b32 s60, exec_lo
	s_delay_alu instid0(VALU_DEP_1)
	v_cmpx_lt_u64_e64 v[4:5], v[48:49]
	s_cbranch_execz .LBB10_116
; %bb.108:                              ;   in Loop: Header=BB10_57 Depth=2
	s_mov_b32 s61, 0
	s_mov_b32 s72, 0
                                        ; implicit-def: $sgpr62
                                        ; implicit-def: $sgpr63
	s_branch .LBB10_110
.LBB10_109:                             ;   in Loop: Header=BB10_110 Depth=3
	s_or_b32 exec_lo, exec_lo, s74
	s_delay_alu instid0(SALU_CYCLE_1) | instskip(NEXT) | instid1(SALU_CYCLE_1)
	s_and_b32 s73, exec_lo, s75
	s_or_b32 s61, s73, s61
	s_and_not1_b32 s62, s62, exec_lo
	s_and_b32 s73, s63, exec_lo
	s_delay_alu instid0(SALU_CYCLE_1)
	s_or_b32 s62, s62, s73
	s_and_not1_b32 exec_lo, exec_lo, s61
	s_cbranch_execz .LBB10_114
.LBB10_110:                             ;   Parent Loop BB10_47 Depth=1
                                        ;     Parent Loop BB10_57 Depth=2
                                        ; =>    This Inner Loop Header: Depth=3
	s_add_co_i32 s72, s72, 1
	s_delay_alu instid0(SALU_CYCLE_1) | instskip(SKIP_1) | instid1(SALU_CYCLE_1)
	s_cmp_lg_u32 s72, 0x2710
	s_cselect_b32 s73, -1, 0
	s_and_b32 vcc_lo, exec_lo, s73
	s_cbranch_vccz .LBB10_112
; %bb.111:                              ;   in Loop: Header=BB10_110 Depth=3
	s_mov_b32 s75, -1
	s_or_b32 s63, s63, exec_lo
	s_and_saveexec_b32 s74, s73
	s_cbranch_execz .LBB10_109
	s_branch .LBB10_113
.LBB10_112:                             ;   in Loop: Header=BB10_110 Depth=3
	s_trap 2
	ds_load_b64 v[4:5], v0
	s_and_not1_b32 s73, s73, exec_lo
	s_mov_b32 s72, 0
	s_wait_loadcnt_dscnt 0x0
	flat_load_b32 v2, v[4:5] scope:SCOPE_SYS
	s_wait_loadcnt_dscnt 0x0
	global_inv scope:SCOPE_SYS
	v_cmp_eq_u32_e32 vcc_lo, 0, v2
	s_and_b32 s74, vcc_lo, exec_lo
	s_delay_alu instid0(SALU_CYCLE_1)
	s_or_b32 s73, s73, s74
	s_mov_b32 s75, -1
	s_or_b32 s63, s63, exec_lo
	s_wait_xcnt 0x0
	s_and_saveexec_b32 s74, s73
	s_cbranch_execz .LBB10_109
.LBB10_113:                             ;   in Loop: Header=BB10_110 Depth=3
	s_sleep 1
	s_trap 2
	ds_load_b64 v[4:5], v0
	s_wait_dscnt 0x0
	s_and_not1_b32 s63, s63, exec_lo
	v_cmp_ge_u64_e32 vcc_lo, v[4:5], v[48:49]
	s_or_not1_b32 s75, vcc_lo, exec_lo
	s_branch .LBB10_109
.LBB10_114:                             ;   in Loop: Header=BB10_57 Depth=2
	s_or_b32 exec_lo, exec_lo, s61
	s_and_saveexec_b32 s61, s62
	s_delay_alu instid0(SALU_CYCLE_1)
	s_xor_b32 s61, exec_lo, s61
	s_cbranch_execz .LBB10_116
; %bb.115:                              ;   in Loop: Header=BB10_57 Depth=2
	ds_store_b32 v0, v89
	s_trap 2
.LBB10_116:                             ;   in Loop: Header=BB10_57 Depth=2
	s_or_b32 exec_lo, exec_lo, s60
	;;#ASMSTART
	s_wakeup
	;;#ASMEND
.LBB10_117:                             ;   in Loop: Header=BB10_57 Depth=2
	s_or_b32 exec_lo, exec_lo, s41
.LBB10_118:                             ;   in Loop: Header=BB10_57 Depth=2
	s_and_not1_saveexec_b32 s40, s40
	s_cbranch_execz .LBB10_120
; %bb.119:                              ;   in Loop: Header=BB10_57 Depth=2
	global_wb scope:SCOPE_DEV
	s_wait_storecnt 0x0
	s_wait_loadcnt_dscnt 0x0
	global_inv scope:SCOPE_DEV
	s_barrier_signal -1
	s_barrier_wait -1
.LBB10_120:                             ;   in Loop: Header=BB10_57 Depth=2
	s_or_b32 exec_lo, exec_lo, s40
.LBB10_121:                             ;   in Loop: Header=BB10_57 Depth=2
	s_delay_alu instid0(SALU_CYCLE_1)
	s_or_b32 exec_lo, exec_lo, s13
	s_trap 2
	ds_load_b64 v[18:19], v0
	s_wait_dscnt 0x0
	v_cmp_eq_u64_e32 vcc_lo, 0, v[18:19]
	s_cbranch_vccnz .LBB10_129
; %bb.122:                              ;   in Loop: Header=BB10_57 Depth=2
	s_trap 2
	ds_load_b64 v[20:21], v0
	s_wait_dscnt 0x0
	v_cmp_eq_u64_e32 vcc_lo, 0, v[20:21]
	s_cbranch_vccnz .LBB10_129
; %bb.123:                              ;   in Loop: Header=BB10_57 Depth=2
	s_mov_b32 s13, -1
	s_and_saveexec_b32 s40, s7
	s_cbranch_execz .LBB10_125
; %bb.124:                              ;   in Loop: Header=BB10_57 Depth=2
	ds_load_b32 v2, v0 offset:720
	s_wait_dscnt 0x0
	v_and_b32_e32 v2, 15, v2
	s_delay_alu instid0(VALU_DEP_1)
	v_cmp_eq_u32_e32 vcc_lo, 0, v2
	s_or_not1_b32 s13, vcc_lo, exec_lo
.LBB10_125:                             ;   in Loop: Header=BB10_57 Depth=2
	s_or_b32 exec_lo, exec_lo, s40
	s_and_saveexec_b32 s40, s10
	s_cbranch_execz .LBB10_127
; %bb.126:                              ;   in Loop: Header=BB10_57 Depth=2
	ds_load_b32 v2, v0 offset:784
	s_wait_dscnt 0x0
	v_and_b32_e32 v2, 15, v2
	s_delay_alu instid0(VALU_DEP_1) | instskip(SKIP_3) | instid1(SALU_CYCLE_1)
	v_cmp_eq_u32_e32 vcc_lo, 0, v2
	s_and_b32 s41, s13, vcc_lo
	s_and_not1_b32 s13, s13, exec_lo
	s_and_b32 s41, s41, exec_lo
	s_or_b32 s13, s13, s41
.LBB10_127:                             ;   in Loop: Header=BB10_57 Depth=2
	s_or_b32 exec_lo, exec_lo, s40
	v_cmp_eq_u32_e32 vcc_lo, 0, v1
	s_xor_b32 s13, s13, -1
	s_mov_b32 s41, -1
	v_cndmask_b32_e64 v4, 0, 1, s13
	v_cndmask_b32_e32 v2, 0, v12, vcc_lo
	s_delay_alu instid0(VALU_DEP_2) | instskip(NEXT) | instid1(VALU_DEP_2)
	v_cmp_ne_u32_e32 vcc_lo, 0, v4
	v_dual_mov_b32 v4, 0 :: v_dual_lshlrev_b32 v13, 1, v2
	s_cbranch_vccz .LBB10_134
; %bb.128:                              ;   in Loop: Header=BB10_57 Depth=2
	v_mov_b32_e32 v5, v0
	s_and_saveexec_b32 s13, s41
	s_cbranch_execnz .LBB10_433
	s_branch .LBB10_509
.LBB10_129:                             ;   in Loop: Header=BB10_57 Depth=2
	s_mov_b32 s13, 0
	s_and_saveexec_b32 s40, s2
	s_cbranch_execnz .LBB10_510
.LBB10_130:                             ;   in Loop: Header=BB10_57 Depth=2
	s_or_b32 exec_lo, exec_lo, s40
                                        ; implicit-def: $vgpr1
	s_and_saveexec_b32 s40, s12
	s_delay_alu instid0(SALU_CYCLE_1)
	s_xor_b32 s40, exec_lo, s40
	s_cbranch_execz .LBB10_528
.LBB10_131:                             ;   in Loop: Header=BB10_57 Depth=2
	v_and_b32_e32 v1, 16, v30
	s_delay_alu instid0(VALU_DEP_1) | instskip(SKIP_2) | instid1(SALU_CYCLE_1)
	v_cmp_ne_u32_e32 vcc_lo, 0, v1
	v_and_b32_e32 v1, 16, v30
	s_and_b32 s41, vcc_lo, s13
	s_and_saveexec_b32 s13, s41
	s_cbranch_execz .LBB10_133
; %bb.132:                              ;   in Loop: Header=BB10_57 Depth=2
	v_mov_b32_e32 v1, 1
	global_wb scope:SCOPE_SYS
	s_wait_storecnt 0x0
	s_wait_loadcnt_dscnt 0x0
	global_inv scope:SCOPE_SYS
.LBB10_133:                             ;   in Loop: Header=BB10_57 Depth=2
	s_or_b32 exec_lo, exec_lo, s13
	s_and_not1_saveexec_b32 s13, s40
	s_cbranch_execz .LBB10_547
	s_branch .LBB10_529
.LBB10_134:                             ;   in Loop: Header=BB10_57 Depth=2
	s_delay_alu instid0(VALU_DEP_1) | instskip(SKIP_1) | instid1(VALU_DEP_1)
	v_ashrrev_i32_e32 v1, 31, v13
	s_mov_b32 s13, exec_lo
	v_lshrrev_b32_e32 v1, 20, v1
	s_delay_alu instid0(VALU_DEP_1) | instskip(NEXT) | instid1(VALU_DEP_1)
	v_add_nc_u32_e32 v1, v13, v1
	v_dual_ashrrev_i32 v4, 12, v1 :: v_dual_lshrrev_b32 v1, 5, v0
	s_delay_alu instid0(VALU_DEP_1) | instskip(NEXT) | instid1(VALU_DEP_1)
	v_sub_nc_u32_e32 v15, v4, v1
	v_cmpx_lt_i32_e32 0, v15
	s_cbranch_execz .LBB10_394
; %bb.135:                              ;   in Loop: Header=BB10_57 Depth=2
	scratch_store_b32 off, v4, s33 offset:236 ; 4-byte Folded Spill
	s_trap 2
	ds_load_b32 v1, v0
	v_mov_b64_e32 v[22:23], v[20:21]
	v_mov_b64_e32 v[42:43], v[18:19]
	s_mov_b32 s40, 0
	s_wait_dscnt 0x0
	v_lshlrev_b32_e32 v56, 16, v1
	s_branch .LBB10_137
.LBB10_136:                             ;   in Loop: Header=BB10_137 Depth=3
	s_or_b32 exec_lo, exec_lo, s41
	v_dual_lshrrev_b32 v8, 16, v88 :: v_dual_lshrrev_b32 v10, 16, v31
	v_dual_lshrrev_b32 v11, 16, v17 :: v_dual_lshrrev_b32 v17, 16, v114
	v_dual_lshrrev_b32 v31, 16, v118 :: v_dual_lshrrev_b32 v5, 16, v5
	s_delay_alu instid0(VALU_DEP_3) | instskip(NEXT) | instid1(VALU_DEP_4)
	v_and_or_b32 v9, 0xffff0000, v16, v8
	v_and_or_b32 v8, 0xffff0000, v1, v10
	v_dual_lshrrev_b32 v1, 16, v66 :: v_dual_lshrrev_b32 v16, 16, v64
	v_and_or_b32 v10, 0xffff0000, v54, v11
	v_and_or_b32 v11, 0xffff0000, v115, v17
	v_lshrrev_b32_e32 v17, 16, v25
	s_delay_alu instid0(VALU_DEP_4)
	v_and_or_b32 v113, 0xffff0000, v67, v1
	v_and_or_b32 v112, 0xffff0000, v65, v16
	v_lshrrev_b32_e32 v1, 16, v78
	v_dual_lshrrev_b32 v16, 16, v26 :: v_dual_lshrrev_b32 v28, 16, v28
	v_and_or_b32 v25, 0xffff0000, v24, v5
	v_and_or_b32 v26, 0xffff0000, v27, v17
	s_delay_alu instid0(VALU_DEP_4) | instskip(NEXT) | instid1(VALU_DEP_4)
	v_and_or_b32 v115, 0xffff0000, v79, v1
	v_and_or_b32 v24, 0xffff0000, v4, v16
	v_dual_lshrrev_b32 v1, 16, v121 :: v_dual_lshrrev_b32 v4, 16, v111
	v_dual_lshrrev_b32 v5, 16, v123 :: v_dual_lshrrev_b32 v16, 16, v125
	v_lshrrev_b32_e32 v17, 16, v105
	s_delay_alu instid0(VALU_DEP_3) | instskip(NEXT) | instid1(VALU_DEP_4)
	v_and_or_b32 v65, 0xffff0000, v122, v1
	v_and_or_b32 v64, 0xffff0000, v120, v4
	s_delay_alu instid0(VALU_DEP_4)
	v_and_or_b32 v66, 0xffff0000, v124, v5
	v_and_or_b32 v67, 0xffff0000, v126, v16
	v_lshrrev_b32_e32 v1, 16, v95
	v_and_or_b32 v105, 0xffff0000, v106, v17
	v_dual_lshrrev_b32 v4, 16, v107 :: v_dual_lshrrev_b32 v5, 16, v109
	v_dual_lshrrev_b32 v16, 16, v75 :: v_dual_lshrrev_b32 v17, 16, v73
	s_delay_alu instid0(VALU_DEP_4) | instskip(SKIP_1) | instid1(VALU_DEP_4)
	v_and_or_b32 v104, 0xffff0000, v104, v1
	v_lshrrev_b32_e32 v1, 16, v77
	v_and_or_b32 v107, 0xffff0000, v110, v5
	s_delay_alu instid0(VALU_DEP_4)
	v_and_or_b32 v75, 0xffff0000, v76, v16
	v_and_or_b32 v74, 0xffff0000, v74, v17
	v_dual_lshrrev_b32 v5, 16, v59 :: v_dual_lshrrev_b32 v16, 16, v57
	v_lshrrev_b32_e32 v17, 16, v61
	v_and_or_b32 v27, 0xffff0000, v29, v28
	v_and_or_b32 v106, 0xffff0000, v108, v4
	v_lshrrev_b32_e32 v4, 16, v93
	v_and_or_b32 v59, 0xffff0000, v60, v5
	v_lshrrev_b32_e32 v29, 16, v84
	;; [unrolled: 2-line block ×3, first 2 shown]
	v_and_or_b32 v58, 0xffff0000, v58, v16
	v_dual_lshrrev_b32 v16, 16, v45 :: v_dual_sub_nc_u32 v15, v15, v52
	v_and_or_b32 v76, 0xffff0000, v92, v1
	v_dual_lshrrev_b32 v1, 16, v63 :: v_dual_lshrrev_b32 v28, 16, v41
	v_and_or_b32 v77, 0xffff0000, v94, v4
	v_add_nc_u64_e32 v[4:5], v[96:97], v[22:23]
	v_add_nc_u64_e32 v[42:43], v[42:43], v[68:69]
	;; [unrolled: 1-line block ×3, first 2 shown]
	v_cmp_gt_i32_e32 vcc_lo, 1, v15
	v_and_or_b32 v61, 0xffff0000, v72, v1
	v_and_or_b32 v93, 0xffff0000, v40, v16
	;; [unrolled: 1-line block ×6, first 2 shown]
	s_or_b32 s40, vcc_lo, s40
	s_clause 0x7
	global_store_b128 v[4:5], v[58:61], off th:TH_STORE_NT
	global_store_b128 v[4:5], v[74:77], off offset:512 th:TH_STORE_NT
	global_store_b128 v[4:5], v[104:107], off offset:1024 th:TH_STORE_NT
	;; [unrolled: 1-line block ×7, first 2 shown]
	s_wait_xcnt 0x0
	s_and_not1_b32 exec_lo, exec_lo, s40
	s_cbranch_execz .LBB10_393
.LBB10_137:                             ;   Parent Loop BB10_47 Depth=1
                                        ;     Parent Loop BB10_57 Depth=2
                                        ; =>    This Inner Loop Header: Depth=3
	s_delay_alu instid0(VALU_DEP_2) | instskip(SKIP_4) | instid1(VALU_DEP_1)
	v_add_nc_u64_e32 v[44:45], v[96:97], v[42:43]
	s_mov_b32 s41, exec_lo
                                        ; implicit-def: $vgpr57
	global_load_b128 v[8:11], v[44:45], off th:TH_LOAD_NT
	s_wait_loadcnt 0x0
	v_lshlrev_b32_e32 v1, 16, v8
	v_mul_f32_e32 v1, v56, v1
	s_wait_xcnt 0x1
	s_delay_alu instid0(VALU_DEP_1) | instskip(SKIP_1) | instid1(VALU_DEP_1)
	v_and_b32_e32 v4, 0x7f800000, v1
	s_wait_xcnt 0x0
	v_cmpx_ne_u32_e32 0x7f800000, v4
	s_xor_b32 s41, exec_lo, s41
; %bb.138:                              ;   in Loop: Header=BB10_137 Depth=3
	v_bfe_u32 v4, v1, 16, 1
	s_delay_alu instid0(VALU_DEP_1)
	v_add3_u32 v57, v1, v4, 0x7fff
                                        ; implicit-def: $vgpr1
; %bb.139:                              ;   in Loop: Header=BB10_137 Depth=3
	s_and_not1_saveexec_b32 s41, s41
; %bb.140:                              ;   in Loop: Header=BB10_137 Depth=3
	v_and_b32_e32 v4, 0xffff, v1
	v_or_b32_e32 v5, 0x10000, v1
	s_delay_alu instid0(VALU_DEP_2) | instskip(NEXT) | instid1(VALU_DEP_2)
	v_cmp_eq_u32_e32 vcc_lo, 0, v4
	v_cndmask_b32_e32 v57, v5, v1, vcc_lo
; %bb.141:                              ;   in Loop: Header=BB10_137 Depth=3
	s_or_b32 exec_lo, exec_lo, s41
	v_and_b32_e32 v1, 0xffff0000, v8
	s_mov_b32 s41, exec_lo
                                        ; implicit-def: $vgpr58
	s_delay_alu instid0(VALU_DEP_1) | instskip(NEXT) | instid1(VALU_DEP_1)
	v_mul_f32_e32 v1, v56, v1
	v_and_b32_e32 v4, 0x7f800000, v1
	s_delay_alu instid0(VALU_DEP_1)
	v_cmpx_ne_u32_e32 0x7f800000, v4
	s_xor_b32 s41, exec_lo, s41
; %bb.142:                              ;   in Loop: Header=BB10_137 Depth=3
	v_bfe_u32 v4, v1, 16, 1
	s_delay_alu instid0(VALU_DEP_1)
	v_add3_u32 v58, v1, v4, 0x7fff
                                        ; implicit-def: $vgpr1
; %bb.143:                              ;   in Loop: Header=BB10_137 Depth=3
	s_and_not1_saveexec_b32 s41, s41
; %bb.144:                              ;   in Loop: Header=BB10_137 Depth=3
	v_and_b32_e32 v4, 0xffff, v1
	v_or_b32_e32 v5, 0x10000, v1
	s_delay_alu instid0(VALU_DEP_2) | instskip(NEXT) | instid1(VALU_DEP_2)
	v_cmp_eq_u32_e32 vcc_lo, 0, v4
	v_cndmask_b32_e32 v58, v5, v1, vcc_lo
; %bb.145:                              ;   in Loop: Header=BB10_137 Depth=3
	s_or_b32 exec_lo, exec_lo, s41
	v_lshlrev_b32_e32 v1, 16, v9
	s_mov_b32 s41, exec_lo
                                        ; implicit-def: $vgpr59
	s_delay_alu instid0(VALU_DEP_1) | instskip(NEXT) | instid1(VALU_DEP_1)
	v_mul_f32_e32 v1, v56, v1
	v_and_b32_e32 v4, 0x7f800000, v1
	s_delay_alu instid0(VALU_DEP_1)
	v_cmpx_ne_u32_e32 0x7f800000, v4
	s_xor_b32 s41, exec_lo, s41
; %bb.146:                              ;   in Loop: Header=BB10_137 Depth=3
	v_bfe_u32 v4, v1, 16, 1
	s_delay_alu instid0(VALU_DEP_1)
	v_add3_u32 v59, v1, v4, 0x7fff
                                        ; implicit-def: $vgpr1
; %bb.147:                              ;   in Loop: Header=BB10_137 Depth=3
	s_and_not1_saveexec_b32 s41, s41
; %bb.148:                              ;   in Loop: Header=BB10_137 Depth=3
	v_and_b32_e32 v4, 0xffff, v1
	v_or_b32_e32 v5, 0x10000, v1
	s_delay_alu instid0(VALU_DEP_2) | instskip(NEXT) | instid1(VALU_DEP_2)
	v_cmp_eq_u32_e32 vcc_lo, 0, v4
	v_cndmask_b32_e32 v59, v5, v1, vcc_lo
; %bb.149:                              ;   in Loop: Header=BB10_137 Depth=3
	s_or_b32 exec_lo, exec_lo, s41
	v_and_b32_e32 v1, 0xffff0000, v9
	s_mov_b32 s41, exec_lo
                                        ; implicit-def: $vgpr60
	s_delay_alu instid0(VALU_DEP_1) | instskip(NEXT) | instid1(VALU_DEP_1)
	v_mul_f32_e32 v1, v56, v1
	v_and_b32_e32 v4, 0x7f800000, v1
	s_delay_alu instid0(VALU_DEP_1)
	v_cmpx_ne_u32_e32 0x7f800000, v4
	s_xor_b32 s41, exec_lo, s41
; %bb.150:                              ;   in Loop: Header=BB10_137 Depth=3
	v_bfe_u32 v4, v1, 16, 1
	s_delay_alu instid0(VALU_DEP_1)
	v_add3_u32 v60, v1, v4, 0x7fff
                                        ; implicit-def: $vgpr1
; %bb.151:                              ;   in Loop: Header=BB10_137 Depth=3
	s_and_not1_saveexec_b32 s41, s41
; %bb.152:                              ;   in Loop: Header=BB10_137 Depth=3
	v_and_b32_e32 v4, 0xffff, v1
	v_or_b32_e32 v5, 0x10000, v1
	s_delay_alu instid0(VALU_DEP_2) | instskip(NEXT) | instid1(VALU_DEP_2)
	v_cmp_eq_u32_e32 vcc_lo, 0, v4
	v_cndmask_b32_e32 v60, v5, v1, vcc_lo
; %bb.153:                              ;   in Loop: Header=BB10_137 Depth=3
	s_or_b32 exec_lo, exec_lo, s41
	v_lshlrev_b32_e32 v1, 16, v10
	s_mov_b32 s41, exec_lo
                                        ; implicit-def: $vgpr61
	s_delay_alu instid0(VALU_DEP_1) | instskip(NEXT) | instid1(VALU_DEP_1)
	v_mul_f32_e32 v1, v56, v1
	v_and_b32_e32 v4, 0x7f800000, v1
	s_delay_alu instid0(VALU_DEP_1)
	v_cmpx_ne_u32_e32 0x7f800000, v4
	s_xor_b32 s41, exec_lo, s41
; %bb.154:                              ;   in Loop: Header=BB10_137 Depth=3
	v_bfe_u32 v4, v1, 16, 1
	s_delay_alu instid0(VALU_DEP_1)
	v_add3_u32 v61, v1, v4, 0x7fff
                                        ; implicit-def: $vgpr1
; %bb.155:                              ;   in Loop: Header=BB10_137 Depth=3
	s_and_not1_saveexec_b32 s41, s41
; %bb.156:                              ;   in Loop: Header=BB10_137 Depth=3
	v_and_b32_e32 v4, 0xffff, v1
	v_or_b32_e32 v5, 0x10000, v1
	s_delay_alu instid0(VALU_DEP_2) | instskip(NEXT) | instid1(VALU_DEP_2)
	v_cmp_eq_u32_e32 vcc_lo, 0, v4
	v_cndmask_b32_e32 v61, v5, v1, vcc_lo
; %bb.157:                              ;   in Loop: Header=BB10_137 Depth=3
	s_or_b32 exec_lo, exec_lo, s41
	v_and_b32_e32 v1, 0xffff0000, v10
	s_mov_b32 s41, exec_lo
                                        ; implicit-def: $vgpr62
	s_delay_alu instid0(VALU_DEP_1) | instskip(NEXT) | instid1(VALU_DEP_1)
	v_mul_f32_e32 v1, v56, v1
	v_and_b32_e32 v4, 0x7f800000, v1
	s_delay_alu instid0(VALU_DEP_1)
	v_cmpx_ne_u32_e32 0x7f800000, v4
	s_xor_b32 s41, exec_lo, s41
; %bb.158:                              ;   in Loop: Header=BB10_137 Depth=3
	v_bfe_u32 v4, v1, 16, 1
	s_delay_alu instid0(VALU_DEP_1)
	v_add3_u32 v62, v1, v4, 0x7fff
                                        ; implicit-def: $vgpr1
; %bb.159:                              ;   in Loop: Header=BB10_137 Depth=3
	s_and_not1_saveexec_b32 s41, s41
; %bb.160:                              ;   in Loop: Header=BB10_137 Depth=3
	v_and_b32_e32 v4, 0xffff, v1
	v_or_b32_e32 v5, 0x10000, v1
	s_delay_alu instid0(VALU_DEP_2) | instskip(NEXT) | instid1(VALU_DEP_2)
	v_cmp_eq_u32_e32 vcc_lo, 0, v4
	v_cndmask_b32_e32 v62, v5, v1, vcc_lo
; %bb.161:                              ;   in Loop: Header=BB10_137 Depth=3
	s_or_b32 exec_lo, exec_lo, s41
	v_lshlrev_b32_e32 v1, 16, v11
	s_mov_b32 s41, exec_lo
                                        ; implicit-def: $vgpr63
	s_delay_alu instid0(VALU_DEP_1) | instskip(NEXT) | instid1(VALU_DEP_1)
	v_mul_f32_e32 v1, v56, v1
	v_and_b32_e32 v4, 0x7f800000, v1
	s_delay_alu instid0(VALU_DEP_1)
	v_cmpx_ne_u32_e32 0x7f800000, v4
	s_xor_b32 s41, exec_lo, s41
; %bb.162:                              ;   in Loop: Header=BB10_137 Depth=3
	v_bfe_u32 v4, v1, 16, 1
	s_delay_alu instid0(VALU_DEP_1)
	v_add3_u32 v63, v1, v4, 0x7fff
                                        ; implicit-def: $vgpr1
; %bb.163:                              ;   in Loop: Header=BB10_137 Depth=3
	s_and_not1_saveexec_b32 s41, s41
; %bb.164:                              ;   in Loop: Header=BB10_137 Depth=3
	v_and_b32_e32 v4, 0xffff, v1
	v_or_b32_e32 v5, 0x10000, v1
	s_delay_alu instid0(VALU_DEP_2) | instskip(NEXT) | instid1(VALU_DEP_2)
	v_cmp_eq_u32_e32 vcc_lo, 0, v4
	v_cndmask_b32_e32 v63, v5, v1, vcc_lo
; %bb.165:                              ;   in Loop: Header=BB10_137 Depth=3
	s_or_b32 exec_lo, exec_lo, s41
	v_and_b32_e32 v1, 0xffff0000, v11
	s_mov_b32 s41, exec_lo
                                        ; implicit-def: $vgpr72
	s_delay_alu instid0(VALU_DEP_1) | instskip(NEXT) | instid1(VALU_DEP_1)
	v_mul_f32_e32 v1, v56, v1
	v_and_b32_e32 v4, 0x7f800000, v1
	s_delay_alu instid0(VALU_DEP_1)
	v_cmpx_ne_u32_e32 0x7f800000, v4
	s_xor_b32 s41, exec_lo, s41
; %bb.166:                              ;   in Loop: Header=BB10_137 Depth=3
	v_bfe_u32 v4, v1, 16, 1
	s_delay_alu instid0(VALU_DEP_1)
	v_add3_u32 v72, v1, v4, 0x7fff
                                        ; implicit-def: $vgpr1
; %bb.167:                              ;   in Loop: Header=BB10_137 Depth=3
	s_and_not1_saveexec_b32 s41, s41
; %bb.168:                              ;   in Loop: Header=BB10_137 Depth=3
	v_and_b32_e32 v4, 0xffff, v1
	v_or_b32_e32 v5, 0x10000, v1
	s_delay_alu instid0(VALU_DEP_2) | instskip(NEXT) | instid1(VALU_DEP_2)
	v_cmp_eq_u32_e32 vcc_lo, 0, v4
	v_cndmask_b32_e32 v72, v5, v1, vcc_lo
; %bb.169:                              ;   in Loop: Header=BB10_137 Depth=3
	s_or_b32 exec_lo, exec_lo, s41
	global_load_b128 v[8:11], v[44:45], off offset:512 th:TH_LOAD_NT
	s_mov_b32 s41, exec_lo
                                        ; implicit-def: $vgpr73
	s_wait_loadcnt 0x0
	v_lshlrev_b32_e32 v1, 16, v8
	s_delay_alu instid0(VALU_DEP_1) | instskip(NEXT) | instid1(VALU_DEP_1)
	v_mul_f32_e32 v1, v56, v1
	v_and_b32_e32 v4, 0x7f800000, v1
	s_wait_xcnt 0x0
	s_delay_alu instid0(VALU_DEP_1)
	v_cmpx_ne_u32_e32 0x7f800000, v4
	s_xor_b32 s41, exec_lo, s41
; %bb.170:                              ;   in Loop: Header=BB10_137 Depth=3
	v_bfe_u32 v4, v1, 16, 1
	s_delay_alu instid0(VALU_DEP_1)
	v_add3_u32 v73, v1, v4, 0x7fff
                                        ; implicit-def: $vgpr1
; %bb.171:                              ;   in Loop: Header=BB10_137 Depth=3
	s_and_not1_saveexec_b32 s41, s41
; %bb.172:                              ;   in Loop: Header=BB10_137 Depth=3
	v_and_b32_e32 v4, 0xffff, v1
	v_or_b32_e32 v5, 0x10000, v1
	s_delay_alu instid0(VALU_DEP_2) | instskip(NEXT) | instid1(VALU_DEP_2)
	v_cmp_eq_u32_e32 vcc_lo, 0, v4
	v_cndmask_b32_e32 v73, v5, v1, vcc_lo
; %bb.173:                              ;   in Loop: Header=BB10_137 Depth=3
	s_or_b32 exec_lo, exec_lo, s41
	v_and_b32_e32 v1, 0xffff0000, v8
	s_mov_b32 s41, exec_lo
                                        ; implicit-def: $vgpr74
	s_delay_alu instid0(VALU_DEP_1) | instskip(NEXT) | instid1(VALU_DEP_1)
	v_mul_f32_e32 v1, v56, v1
	v_and_b32_e32 v4, 0x7f800000, v1
	s_delay_alu instid0(VALU_DEP_1)
	v_cmpx_ne_u32_e32 0x7f800000, v4
	s_xor_b32 s41, exec_lo, s41
; %bb.174:                              ;   in Loop: Header=BB10_137 Depth=3
	v_bfe_u32 v4, v1, 16, 1
	s_delay_alu instid0(VALU_DEP_1)
	v_add3_u32 v74, v1, v4, 0x7fff
                                        ; implicit-def: $vgpr1
; %bb.175:                              ;   in Loop: Header=BB10_137 Depth=3
	s_and_not1_saveexec_b32 s41, s41
; %bb.176:                              ;   in Loop: Header=BB10_137 Depth=3
	v_and_b32_e32 v4, 0xffff, v1
	v_or_b32_e32 v5, 0x10000, v1
	s_delay_alu instid0(VALU_DEP_2) | instskip(NEXT) | instid1(VALU_DEP_2)
	v_cmp_eq_u32_e32 vcc_lo, 0, v4
	v_cndmask_b32_e32 v74, v5, v1, vcc_lo
; %bb.177:                              ;   in Loop: Header=BB10_137 Depth=3
	s_or_b32 exec_lo, exec_lo, s41
	v_lshlrev_b32_e32 v1, 16, v9
	s_mov_b32 s41, exec_lo
                                        ; implicit-def: $vgpr75
	s_delay_alu instid0(VALU_DEP_1) | instskip(NEXT) | instid1(VALU_DEP_1)
	v_mul_f32_e32 v1, v56, v1
	v_and_b32_e32 v4, 0x7f800000, v1
	s_delay_alu instid0(VALU_DEP_1)
	v_cmpx_ne_u32_e32 0x7f800000, v4
	s_xor_b32 s41, exec_lo, s41
; %bb.178:                              ;   in Loop: Header=BB10_137 Depth=3
	v_bfe_u32 v4, v1, 16, 1
	s_delay_alu instid0(VALU_DEP_1)
	v_add3_u32 v75, v1, v4, 0x7fff
                                        ; implicit-def: $vgpr1
; %bb.179:                              ;   in Loop: Header=BB10_137 Depth=3
	s_and_not1_saveexec_b32 s41, s41
; %bb.180:                              ;   in Loop: Header=BB10_137 Depth=3
	v_and_b32_e32 v4, 0xffff, v1
	v_or_b32_e32 v5, 0x10000, v1
	s_delay_alu instid0(VALU_DEP_2) | instskip(NEXT) | instid1(VALU_DEP_2)
	v_cmp_eq_u32_e32 vcc_lo, 0, v4
	v_cndmask_b32_e32 v75, v5, v1, vcc_lo
; %bb.181:                              ;   in Loop: Header=BB10_137 Depth=3
	s_or_b32 exec_lo, exec_lo, s41
	v_and_b32_e32 v1, 0xffff0000, v9
	s_mov_b32 s41, exec_lo
                                        ; implicit-def: $vgpr76
	s_delay_alu instid0(VALU_DEP_1) | instskip(NEXT) | instid1(VALU_DEP_1)
	v_mul_f32_e32 v1, v56, v1
	v_and_b32_e32 v4, 0x7f800000, v1
	s_delay_alu instid0(VALU_DEP_1)
	v_cmpx_ne_u32_e32 0x7f800000, v4
	s_xor_b32 s41, exec_lo, s41
; %bb.182:                              ;   in Loop: Header=BB10_137 Depth=3
	v_bfe_u32 v4, v1, 16, 1
	s_delay_alu instid0(VALU_DEP_1)
	v_add3_u32 v76, v1, v4, 0x7fff
                                        ; implicit-def: $vgpr1
; %bb.183:                              ;   in Loop: Header=BB10_137 Depth=3
	s_and_not1_saveexec_b32 s41, s41
; %bb.184:                              ;   in Loop: Header=BB10_137 Depth=3
	v_and_b32_e32 v4, 0xffff, v1
	v_or_b32_e32 v5, 0x10000, v1
	s_delay_alu instid0(VALU_DEP_2) | instskip(NEXT) | instid1(VALU_DEP_2)
	v_cmp_eq_u32_e32 vcc_lo, 0, v4
	v_cndmask_b32_e32 v76, v5, v1, vcc_lo
; %bb.185:                              ;   in Loop: Header=BB10_137 Depth=3
	s_or_b32 exec_lo, exec_lo, s41
	v_lshlrev_b32_e32 v1, 16, v10
	s_mov_b32 s41, exec_lo
                                        ; implicit-def: $vgpr77
	s_delay_alu instid0(VALU_DEP_1) | instskip(NEXT) | instid1(VALU_DEP_1)
	v_mul_f32_e32 v1, v56, v1
	v_and_b32_e32 v4, 0x7f800000, v1
	s_delay_alu instid0(VALU_DEP_1)
	v_cmpx_ne_u32_e32 0x7f800000, v4
	s_xor_b32 s41, exec_lo, s41
; %bb.186:                              ;   in Loop: Header=BB10_137 Depth=3
	v_bfe_u32 v4, v1, 16, 1
	s_delay_alu instid0(VALU_DEP_1)
	v_add3_u32 v77, v1, v4, 0x7fff
                                        ; implicit-def: $vgpr1
; %bb.187:                              ;   in Loop: Header=BB10_137 Depth=3
	s_and_not1_saveexec_b32 s41, s41
; %bb.188:                              ;   in Loop: Header=BB10_137 Depth=3
	v_and_b32_e32 v4, 0xffff, v1
	v_or_b32_e32 v5, 0x10000, v1
	s_delay_alu instid0(VALU_DEP_2) | instskip(NEXT) | instid1(VALU_DEP_2)
	v_cmp_eq_u32_e32 vcc_lo, 0, v4
	v_cndmask_b32_e32 v77, v5, v1, vcc_lo
; %bb.189:                              ;   in Loop: Header=BB10_137 Depth=3
	s_or_b32 exec_lo, exec_lo, s41
	v_and_b32_e32 v1, 0xffff0000, v10
	s_mov_b32 s41, exec_lo
                                        ; implicit-def: $vgpr92
	s_delay_alu instid0(VALU_DEP_1) | instskip(NEXT) | instid1(VALU_DEP_1)
	v_mul_f32_e32 v1, v56, v1
	v_and_b32_e32 v4, 0x7f800000, v1
	s_delay_alu instid0(VALU_DEP_1)
	v_cmpx_ne_u32_e32 0x7f800000, v4
	s_xor_b32 s41, exec_lo, s41
; %bb.190:                              ;   in Loop: Header=BB10_137 Depth=3
	v_bfe_u32 v4, v1, 16, 1
	s_delay_alu instid0(VALU_DEP_1)
	v_add3_u32 v92, v1, v4, 0x7fff
                                        ; implicit-def: $vgpr1
; %bb.191:                              ;   in Loop: Header=BB10_137 Depth=3
	s_and_not1_saveexec_b32 s41, s41
; %bb.192:                              ;   in Loop: Header=BB10_137 Depth=3
	v_and_b32_e32 v4, 0xffff, v1
	v_or_b32_e32 v5, 0x10000, v1
	s_delay_alu instid0(VALU_DEP_2) | instskip(NEXT) | instid1(VALU_DEP_2)
	v_cmp_eq_u32_e32 vcc_lo, 0, v4
	v_cndmask_b32_e32 v92, v5, v1, vcc_lo
; %bb.193:                              ;   in Loop: Header=BB10_137 Depth=3
	s_or_b32 exec_lo, exec_lo, s41
	v_lshlrev_b32_e32 v1, 16, v11
	s_mov_b32 s41, exec_lo
                                        ; implicit-def: $vgpr93
	s_delay_alu instid0(VALU_DEP_1) | instskip(NEXT) | instid1(VALU_DEP_1)
	v_mul_f32_e32 v1, v56, v1
	v_and_b32_e32 v4, 0x7f800000, v1
	s_delay_alu instid0(VALU_DEP_1)
	v_cmpx_ne_u32_e32 0x7f800000, v4
	s_xor_b32 s41, exec_lo, s41
; %bb.194:                              ;   in Loop: Header=BB10_137 Depth=3
	v_bfe_u32 v4, v1, 16, 1
	s_delay_alu instid0(VALU_DEP_1)
	v_add3_u32 v93, v1, v4, 0x7fff
                                        ; implicit-def: $vgpr1
; %bb.195:                              ;   in Loop: Header=BB10_137 Depth=3
	s_and_not1_saveexec_b32 s41, s41
; %bb.196:                              ;   in Loop: Header=BB10_137 Depth=3
	v_and_b32_e32 v4, 0xffff, v1
	v_or_b32_e32 v5, 0x10000, v1
	s_delay_alu instid0(VALU_DEP_2) | instskip(NEXT) | instid1(VALU_DEP_2)
	v_cmp_eq_u32_e32 vcc_lo, 0, v4
	v_cndmask_b32_e32 v93, v5, v1, vcc_lo
; %bb.197:                              ;   in Loop: Header=BB10_137 Depth=3
	s_or_b32 exec_lo, exec_lo, s41
	v_and_b32_e32 v1, 0xffff0000, v11
	s_mov_b32 s41, exec_lo
                                        ; implicit-def: $vgpr94
	s_delay_alu instid0(VALU_DEP_1) | instskip(NEXT) | instid1(VALU_DEP_1)
	v_mul_f32_e32 v1, v56, v1
	v_and_b32_e32 v4, 0x7f800000, v1
	s_delay_alu instid0(VALU_DEP_1)
	v_cmpx_ne_u32_e32 0x7f800000, v4
	s_xor_b32 s41, exec_lo, s41
; %bb.198:                              ;   in Loop: Header=BB10_137 Depth=3
	v_bfe_u32 v4, v1, 16, 1
	s_delay_alu instid0(VALU_DEP_1)
	v_add3_u32 v94, v1, v4, 0x7fff
                                        ; implicit-def: $vgpr1
; %bb.199:                              ;   in Loop: Header=BB10_137 Depth=3
	s_and_not1_saveexec_b32 s41, s41
; %bb.200:                              ;   in Loop: Header=BB10_137 Depth=3
	v_and_b32_e32 v4, 0xffff, v1
	v_or_b32_e32 v5, 0x10000, v1
	s_delay_alu instid0(VALU_DEP_2) | instskip(NEXT) | instid1(VALU_DEP_2)
	v_cmp_eq_u32_e32 vcc_lo, 0, v4
	v_cndmask_b32_e32 v94, v5, v1, vcc_lo
; %bb.201:                              ;   in Loop: Header=BB10_137 Depth=3
	s_or_b32 exec_lo, exec_lo, s41
	global_load_b128 v[8:11], v[44:45], off offset:1024 th:TH_LOAD_NT
	s_mov_b32 s41, exec_lo
                                        ; implicit-def: $vgpr95
	s_wait_loadcnt 0x0
	v_lshlrev_b32_e32 v1, 16, v8
	s_delay_alu instid0(VALU_DEP_1) | instskip(NEXT) | instid1(VALU_DEP_1)
	v_mul_f32_e32 v1, v56, v1
	v_and_b32_e32 v4, 0x7f800000, v1
	s_wait_xcnt 0x0
	s_delay_alu instid0(VALU_DEP_1)
	v_cmpx_ne_u32_e32 0x7f800000, v4
	s_xor_b32 s41, exec_lo, s41
; %bb.202:                              ;   in Loop: Header=BB10_137 Depth=3
	v_bfe_u32 v4, v1, 16, 1
	s_delay_alu instid0(VALU_DEP_1)
	v_add3_u32 v95, v1, v4, 0x7fff
                                        ; implicit-def: $vgpr1
; %bb.203:                              ;   in Loop: Header=BB10_137 Depth=3
	s_and_not1_saveexec_b32 s41, s41
; %bb.204:                              ;   in Loop: Header=BB10_137 Depth=3
	v_and_b32_e32 v4, 0xffff, v1
	v_or_b32_e32 v5, 0x10000, v1
	s_delay_alu instid0(VALU_DEP_2) | instskip(NEXT) | instid1(VALU_DEP_2)
	v_cmp_eq_u32_e32 vcc_lo, 0, v4
	v_cndmask_b32_e32 v95, v5, v1, vcc_lo
; %bb.205:                              ;   in Loop: Header=BB10_137 Depth=3
	s_or_b32 exec_lo, exec_lo, s41
	v_and_b32_e32 v1, 0xffff0000, v8
	s_mov_b32 s41, exec_lo
                                        ; implicit-def: $vgpr104
	s_delay_alu instid0(VALU_DEP_1) | instskip(NEXT) | instid1(VALU_DEP_1)
	v_mul_f32_e32 v1, v56, v1
	v_and_b32_e32 v4, 0x7f800000, v1
	s_delay_alu instid0(VALU_DEP_1)
	v_cmpx_ne_u32_e32 0x7f800000, v4
	s_xor_b32 s41, exec_lo, s41
; %bb.206:                              ;   in Loop: Header=BB10_137 Depth=3
	v_bfe_u32 v4, v1, 16, 1
	s_delay_alu instid0(VALU_DEP_1)
	v_add3_u32 v104, v1, v4, 0x7fff
                                        ; implicit-def: $vgpr1
; %bb.207:                              ;   in Loop: Header=BB10_137 Depth=3
	s_and_not1_saveexec_b32 s41, s41
; %bb.208:                              ;   in Loop: Header=BB10_137 Depth=3
	v_and_b32_e32 v4, 0xffff, v1
	v_or_b32_e32 v5, 0x10000, v1
	s_delay_alu instid0(VALU_DEP_2) | instskip(NEXT) | instid1(VALU_DEP_2)
	v_cmp_eq_u32_e32 vcc_lo, 0, v4
	v_cndmask_b32_e32 v104, v5, v1, vcc_lo
; %bb.209:                              ;   in Loop: Header=BB10_137 Depth=3
	s_or_b32 exec_lo, exec_lo, s41
	v_lshlrev_b32_e32 v1, 16, v9
	s_mov_b32 s41, exec_lo
                                        ; implicit-def: $vgpr105
	s_delay_alu instid0(VALU_DEP_1) | instskip(NEXT) | instid1(VALU_DEP_1)
	v_mul_f32_e32 v1, v56, v1
	v_and_b32_e32 v4, 0x7f800000, v1
	s_delay_alu instid0(VALU_DEP_1)
	v_cmpx_ne_u32_e32 0x7f800000, v4
	s_xor_b32 s41, exec_lo, s41
; %bb.210:                              ;   in Loop: Header=BB10_137 Depth=3
	v_bfe_u32 v4, v1, 16, 1
	s_delay_alu instid0(VALU_DEP_1)
	v_add3_u32 v105, v1, v4, 0x7fff
                                        ; implicit-def: $vgpr1
; %bb.211:                              ;   in Loop: Header=BB10_137 Depth=3
	s_and_not1_saveexec_b32 s41, s41
; %bb.212:                              ;   in Loop: Header=BB10_137 Depth=3
	v_and_b32_e32 v4, 0xffff, v1
	v_or_b32_e32 v5, 0x10000, v1
	s_delay_alu instid0(VALU_DEP_2) | instskip(NEXT) | instid1(VALU_DEP_2)
	v_cmp_eq_u32_e32 vcc_lo, 0, v4
	v_cndmask_b32_e32 v105, v5, v1, vcc_lo
; %bb.213:                              ;   in Loop: Header=BB10_137 Depth=3
	s_or_b32 exec_lo, exec_lo, s41
	v_and_b32_e32 v1, 0xffff0000, v9
	s_mov_b32 s41, exec_lo
                                        ; implicit-def: $vgpr106
	s_delay_alu instid0(VALU_DEP_1) | instskip(NEXT) | instid1(VALU_DEP_1)
	v_mul_f32_e32 v1, v56, v1
	v_and_b32_e32 v4, 0x7f800000, v1
	s_delay_alu instid0(VALU_DEP_1)
	v_cmpx_ne_u32_e32 0x7f800000, v4
	s_xor_b32 s41, exec_lo, s41
; %bb.214:                              ;   in Loop: Header=BB10_137 Depth=3
	v_bfe_u32 v4, v1, 16, 1
	s_delay_alu instid0(VALU_DEP_1)
	v_add3_u32 v106, v1, v4, 0x7fff
                                        ; implicit-def: $vgpr1
; %bb.215:                              ;   in Loop: Header=BB10_137 Depth=3
	s_and_not1_saveexec_b32 s41, s41
; %bb.216:                              ;   in Loop: Header=BB10_137 Depth=3
	v_and_b32_e32 v4, 0xffff, v1
	v_or_b32_e32 v5, 0x10000, v1
	s_delay_alu instid0(VALU_DEP_2) | instskip(NEXT) | instid1(VALU_DEP_2)
	v_cmp_eq_u32_e32 vcc_lo, 0, v4
	v_cndmask_b32_e32 v106, v5, v1, vcc_lo
; %bb.217:                              ;   in Loop: Header=BB10_137 Depth=3
	s_or_b32 exec_lo, exec_lo, s41
	v_lshlrev_b32_e32 v1, 16, v10
	s_mov_b32 s41, exec_lo
                                        ; implicit-def: $vgpr107
	s_delay_alu instid0(VALU_DEP_1) | instskip(NEXT) | instid1(VALU_DEP_1)
	v_mul_f32_e32 v1, v56, v1
	v_and_b32_e32 v4, 0x7f800000, v1
	s_delay_alu instid0(VALU_DEP_1)
	v_cmpx_ne_u32_e32 0x7f800000, v4
	s_xor_b32 s41, exec_lo, s41
; %bb.218:                              ;   in Loop: Header=BB10_137 Depth=3
	v_bfe_u32 v4, v1, 16, 1
	s_delay_alu instid0(VALU_DEP_1)
	v_add3_u32 v107, v1, v4, 0x7fff
                                        ; implicit-def: $vgpr1
; %bb.219:                              ;   in Loop: Header=BB10_137 Depth=3
	s_and_not1_saveexec_b32 s41, s41
; %bb.220:                              ;   in Loop: Header=BB10_137 Depth=3
	v_and_b32_e32 v4, 0xffff, v1
	v_or_b32_e32 v5, 0x10000, v1
	s_delay_alu instid0(VALU_DEP_2) | instskip(NEXT) | instid1(VALU_DEP_2)
	v_cmp_eq_u32_e32 vcc_lo, 0, v4
	v_cndmask_b32_e32 v107, v5, v1, vcc_lo
; %bb.221:                              ;   in Loop: Header=BB10_137 Depth=3
	s_or_b32 exec_lo, exec_lo, s41
	v_and_b32_e32 v1, 0xffff0000, v10
	s_mov_b32 s41, exec_lo
                                        ; implicit-def: $vgpr108
	s_delay_alu instid0(VALU_DEP_1) | instskip(NEXT) | instid1(VALU_DEP_1)
	v_mul_f32_e32 v1, v56, v1
	v_and_b32_e32 v4, 0x7f800000, v1
	s_delay_alu instid0(VALU_DEP_1)
	v_cmpx_ne_u32_e32 0x7f800000, v4
	s_xor_b32 s41, exec_lo, s41
; %bb.222:                              ;   in Loop: Header=BB10_137 Depth=3
	v_bfe_u32 v4, v1, 16, 1
	s_delay_alu instid0(VALU_DEP_1)
	v_add3_u32 v108, v1, v4, 0x7fff
                                        ; implicit-def: $vgpr1
; %bb.223:                              ;   in Loop: Header=BB10_137 Depth=3
	s_and_not1_saveexec_b32 s41, s41
; %bb.224:                              ;   in Loop: Header=BB10_137 Depth=3
	v_and_b32_e32 v4, 0xffff, v1
	v_or_b32_e32 v5, 0x10000, v1
	s_delay_alu instid0(VALU_DEP_2) | instskip(NEXT) | instid1(VALU_DEP_2)
	v_cmp_eq_u32_e32 vcc_lo, 0, v4
	v_cndmask_b32_e32 v108, v5, v1, vcc_lo
; %bb.225:                              ;   in Loop: Header=BB10_137 Depth=3
	s_or_b32 exec_lo, exec_lo, s41
	v_lshlrev_b32_e32 v1, 16, v11
	s_mov_b32 s41, exec_lo
                                        ; implicit-def: $vgpr109
	s_delay_alu instid0(VALU_DEP_1) | instskip(NEXT) | instid1(VALU_DEP_1)
	v_mul_f32_e32 v1, v56, v1
	v_and_b32_e32 v4, 0x7f800000, v1
	s_delay_alu instid0(VALU_DEP_1)
	v_cmpx_ne_u32_e32 0x7f800000, v4
	s_xor_b32 s41, exec_lo, s41
; %bb.226:                              ;   in Loop: Header=BB10_137 Depth=3
	v_bfe_u32 v4, v1, 16, 1
	s_delay_alu instid0(VALU_DEP_1)
	v_add3_u32 v109, v1, v4, 0x7fff
                                        ; implicit-def: $vgpr1
; %bb.227:                              ;   in Loop: Header=BB10_137 Depth=3
	s_and_not1_saveexec_b32 s41, s41
; %bb.228:                              ;   in Loop: Header=BB10_137 Depth=3
	v_and_b32_e32 v4, 0xffff, v1
	v_or_b32_e32 v5, 0x10000, v1
	s_delay_alu instid0(VALU_DEP_2) | instskip(NEXT) | instid1(VALU_DEP_2)
	v_cmp_eq_u32_e32 vcc_lo, 0, v4
	v_cndmask_b32_e32 v109, v5, v1, vcc_lo
; %bb.229:                              ;   in Loop: Header=BB10_137 Depth=3
	s_or_b32 exec_lo, exec_lo, s41
	v_and_b32_e32 v1, 0xffff0000, v11
	s_mov_b32 s41, exec_lo
                                        ; implicit-def: $vgpr110
	s_delay_alu instid0(VALU_DEP_1) | instskip(NEXT) | instid1(VALU_DEP_1)
	v_mul_f32_e32 v1, v56, v1
	v_and_b32_e32 v4, 0x7f800000, v1
	s_delay_alu instid0(VALU_DEP_1)
	v_cmpx_ne_u32_e32 0x7f800000, v4
	s_xor_b32 s41, exec_lo, s41
; %bb.230:                              ;   in Loop: Header=BB10_137 Depth=3
	v_bfe_u32 v4, v1, 16, 1
	s_delay_alu instid0(VALU_DEP_1)
	v_add3_u32 v110, v1, v4, 0x7fff
                                        ; implicit-def: $vgpr1
; %bb.231:                              ;   in Loop: Header=BB10_137 Depth=3
	s_and_not1_saveexec_b32 s41, s41
; %bb.232:                              ;   in Loop: Header=BB10_137 Depth=3
	v_and_b32_e32 v4, 0xffff, v1
	v_or_b32_e32 v5, 0x10000, v1
	s_delay_alu instid0(VALU_DEP_2) | instskip(NEXT) | instid1(VALU_DEP_2)
	v_cmp_eq_u32_e32 vcc_lo, 0, v4
	v_cndmask_b32_e32 v110, v5, v1, vcc_lo
; %bb.233:                              ;   in Loop: Header=BB10_137 Depth=3
	s_or_b32 exec_lo, exec_lo, s41
	global_load_b128 v[8:11], v[44:45], off offset:1536 th:TH_LOAD_NT
	s_mov_b32 s41, exec_lo
                                        ; implicit-def: $vgpr111
	s_wait_loadcnt 0x0
	v_lshlrev_b32_e32 v1, 16, v8
	s_delay_alu instid0(VALU_DEP_1) | instskip(NEXT) | instid1(VALU_DEP_1)
	v_mul_f32_e32 v1, v56, v1
	v_and_b32_e32 v4, 0x7f800000, v1
	s_wait_xcnt 0x0
	s_delay_alu instid0(VALU_DEP_1)
	v_cmpx_ne_u32_e32 0x7f800000, v4
	s_xor_b32 s41, exec_lo, s41
; %bb.234:                              ;   in Loop: Header=BB10_137 Depth=3
	v_bfe_u32 v4, v1, 16, 1
	s_delay_alu instid0(VALU_DEP_1)
	v_add3_u32 v111, v1, v4, 0x7fff
                                        ; implicit-def: $vgpr1
; %bb.235:                              ;   in Loop: Header=BB10_137 Depth=3
	s_and_not1_saveexec_b32 s41, s41
; %bb.236:                              ;   in Loop: Header=BB10_137 Depth=3
	v_and_b32_e32 v4, 0xffff, v1
	v_or_b32_e32 v5, 0x10000, v1
	s_delay_alu instid0(VALU_DEP_2) | instskip(NEXT) | instid1(VALU_DEP_2)
	v_cmp_eq_u32_e32 vcc_lo, 0, v4
	v_cndmask_b32_e32 v111, v5, v1, vcc_lo
; %bb.237:                              ;   in Loop: Header=BB10_137 Depth=3
	s_or_b32 exec_lo, exec_lo, s41
	v_and_b32_e32 v1, 0xffff0000, v8
	s_mov_b32 s41, exec_lo
                                        ; implicit-def: $vgpr120
	s_delay_alu instid0(VALU_DEP_1) | instskip(NEXT) | instid1(VALU_DEP_1)
	v_mul_f32_e32 v1, v56, v1
	v_and_b32_e32 v4, 0x7f800000, v1
	s_delay_alu instid0(VALU_DEP_1)
	v_cmpx_ne_u32_e32 0x7f800000, v4
	s_xor_b32 s41, exec_lo, s41
; %bb.238:                              ;   in Loop: Header=BB10_137 Depth=3
	v_bfe_u32 v4, v1, 16, 1
	s_delay_alu instid0(VALU_DEP_1)
	v_add3_u32 v120, v1, v4, 0x7fff
                                        ; implicit-def: $vgpr1
; %bb.239:                              ;   in Loop: Header=BB10_137 Depth=3
	s_and_not1_saveexec_b32 s41, s41
; %bb.240:                              ;   in Loop: Header=BB10_137 Depth=3
	v_and_b32_e32 v4, 0xffff, v1
	v_or_b32_e32 v5, 0x10000, v1
	s_delay_alu instid0(VALU_DEP_2) | instskip(NEXT) | instid1(VALU_DEP_2)
	v_cmp_eq_u32_e32 vcc_lo, 0, v4
	v_cndmask_b32_e32 v120, v5, v1, vcc_lo
; %bb.241:                              ;   in Loop: Header=BB10_137 Depth=3
	s_or_b32 exec_lo, exec_lo, s41
	v_lshlrev_b32_e32 v1, 16, v9
	s_mov_b32 s41, exec_lo
                                        ; implicit-def: $vgpr121
	s_delay_alu instid0(VALU_DEP_1) | instskip(NEXT) | instid1(VALU_DEP_1)
	v_mul_f32_e32 v1, v56, v1
	v_and_b32_e32 v4, 0x7f800000, v1
	s_delay_alu instid0(VALU_DEP_1)
	v_cmpx_ne_u32_e32 0x7f800000, v4
	s_xor_b32 s41, exec_lo, s41
; %bb.242:                              ;   in Loop: Header=BB10_137 Depth=3
	v_bfe_u32 v4, v1, 16, 1
	s_delay_alu instid0(VALU_DEP_1)
	v_add3_u32 v121, v1, v4, 0x7fff
                                        ; implicit-def: $vgpr1
; %bb.243:                              ;   in Loop: Header=BB10_137 Depth=3
	s_and_not1_saveexec_b32 s41, s41
; %bb.244:                              ;   in Loop: Header=BB10_137 Depth=3
	v_and_b32_e32 v4, 0xffff, v1
	v_or_b32_e32 v5, 0x10000, v1
	s_delay_alu instid0(VALU_DEP_2) | instskip(NEXT) | instid1(VALU_DEP_2)
	v_cmp_eq_u32_e32 vcc_lo, 0, v4
	v_cndmask_b32_e32 v121, v5, v1, vcc_lo
; %bb.245:                              ;   in Loop: Header=BB10_137 Depth=3
	s_or_b32 exec_lo, exec_lo, s41
	v_and_b32_e32 v1, 0xffff0000, v9
	s_mov_b32 s41, exec_lo
                                        ; implicit-def: $vgpr122
	s_delay_alu instid0(VALU_DEP_1) | instskip(NEXT) | instid1(VALU_DEP_1)
	v_mul_f32_e32 v1, v56, v1
	v_and_b32_e32 v4, 0x7f800000, v1
	s_delay_alu instid0(VALU_DEP_1)
	v_cmpx_ne_u32_e32 0x7f800000, v4
	s_xor_b32 s41, exec_lo, s41
; %bb.246:                              ;   in Loop: Header=BB10_137 Depth=3
	v_bfe_u32 v4, v1, 16, 1
	s_delay_alu instid0(VALU_DEP_1)
	v_add3_u32 v122, v1, v4, 0x7fff
                                        ; implicit-def: $vgpr1
; %bb.247:                              ;   in Loop: Header=BB10_137 Depth=3
	s_and_not1_saveexec_b32 s41, s41
; %bb.248:                              ;   in Loop: Header=BB10_137 Depth=3
	v_and_b32_e32 v4, 0xffff, v1
	v_or_b32_e32 v5, 0x10000, v1
	s_delay_alu instid0(VALU_DEP_2) | instskip(NEXT) | instid1(VALU_DEP_2)
	v_cmp_eq_u32_e32 vcc_lo, 0, v4
	v_cndmask_b32_e32 v122, v5, v1, vcc_lo
; %bb.249:                              ;   in Loop: Header=BB10_137 Depth=3
	s_or_b32 exec_lo, exec_lo, s41
	v_lshlrev_b32_e32 v1, 16, v10
	s_mov_b32 s41, exec_lo
                                        ; implicit-def: $vgpr123
	s_delay_alu instid0(VALU_DEP_1) | instskip(NEXT) | instid1(VALU_DEP_1)
	v_mul_f32_e32 v1, v56, v1
	v_and_b32_e32 v4, 0x7f800000, v1
	s_delay_alu instid0(VALU_DEP_1)
	v_cmpx_ne_u32_e32 0x7f800000, v4
	s_xor_b32 s41, exec_lo, s41
; %bb.250:                              ;   in Loop: Header=BB10_137 Depth=3
	v_bfe_u32 v4, v1, 16, 1
	s_delay_alu instid0(VALU_DEP_1)
	v_add3_u32 v123, v1, v4, 0x7fff
                                        ; implicit-def: $vgpr1
; %bb.251:                              ;   in Loop: Header=BB10_137 Depth=3
	s_and_not1_saveexec_b32 s41, s41
; %bb.252:                              ;   in Loop: Header=BB10_137 Depth=3
	v_and_b32_e32 v4, 0xffff, v1
	v_or_b32_e32 v5, 0x10000, v1
	s_delay_alu instid0(VALU_DEP_2) | instskip(NEXT) | instid1(VALU_DEP_2)
	v_cmp_eq_u32_e32 vcc_lo, 0, v4
	v_cndmask_b32_e32 v123, v5, v1, vcc_lo
; %bb.253:                              ;   in Loop: Header=BB10_137 Depth=3
	s_or_b32 exec_lo, exec_lo, s41
	v_and_b32_e32 v1, 0xffff0000, v10
	s_mov_b32 s41, exec_lo
                                        ; implicit-def: $vgpr124
	s_delay_alu instid0(VALU_DEP_1) | instskip(NEXT) | instid1(VALU_DEP_1)
	v_mul_f32_e32 v1, v56, v1
	v_and_b32_e32 v4, 0x7f800000, v1
	s_delay_alu instid0(VALU_DEP_1)
	v_cmpx_ne_u32_e32 0x7f800000, v4
	s_xor_b32 s41, exec_lo, s41
; %bb.254:                              ;   in Loop: Header=BB10_137 Depth=3
	v_bfe_u32 v4, v1, 16, 1
	s_delay_alu instid0(VALU_DEP_1)
	v_add3_u32 v124, v1, v4, 0x7fff
                                        ; implicit-def: $vgpr1
; %bb.255:                              ;   in Loop: Header=BB10_137 Depth=3
	s_and_not1_saveexec_b32 s41, s41
; %bb.256:                              ;   in Loop: Header=BB10_137 Depth=3
	v_and_b32_e32 v4, 0xffff, v1
	v_or_b32_e32 v5, 0x10000, v1
	s_delay_alu instid0(VALU_DEP_2) | instskip(NEXT) | instid1(VALU_DEP_2)
	v_cmp_eq_u32_e32 vcc_lo, 0, v4
	v_cndmask_b32_e32 v124, v5, v1, vcc_lo
; %bb.257:                              ;   in Loop: Header=BB10_137 Depth=3
	s_or_b32 exec_lo, exec_lo, s41
	v_lshlrev_b32_e32 v1, 16, v11
	s_mov_b32 s41, exec_lo
                                        ; implicit-def: $vgpr125
	s_delay_alu instid0(VALU_DEP_1) | instskip(NEXT) | instid1(VALU_DEP_1)
	v_mul_f32_e32 v1, v56, v1
	v_and_b32_e32 v4, 0x7f800000, v1
	s_delay_alu instid0(VALU_DEP_1)
	v_cmpx_ne_u32_e32 0x7f800000, v4
	s_xor_b32 s41, exec_lo, s41
; %bb.258:                              ;   in Loop: Header=BB10_137 Depth=3
	v_bfe_u32 v4, v1, 16, 1
	s_delay_alu instid0(VALU_DEP_1)
	v_add3_u32 v125, v1, v4, 0x7fff
                                        ; implicit-def: $vgpr1
; %bb.259:                              ;   in Loop: Header=BB10_137 Depth=3
	s_and_not1_saveexec_b32 s41, s41
; %bb.260:                              ;   in Loop: Header=BB10_137 Depth=3
	v_and_b32_e32 v4, 0xffff, v1
	v_or_b32_e32 v5, 0x10000, v1
	s_delay_alu instid0(VALU_DEP_2) | instskip(NEXT) | instid1(VALU_DEP_2)
	v_cmp_eq_u32_e32 vcc_lo, 0, v4
	v_cndmask_b32_e32 v125, v5, v1, vcc_lo
; %bb.261:                              ;   in Loop: Header=BB10_137 Depth=3
	s_or_b32 exec_lo, exec_lo, s41
	v_and_b32_e32 v1, 0xffff0000, v11
	s_mov_b32 s41, exec_lo
                                        ; implicit-def: $vgpr126
	s_delay_alu instid0(VALU_DEP_1) | instskip(NEXT) | instid1(VALU_DEP_1)
	v_mul_f32_e32 v1, v56, v1
	v_and_b32_e32 v4, 0x7f800000, v1
	s_delay_alu instid0(VALU_DEP_1)
	v_cmpx_ne_u32_e32 0x7f800000, v4
	s_xor_b32 s41, exec_lo, s41
; %bb.262:                              ;   in Loop: Header=BB10_137 Depth=3
	v_bfe_u32 v4, v1, 16, 1
	s_delay_alu instid0(VALU_DEP_1)
	v_add3_u32 v126, v1, v4, 0x7fff
                                        ; implicit-def: $vgpr1
; %bb.263:                              ;   in Loop: Header=BB10_137 Depth=3
	s_and_not1_saveexec_b32 s41, s41
; %bb.264:                              ;   in Loop: Header=BB10_137 Depth=3
	v_and_b32_e32 v4, 0xffff, v1
	v_or_b32_e32 v5, 0x10000, v1
	s_delay_alu instid0(VALU_DEP_2) | instskip(NEXT) | instid1(VALU_DEP_2)
	v_cmp_eq_u32_e32 vcc_lo, 0, v4
	v_cndmask_b32_e32 v126, v5, v1, vcc_lo
; %bb.265:                              ;   in Loop: Header=BB10_137 Depth=3
	s_or_b32 exec_lo, exec_lo, s41
	global_load_b128 v[8:11], v[44:45], off offset:2048 th:TH_LOAD_NT
	s_mov_b32 s41, exec_lo
                                        ; implicit-def: $vgpr26
	s_wait_loadcnt 0x0
	v_lshlrev_b32_e32 v1, 16, v8
	s_delay_alu instid0(VALU_DEP_1) | instskip(NEXT) | instid1(VALU_DEP_1)
	v_mul_f32_e32 v1, v56, v1
	v_and_b32_e32 v4, 0x7f800000, v1
	s_wait_xcnt 0x0
	s_delay_alu instid0(VALU_DEP_1)
	v_cmpx_ne_u32_e32 0x7f800000, v4
	s_xor_b32 s41, exec_lo, s41
; %bb.266:                              ;   in Loop: Header=BB10_137 Depth=3
	v_bfe_u32 v4, v1, 16, 1
	s_delay_alu instid0(VALU_DEP_1)
	v_add3_u32 v26, v1, v4, 0x7fff
                                        ; implicit-def: $vgpr1
; %bb.267:                              ;   in Loop: Header=BB10_137 Depth=3
	s_and_not1_saveexec_b32 s41, s41
; %bb.268:                              ;   in Loop: Header=BB10_137 Depth=3
	v_and_b32_e32 v4, 0xffff, v1
	v_or_b32_e32 v5, 0x10000, v1
	s_delay_alu instid0(VALU_DEP_2) | instskip(NEXT) | instid1(VALU_DEP_2)
	v_cmp_eq_u32_e32 vcc_lo, 0, v4
	v_cndmask_b32_e32 v26, v5, v1, vcc_lo
; %bb.269:                              ;   in Loop: Header=BB10_137 Depth=3
	s_or_b32 exec_lo, exec_lo, s41
	v_and_b32_e32 v1, 0xffff0000, v8
	s_delay_alu instid0(VALU_DEP_1) | instskip(NEXT) | instid1(VALU_DEP_1)
	v_mul_f32_e32 v1, v56, v1
	v_and_b32_e32 v4, 0x7f800000, v1
	s_delay_alu instid0(VALU_DEP_1) | instskip(SKIP_1) | instid1(SALU_CYCLE_1)
	v_cmp_ne_u32_e32 vcc_lo, 0x7f800000, v4
                                        ; implicit-def: $vgpr4
	s_and_saveexec_b32 s41, vcc_lo
	s_xor_b32 s41, exec_lo, s41
; %bb.270:                              ;   in Loop: Header=BB10_137 Depth=3
	v_bfe_u32 v4, v1, 16, 1
	s_delay_alu instid0(VALU_DEP_1)
	v_add3_u32 v4, v1, v4, 0x7fff
                                        ; implicit-def: $vgpr1
; %bb.271:                              ;   in Loop: Header=BB10_137 Depth=3
	s_and_not1_saveexec_b32 s41, s41
; %bb.272:                              ;   in Loop: Header=BB10_137 Depth=3
	v_and_b32_e32 v4, 0xffff, v1
	v_or_b32_e32 v5, 0x10000, v1
	s_delay_alu instid0(VALU_DEP_2) | instskip(NEXT) | instid1(VALU_DEP_2)
	v_cmp_eq_u32_e32 vcc_lo, 0, v4
	v_cndmask_b32_e32 v4, v5, v1, vcc_lo
; %bb.273:                              ;   in Loop: Header=BB10_137 Depth=3
	s_or_b32 exec_lo, exec_lo, s41
	v_lshlrev_b32_e32 v1, 16, v9
	s_delay_alu instid0(VALU_DEP_1) | instskip(NEXT) | instid1(VALU_DEP_1)
	v_mul_f32_e32 v1, v56, v1
	v_and_b32_e32 v5, 0x7f800000, v1
	s_delay_alu instid0(VALU_DEP_1) | instskip(SKIP_1) | instid1(SALU_CYCLE_1)
	v_cmp_ne_u32_e32 vcc_lo, 0x7f800000, v5
                                        ; implicit-def: $vgpr5
	s_and_saveexec_b32 s41, vcc_lo
	s_xor_b32 s41, exec_lo, s41
; %bb.274:                              ;   in Loop: Header=BB10_137 Depth=3
	v_bfe_u32 v5, v1, 16, 1
	s_delay_alu instid0(VALU_DEP_1)
	v_add3_u32 v5, v1, v5, 0x7fff
                                        ; implicit-def: $vgpr1
; %bb.275:                              ;   in Loop: Header=BB10_137 Depth=3
	s_and_not1_saveexec_b32 s41, s41
; %bb.276:                              ;   in Loop: Header=BB10_137 Depth=3
	v_and_b32_e32 v5, 0xffff, v1
	v_or_b32_e32 v8, 0x10000, v1
	s_delay_alu instid0(VALU_DEP_2) | instskip(NEXT) | instid1(VALU_DEP_2)
	v_cmp_eq_u32_e32 vcc_lo, 0, v5
	v_cndmask_b32_e32 v5, v8, v1, vcc_lo
; %bb.277:                              ;   in Loop: Header=BB10_137 Depth=3
	s_or_b32 exec_lo, exec_lo, s41
	v_and_b32_e32 v1, 0xffff0000, v9
	s_mov_b32 s41, exec_lo
                                        ; implicit-def: $vgpr24
	s_delay_alu instid0(VALU_DEP_1) | instskip(NEXT) | instid1(VALU_DEP_1)
	v_mul_f32_e32 v1, v56, v1
	v_and_b32_e32 v8, 0x7f800000, v1
	s_delay_alu instid0(VALU_DEP_1)
	v_cmpx_ne_u32_e32 0x7f800000, v8
	s_xor_b32 s41, exec_lo, s41
; %bb.278:                              ;   in Loop: Header=BB10_137 Depth=3
	v_bfe_u32 v8, v1, 16, 1
	s_delay_alu instid0(VALU_DEP_1)
	v_add3_u32 v24, v1, v8, 0x7fff
                                        ; implicit-def: $vgpr1
; %bb.279:                              ;   in Loop: Header=BB10_137 Depth=3
	s_and_not1_saveexec_b32 s41, s41
; %bb.280:                              ;   in Loop: Header=BB10_137 Depth=3
	v_and_b32_e32 v8, 0xffff, v1
	v_or_b32_e32 v9, 0x10000, v1
	s_delay_alu instid0(VALU_DEP_2) | instskip(NEXT) | instid1(VALU_DEP_2)
	v_cmp_eq_u32_e32 vcc_lo, 0, v8
	v_cndmask_b32_e32 v24, v9, v1, vcc_lo
; %bb.281:                              ;   in Loop: Header=BB10_137 Depth=3
	s_or_b32 exec_lo, exec_lo, s41
	v_lshlrev_b32_e32 v1, 16, v10
	s_mov_b32 s41, exec_lo
                                        ; implicit-def: $vgpr25
	s_delay_alu instid0(VALU_DEP_1) | instskip(NEXT) | instid1(VALU_DEP_1)
	v_mul_f32_e32 v1, v56, v1
	v_and_b32_e32 v8, 0x7f800000, v1
	s_delay_alu instid0(VALU_DEP_1)
	v_cmpx_ne_u32_e32 0x7f800000, v8
	s_xor_b32 s41, exec_lo, s41
; %bb.282:                              ;   in Loop: Header=BB10_137 Depth=3
	v_bfe_u32 v8, v1, 16, 1
	s_delay_alu instid0(VALU_DEP_1)
	v_add3_u32 v25, v1, v8, 0x7fff
                                        ; implicit-def: $vgpr1
; %bb.283:                              ;   in Loop: Header=BB10_137 Depth=3
	s_and_not1_saveexec_b32 s41, s41
; %bb.284:                              ;   in Loop: Header=BB10_137 Depth=3
	v_and_b32_e32 v8, 0xffff, v1
	v_or_b32_e32 v9, 0x10000, v1
	s_delay_alu instid0(VALU_DEP_2) | instskip(NEXT) | instid1(VALU_DEP_2)
	v_cmp_eq_u32_e32 vcc_lo, 0, v8
	v_cndmask_b32_e32 v25, v9, v1, vcc_lo
; %bb.285:                              ;   in Loop: Header=BB10_137 Depth=3
	s_or_b32 exec_lo, exec_lo, s41
	v_and_b32_e32 v1, 0xffff0000, v10
	s_mov_b32 s41, exec_lo
                                        ; implicit-def: $vgpr27
	s_delay_alu instid0(VALU_DEP_1) | instskip(NEXT) | instid1(VALU_DEP_1)
	v_mul_f32_e32 v1, v56, v1
	v_and_b32_e32 v8, 0x7f800000, v1
	s_delay_alu instid0(VALU_DEP_1)
	v_cmpx_ne_u32_e32 0x7f800000, v8
	s_xor_b32 s41, exec_lo, s41
; %bb.286:                              ;   in Loop: Header=BB10_137 Depth=3
	v_bfe_u32 v8, v1, 16, 1
	s_delay_alu instid0(VALU_DEP_1)
	v_add3_u32 v27, v1, v8, 0x7fff
                                        ; implicit-def: $vgpr1
; %bb.287:                              ;   in Loop: Header=BB10_137 Depth=3
	s_and_not1_saveexec_b32 s41, s41
; %bb.288:                              ;   in Loop: Header=BB10_137 Depth=3
	v_and_b32_e32 v8, 0xffff, v1
	v_or_b32_e32 v9, 0x10000, v1
	s_delay_alu instid0(VALU_DEP_2) | instskip(NEXT) | instid1(VALU_DEP_2)
	v_cmp_eq_u32_e32 vcc_lo, 0, v8
	v_cndmask_b32_e32 v27, v9, v1, vcc_lo
; %bb.289:                              ;   in Loop: Header=BB10_137 Depth=3
	s_or_b32 exec_lo, exec_lo, s41
	v_lshlrev_b32_e32 v1, 16, v11
	s_mov_b32 s41, exec_lo
                                        ; implicit-def: $vgpr28
	s_delay_alu instid0(VALU_DEP_1) | instskip(NEXT) | instid1(VALU_DEP_1)
	v_mul_f32_e32 v1, v56, v1
	v_and_b32_e32 v8, 0x7f800000, v1
	s_delay_alu instid0(VALU_DEP_1)
	v_cmpx_ne_u32_e32 0x7f800000, v8
	s_xor_b32 s41, exec_lo, s41
; %bb.290:                              ;   in Loop: Header=BB10_137 Depth=3
	v_bfe_u32 v8, v1, 16, 1
	s_delay_alu instid0(VALU_DEP_1)
	v_add3_u32 v28, v1, v8, 0x7fff
                                        ; implicit-def: $vgpr1
; %bb.291:                              ;   in Loop: Header=BB10_137 Depth=3
	s_and_not1_saveexec_b32 s41, s41
; %bb.292:                              ;   in Loop: Header=BB10_137 Depth=3
	v_and_b32_e32 v8, 0xffff, v1
	v_or_b32_e32 v9, 0x10000, v1
	s_delay_alu instid0(VALU_DEP_2) | instskip(NEXT) | instid1(VALU_DEP_2)
	v_cmp_eq_u32_e32 vcc_lo, 0, v8
	v_cndmask_b32_e32 v28, v9, v1, vcc_lo
; %bb.293:                              ;   in Loop: Header=BB10_137 Depth=3
	s_or_b32 exec_lo, exec_lo, s41
	v_and_b32_e32 v1, 0xffff0000, v11
	s_mov_b32 s41, exec_lo
                                        ; implicit-def: $vgpr29
	s_delay_alu instid0(VALU_DEP_1) | instskip(NEXT) | instid1(VALU_DEP_1)
	v_mul_f32_e32 v1, v56, v1
	v_and_b32_e32 v8, 0x7f800000, v1
	s_delay_alu instid0(VALU_DEP_1)
	v_cmpx_ne_u32_e32 0x7f800000, v8
	s_xor_b32 s41, exec_lo, s41
; %bb.294:                              ;   in Loop: Header=BB10_137 Depth=3
	v_bfe_u32 v8, v1, 16, 1
	s_delay_alu instid0(VALU_DEP_1)
	v_add3_u32 v29, v1, v8, 0x7fff
                                        ; implicit-def: $vgpr1
; %bb.295:                              ;   in Loop: Header=BB10_137 Depth=3
	s_and_not1_saveexec_b32 s41, s41
; %bb.296:                              ;   in Loop: Header=BB10_137 Depth=3
	v_and_b32_e32 v8, 0xffff, v1
	v_or_b32_e32 v9, 0x10000, v1
	s_delay_alu instid0(VALU_DEP_2) | instskip(NEXT) | instid1(VALU_DEP_2)
	v_cmp_eq_u32_e32 vcc_lo, 0, v8
	v_cndmask_b32_e32 v29, v9, v1, vcc_lo
; %bb.297:                              ;   in Loop: Header=BB10_137 Depth=3
	s_or_b32 exec_lo, exec_lo, s41
	global_load_b128 v[8:11], v[44:45], off offset:2560 th:TH_LOAD_NT
	s_mov_b32 s41, exec_lo
                                        ; implicit-def: $vgpr64
	s_wait_loadcnt 0x0
	v_lshlrev_b32_e32 v1, 16, v8
	s_delay_alu instid0(VALU_DEP_1) | instskip(NEXT) | instid1(VALU_DEP_1)
	v_mul_f32_e32 v1, v56, v1
	v_and_b32_e32 v16, 0x7f800000, v1
	s_wait_xcnt 0x0
	s_delay_alu instid0(VALU_DEP_1)
	v_cmpx_ne_u32_e32 0x7f800000, v16
	s_xor_b32 s41, exec_lo, s41
; %bb.298:                              ;   in Loop: Header=BB10_137 Depth=3
	v_bfe_u32 v16, v1, 16, 1
	s_delay_alu instid0(VALU_DEP_1)
	v_add3_u32 v64, v1, v16, 0x7fff
                                        ; implicit-def: $vgpr1
; %bb.299:                              ;   in Loop: Header=BB10_137 Depth=3
	s_and_not1_saveexec_b32 s41, s41
; %bb.300:                              ;   in Loop: Header=BB10_137 Depth=3
	v_and_b32_e32 v16, 0xffff, v1
	v_or_b32_e32 v17, 0x10000, v1
	s_delay_alu instid0(VALU_DEP_2) | instskip(NEXT) | instid1(VALU_DEP_2)
	v_cmp_eq_u32_e32 vcc_lo, 0, v16
	v_cndmask_b32_e32 v64, v17, v1, vcc_lo
; %bb.301:                              ;   in Loop: Header=BB10_137 Depth=3
	s_or_b32 exec_lo, exec_lo, s41
	v_and_b32_e32 v1, 0xffff0000, v8
	s_mov_b32 s41, exec_lo
                                        ; implicit-def: $vgpr65
	s_delay_alu instid0(VALU_DEP_1) | instskip(NEXT) | instid1(VALU_DEP_1)
	v_mul_f32_e32 v1, v56, v1
	v_and_b32_e32 v8, 0x7f800000, v1
	s_delay_alu instid0(VALU_DEP_1)
	v_cmpx_ne_u32_e32 0x7f800000, v8
	s_xor_b32 s41, exec_lo, s41
; %bb.302:                              ;   in Loop: Header=BB10_137 Depth=3
	v_bfe_u32 v8, v1, 16, 1
	s_delay_alu instid0(VALU_DEP_1)
	v_add3_u32 v65, v1, v8, 0x7fff
                                        ; implicit-def: $vgpr1
; %bb.303:                              ;   in Loop: Header=BB10_137 Depth=3
	s_and_not1_saveexec_b32 s41, s41
; %bb.304:                              ;   in Loop: Header=BB10_137 Depth=3
	v_and_b32_e32 v8, 0xffff, v1
	v_or_b32_e32 v16, 0x10000, v1
	s_delay_alu instid0(VALU_DEP_2) | instskip(NEXT) | instid1(VALU_DEP_2)
	v_cmp_eq_u32_e32 vcc_lo, 0, v8
	v_cndmask_b32_e32 v65, v16, v1, vcc_lo
; %bb.305:                              ;   in Loop: Header=BB10_137 Depth=3
	s_or_b32 exec_lo, exec_lo, s41
	v_lshlrev_b32_e32 v1, 16, v9
	s_mov_b32 s41, exec_lo
                                        ; implicit-def: $vgpr66
	s_delay_alu instid0(VALU_DEP_1) | instskip(NEXT) | instid1(VALU_DEP_1)
	v_mul_f32_e32 v1, v56, v1
	v_and_b32_e32 v8, 0x7f800000, v1
	s_delay_alu instid0(VALU_DEP_1)
	v_cmpx_ne_u32_e32 0x7f800000, v8
	s_xor_b32 s41, exec_lo, s41
; %bb.306:                              ;   in Loop: Header=BB10_137 Depth=3
	v_bfe_u32 v8, v1, 16, 1
	s_delay_alu instid0(VALU_DEP_1)
	v_add3_u32 v66, v1, v8, 0x7fff
                                        ; implicit-def: $vgpr1
; %bb.307:                              ;   in Loop: Header=BB10_137 Depth=3
	s_and_not1_saveexec_b32 s41, s41
; %bb.308:                              ;   in Loop: Header=BB10_137 Depth=3
	v_and_b32_e32 v8, 0xffff, v1
	v_or_b32_e32 v16, 0x10000, v1
	s_delay_alu instid0(VALU_DEP_2) | instskip(NEXT) | instid1(VALU_DEP_2)
	v_cmp_eq_u32_e32 vcc_lo, 0, v8
	v_cndmask_b32_e32 v66, v16, v1, vcc_lo
; %bb.309:                              ;   in Loop: Header=BB10_137 Depth=3
	s_or_b32 exec_lo, exec_lo, s41
	v_and_b32_e32 v1, 0xffff0000, v9
	s_mov_b32 s41, exec_lo
                                        ; implicit-def: $vgpr67
	s_delay_alu instid0(VALU_DEP_1) | instskip(NEXT) | instid1(VALU_DEP_1)
	v_mul_f32_e32 v1, v56, v1
	v_and_b32_e32 v8, 0x7f800000, v1
	s_delay_alu instid0(VALU_DEP_1)
	v_cmpx_ne_u32_e32 0x7f800000, v8
	s_xor_b32 s41, exec_lo, s41
; %bb.310:                              ;   in Loop: Header=BB10_137 Depth=3
	v_bfe_u32 v8, v1, 16, 1
	s_delay_alu instid0(VALU_DEP_1)
	v_add3_u32 v67, v1, v8, 0x7fff
                                        ; implicit-def: $vgpr1
; %bb.311:                              ;   in Loop: Header=BB10_137 Depth=3
	s_and_not1_saveexec_b32 s41, s41
; %bb.312:                              ;   in Loop: Header=BB10_137 Depth=3
	v_and_b32_e32 v8, 0xffff, v1
	v_or_b32_e32 v9, 0x10000, v1
	s_delay_alu instid0(VALU_DEP_2) | instskip(NEXT) | instid1(VALU_DEP_2)
	v_cmp_eq_u32_e32 vcc_lo, 0, v8
	v_cndmask_b32_e32 v67, v9, v1, vcc_lo
; %bb.313:                              ;   in Loop: Header=BB10_137 Depth=3
	s_or_b32 exec_lo, exec_lo, s41
	v_lshlrev_b32_e32 v1, 16, v10
	s_mov_b32 s41, exec_lo
                                        ; implicit-def: $vgpr118
	s_delay_alu instid0(VALU_DEP_1) | instskip(NEXT) | instid1(VALU_DEP_1)
	v_mul_f32_e32 v1, v56, v1
	v_and_b32_e32 v8, 0x7f800000, v1
	s_delay_alu instid0(VALU_DEP_1)
	v_cmpx_ne_u32_e32 0x7f800000, v8
	s_xor_b32 s41, exec_lo, s41
; %bb.314:                              ;   in Loop: Header=BB10_137 Depth=3
	v_bfe_u32 v8, v1, 16, 1
	s_delay_alu instid0(VALU_DEP_1)
	v_add3_u32 v118, v1, v8, 0x7fff
                                        ; implicit-def: $vgpr1
; %bb.315:                              ;   in Loop: Header=BB10_137 Depth=3
	s_and_not1_saveexec_b32 s41, s41
; %bb.316:                              ;   in Loop: Header=BB10_137 Depth=3
	v_and_b32_e32 v8, 0xffff, v1
	v_or_b32_e32 v9, 0x10000, v1
	s_delay_alu instid0(VALU_DEP_2) | instskip(NEXT) | instid1(VALU_DEP_2)
	v_cmp_eq_u32_e32 vcc_lo, 0, v8
	v_cndmask_b32_e32 v118, v9, v1, vcc_lo
; %bb.317:                              ;   in Loop: Header=BB10_137 Depth=3
	s_or_b32 exec_lo, exec_lo, s41
	v_and_b32_e32 v1, 0xffff0000, v10
	s_mov_b32 s41, exec_lo
                                        ; implicit-def: $vgpr119
	s_delay_alu instid0(VALU_DEP_1) | instskip(NEXT) | instid1(VALU_DEP_1)
	v_mul_f32_e32 v1, v56, v1
	v_and_b32_e32 v8, 0x7f800000, v1
	s_delay_alu instid0(VALU_DEP_1)
	v_cmpx_ne_u32_e32 0x7f800000, v8
	s_xor_b32 s41, exec_lo, s41
; %bb.318:                              ;   in Loop: Header=BB10_137 Depth=3
	v_bfe_u32 v8, v1, 16, 1
	s_delay_alu instid0(VALU_DEP_1)
	v_add3_u32 v119, v1, v8, 0x7fff
                                        ; implicit-def: $vgpr1
; %bb.319:                              ;   in Loop: Header=BB10_137 Depth=3
	s_and_not1_saveexec_b32 s41, s41
; %bb.320:                              ;   in Loop: Header=BB10_137 Depth=3
	v_and_b32_e32 v8, 0xffff, v1
	v_or_b32_e32 v9, 0x10000, v1
	s_delay_alu instid0(VALU_DEP_2) | instskip(NEXT) | instid1(VALU_DEP_2)
	v_cmp_eq_u32_e32 vcc_lo, 0, v8
	v_cndmask_b32_e32 v119, v9, v1, vcc_lo
; %bb.321:                              ;   in Loop: Header=BB10_137 Depth=3
	s_or_b32 exec_lo, exec_lo, s41
	v_lshlrev_b32_e32 v1, 16, v11
	s_mov_b32 s41, exec_lo
                                        ; implicit-def: $vgpr78
	s_delay_alu instid0(VALU_DEP_1) | instskip(NEXT) | instid1(VALU_DEP_1)
	v_mul_f32_e32 v1, v56, v1
	v_and_b32_e32 v8, 0x7f800000, v1
	s_delay_alu instid0(VALU_DEP_1)
	v_cmpx_ne_u32_e32 0x7f800000, v8
	s_xor_b32 s41, exec_lo, s41
; %bb.322:                              ;   in Loop: Header=BB10_137 Depth=3
	v_bfe_u32 v8, v1, 16, 1
	s_delay_alu instid0(VALU_DEP_1)
	v_add3_u32 v78, v1, v8, 0x7fff
                                        ; implicit-def: $vgpr1
; %bb.323:                              ;   in Loop: Header=BB10_137 Depth=3
	s_and_not1_saveexec_b32 s41, s41
; %bb.324:                              ;   in Loop: Header=BB10_137 Depth=3
	v_and_b32_e32 v8, 0xffff, v1
	v_or_b32_e32 v9, 0x10000, v1
	s_delay_alu instid0(VALU_DEP_2) | instskip(NEXT) | instid1(VALU_DEP_2)
	v_cmp_eq_u32_e32 vcc_lo, 0, v8
	v_cndmask_b32_e32 v78, v9, v1, vcc_lo
; %bb.325:                              ;   in Loop: Header=BB10_137 Depth=3
	s_or_b32 exec_lo, exec_lo, s41
	v_and_b32_e32 v1, 0xffff0000, v11
	s_mov_b32 s41, exec_lo
                                        ; implicit-def: $vgpr79
	s_delay_alu instid0(VALU_DEP_1) | instskip(NEXT) | instid1(VALU_DEP_1)
	v_mul_f32_e32 v1, v56, v1
	v_and_b32_e32 v8, 0x7f800000, v1
	s_delay_alu instid0(VALU_DEP_1)
	v_cmpx_ne_u32_e32 0x7f800000, v8
	s_xor_b32 s41, exec_lo, s41
; %bb.326:                              ;   in Loop: Header=BB10_137 Depth=3
	v_bfe_u32 v8, v1, 16, 1
	s_delay_alu instid0(VALU_DEP_1)
	v_add3_u32 v79, v1, v8, 0x7fff
                                        ; implicit-def: $vgpr1
; %bb.327:                              ;   in Loop: Header=BB10_137 Depth=3
	s_and_not1_saveexec_b32 s41, s41
; %bb.328:                              ;   in Loop: Header=BB10_137 Depth=3
	v_and_b32_e32 v8, 0xffff, v1
	v_or_b32_e32 v9, 0x10000, v1
	s_delay_alu instid0(VALU_DEP_2) | instskip(NEXT) | instid1(VALU_DEP_2)
	v_cmp_eq_u32_e32 vcc_lo, 0, v8
	v_cndmask_b32_e32 v79, v9, v1, vcc_lo
; %bb.329:                              ;   in Loop: Header=BB10_137 Depth=3
	s_or_b32 exec_lo, exec_lo, s41
	global_load_b128 v[8:11], v[44:45], off offset:3072 th:TH_LOAD_NT
	s_mov_b32 s41, exec_lo
                                        ; implicit-def: $vgpr31
	s_wait_loadcnt 0x0
	v_lshlrev_b32_e32 v1, 16, v8
	s_delay_alu instid0(VALU_DEP_1) | instskip(NEXT) | instid1(VALU_DEP_1)
	v_mul_f32_e32 v1, v56, v1
	v_and_b32_e32 v16, 0x7f800000, v1
	s_wait_xcnt 0x0
	s_delay_alu instid0(VALU_DEP_1)
	v_cmpx_ne_u32_e32 0x7f800000, v16
	s_xor_b32 s41, exec_lo, s41
; %bb.330:                              ;   in Loop: Header=BB10_137 Depth=3
	v_bfe_u32 v16, v1, 16, 1
	s_delay_alu instid0(VALU_DEP_1)
	v_add3_u32 v31, v1, v16, 0x7fff
                                        ; implicit-def: $vgpr1
; %bb.331:                              ;   in Loop: Header=BB10_137 Depth=3
	s_and_not1_saveexec_b32 s41, s41
; %bb.332:                              ;   in Loop: Header=BB10_137 Depth=3
	v_and_b32_e32 v16, 0xffff, v1
	v_or_b32_e32 v17, 0x10000, v1
	s_delay_alu instid0(VALU_DEP_2) | instskip(NEXT) | instid1(VALU_DEP_2)
	v_cmp_eq_u32_e32 vcc_lo, 0, v16
	v_cndmask_b32_e32 v31, v17, v1, vcc_lo
; %bb.333:                              ;   in Loop: Header=BB10_137 Depth=3
	s_or_b32 exec_lo, exec_lo, s41
	v_and_b32_e32 v1, 0xffff0000, v8
	s_delay_alu instid0(VALU_DEP_1) | instskip(NEXT) | instid1(VALU_DEP_1)
	v_mul_f32_e32 v8, v56, v1
	v_and_b32_e32 v1, 0x7f800000, v8
	s_delay_alu instid0(VALU_DEP_1) | instskip(SKIP_1) | instid1(SALU_CYCLE_1)
	v_cmp_ne_u32_e32 vcc_lo, 0x7f800000, v1
                                        ; implicit-def: $vgpr1
	s_and_saveexec_b32 s41, vcc_lo
	s_xor_b32 s41, exec_lo, s41
; %bb.334:                              ;   in Loop: Header=BB10_137 Depth=3
	v_bfe_u32 v1, v8, 16, 1
	s_delay_alu instid0(VALU_DEP_1)
	v_add3_u32 v1, v8, v1, 0x7fff
                                        ; implicit-def: $vgpr8
; %bb.335:                              ;   in Loop: Header=BB10_137 Depth=3
	s_and_not1_saveexec_b32 s41, s41
; %bb.336:                              ;   in Loop: Header=BB10_137 Depth=3
	v_and_b32_e32 v1, 0xffff, v8
	v_or_b32_e32 v16, 0x10000, v8
	s_delay_alu instid0(VALU_DEP_2) | instskip(NEXT) | instid1(VALU_DEP_2)
	v_cmp_eq_u32_e32 vcc_lo, 0, v1
	v_cndmask_b32_e32 v1, v16, v8, vcc_lo
; %bb.337:                              ;   in Loop: Header=BB10_137 Depth=3
	s_or_b32 exec_lo, exec_lo, s41
	v_lshlrev_b32_e32 v8, 16, v9
	s_mov_b32 s41, exec_lo
                                        ; implicit-def: $vgpr88
	s_delay_alu instid0(VALU_DEP_1) | instskip(NEXT) | instid1(VALU_DEP_1)
	v_mul_f32_e32 v8, v56, v8
	v_and_b32_e32 v16, 0x7f800000, v8
	s_delay_alu instid0(VALU_DEP_1)
	v_cmpx_ne_u32_e32 0x7f800000, v16
	s_xor_b32 s41, exec_lo, s41
; %bb.338:                              ;   in Loop: Header=BB10_137 Depth=3
	v_bfe_u32 v16, v8, 16, 1
	s_delay_alu instid0(VALU_DEP_1)
	v_add3_u32 v88, v8, v16, 0x7fff
                                        ; implicit-def: $vgpr8
; %bb.339:                              ;   in Loop: Header=BB10_137 Depth=3
	s_and_not1_saveexec_b32 s41, s41
; %bb.340:                              ;   in Loop: Header=BB10_137 Depth=3
	v_and_b32_e32 v16, 0xffff, v8
	v_or_b32_e32 v17, 0x10000, v8
	s_delay_alu instid0(VALU_DEP_2) | instskip(NEXT) | instid1(VALU_DEP_2)
	v_cmp_eq_u32_e32 vcc_lo, 0, v16
	v_cndmask_b32_e32 v88, v17, v8, vcc_lo
; %bb.341:                              ;   in Loop: Header=BB10_137 Depth=3
	s_or_b32 exec_lo, exec_lo, s41
	v_and_b32_e32 v8, 0xffff0000, v9
	s_mov_b32 s41, exec_lo
                                        ; implicit-def: $vgpr16
	s_delay_alu instid0(VALU_DEP_1) | instskip(NEXT) | instid1(VALU_DEP_1)
	v_mul_f32_e32 v8, v56, v8
	v_and_b32_e32 v9, 0x7f800000, v8
	s_delay_alu instid0(VALU_DEP_1)
	v_cmpx_ne_u32_e32 0x7f800000, v9
	s_xor_b32 s41, exec_lo, s41
; %bb.342:                              ;   in Loop: Header=BB10_137 Depth=3
	v_bfe_u32 v9, v8, 16, 1
	s_delay_alu instid0(VALU_DEP_1)
	v_add3_u32 v16, v8, v9, 0x7fff
                                        ; implicit-def: $vgpr8
; %bb.343:                              ;   in Loop: Header=BB10_137 Depth=3
	s_and_not1_saveexec_b32 s41, s41
; %bb.344:                              ;   in Loop: Header=BB10_137 Depth=3
	v_and_b32_e32 v9, 0xffff, v8
	v_or_b32_e32 v16, 0x10000, v8
	s_delay_alu instid0(VALU_DEP_2) | instskip(NEXT) | instid1(VALU_DEP_2)
	v_cmp_eq_u32_e32 vcc_lo, 0, v9
	v_cndmask_b32_e32 v16, v16, v8, vcc_lo
; %bb.345:                              ;   in Loop: Header=BB10_137 Depth=3
	s_or_b32 exec_lo, exec_lo, s41
	v_lshlrev_b32_e32 v8, 16, v10
	s_mov_b32 s41, exec_lo
                                        ; implicit-def: $vgpr17
	s_delay_alu instid0(VALU_DEP_1) | instskip(NEXT) | instid1(VALU_DEP_1)
	v_mul_f32_e32 v8, v56, v8
	v_and_b32_e32 v9, 0x7f800000, v8
	s_delay_alu instid0(VALU_DEP_1)
	v_cmpx_ne_u32_e32 0x7f800000, v9
	s_xor_b32 s41, exec_lo, s41
; %bb.346:                              ;   in Loop: Header=BB10_137 Depth=3
	v_bfe_u32 v9, v8, 16, 1
	s_delay_alu instid0(VALU_DEP_1)
	v_add3_u32 v17, v8, v9, 0x7fff
                                        ; implicit-def: $vgpr8
; %bb.347:                              ;   in Loop: Header=BB10_137 Depth=3
	s_and_not1_saveexec_b32 s41, s41
; %bb.348:                              ;   in Loop: Header=BB10_137 Depth=3
	v_and_b32_e32 v9, 0xffff, v8
	v_or_b32_e32 v17, 0x10000, v8
	s_delay_alu instid0(VALU_DEP_2) | instskip(NEXT) | instid1(VALU_DEP_2)
	v_cmp_eq_u32_e32 vcc_lo, 0, v9
	v_cndmask_b32_e32 v17, v17, v8, vcc_lo
; %bb.349:                              ;   in Loop: Header=BB10_137 Depth=3
	s_or_b32 exec_lo, exec_lo, s41
	v_and_b32_e32 v8, 0xffff0000, v10
	s_mov_b32 s41, exec_lo
                                        ; implicit-def: $vgpr54
	s_delay_alu instid0(VALU_DEP_1) | instskip(NEXT) | instid1(VALU_DEP_1)
	v_mul_f32_e32 v8, v56, v8
	v_and_b32_e32 v9, 0x7f800000, v8
	s_delay_alu instid0(VALU_DEP_1)
	v_cmpx_ne_u32_e32 0x7f800000, v9
	s_xor_b32 s41, exec_lo, s41
; %bb.350:                              ;   in Loop: Header=BB10_137 Depth=3
	v_bfe_u32 v9, v8, 16, 1
	s_delay_alu instid0(VALU_DEP_1)
	v_add3_u32 v54, v8, v9, 0x7fff
                                        ; implicit-def: $vgpr8
; %bb.351:                              ;   in Loop: Header=BB10_137 Depth=3
	s_and_not1_saveexec_b32 s41, s41
; %bb.352:                              ;   in Loop: Header=BB10_137 Depth=3
	v_and_b32_e32 v9, 0xffff, v8
	v_or_b32_e32 v10, 0x10000, v8
	s_delay_alu instid0(VALU_DEP_2) | instskip(NEXT) | instid1(VALU_DEP_2)
	v_cmp_eq_u32_e32 vcc_lo, 0, v9
	v_cndmask_b32_e32 v54, v10, v8, vcc_lo
; %bb.353:                              ;   in Loop: Header=BB10_137 Depth=3
	s_or_b32 exec_lo, exec_lo, s41
	v_lshlrev_b32_e32 v8, 16, v11
	s_mov_b32 s41, exec_lo
                                        ; implicit-def: $vgpr114
	s_delay_alu instid0(VALU_DEP_1) | instskip(NEXT) | instid1(VALU_DEP_1)
	v_mul_f32_e32 v8, v56, v8
	v_and_b32_e32 v9, 0x7f800000, v8
	s_delay_alu instid0(VALU_DEP_1)
	v_cmpx_ne_u32_e32 0x7f800000, v9
	s_xor_b32 s41, exec_lo, s41
; %bb.354:                              ;   in Loop: Header=BB10_137 Depth=3
	v_bfe_u32 v9, v8, 16, 1
	s_delay_alu instid0(VALU_DEP_1)
	v_add3_u32 v114, v8, v9, 0x7fff
                                        ; implicit-def: $vgpr8
; %bb.355:                              ;   in Loop: Header=BB10_137 Depth=3
	s_and_not1_saveexec_b32 s41, s41
; %bb.356:                              ;   in Loop: Header=BB10_137 Depth=3
	v_and_b32_e32 v9, 0xffff, v8
	v_or_b32_e32 v10, 0x10000, v8
	s_delay_alu instid0(VALU_DEP_2) | instskip(NEXT) | instid1(VALU_DEP_2)
	v_cmp_eq_u32_e32 vcc_lo, 0, v9
	v_cndmask_b32_e32 v114, v10, v8, vcc_lo
; %bb.357:                              ;   in Loop: Header=BB10_137 Depth=3
	s_or_b32 exec_lo, exec_lo, s41
	v_and_b32_e32 v8, 0xffff0000, v11
	s_mov_b32 s41, exec_lo
                                        ; implicit-def: $vgpr115
	s_delay_alu instid0(VALU_DEP_1) | instskip(NEXT) | instid1(VALU_DEP_1)
	v_mul_f32_e32 v8, v56, v8
	v_and_b32_e32 v9, 0x7f800000, v8
	s_delay_alu instid0(VALU_DEP_1)
	v_cmpx_ne_u32_e32 0x7f800000, v9
	s_xor_b32 s41, exec_lo, s41
; %bb.358:                              ;   in Loop: Header=BB10_137 Depth=3
	v_bfe_u32 v9, v8, 16, 1
	s_delay_alu instid0(VALU_DEP_1)
	v_add3_u32 v115, v8, v9, 0x7fff
                                        ; implicit-def: $vgpr8
; %bb.359:                              ;   in Loop: Header=BB10_137 Depth=3
	s_and_not1_saveexec_b32 s41, s41
; %bb.360:                              ;   in Loop: Header=BB10_137 Depth=3
	v_and_b32_e32 v9, 0xffff, v8
	v_or_b32_e32 v10, 0x10000, v8
	s_delay_alu instid0(VALU_DEP_2) | instskip(NEXT) | instid1(VALU_DEP_2)
	v_cmp_eq_u32_e32 vcc_lo, 0, v9
	v_cndmask_b32_e32 v115, v10, v8, vcc_lo
; %bb.361:                              ;   in Loop: Header=BB10_137 Depth=3
	s_or_b32 exec_lo, exec_lo, s41
	global_load_b128 v[8:11], v[44:45], off offset:3584 th:TH_LOAD_NT
	s_wait_loadcnt 0x0
	v_lshlrev_b32_e32 v55, 16, v8
	s_delay_alu instid0(VALU_DEP_1) | instskip(NEXT) | instid1(VALU_DEP_1)
	v_mul_f32_e32 v84, v56, v55
	v_and_b32_e32 v55, 0x7f800000, v84
	s_delay_alu instid0(VALU_DEP_1) | instskip(SKIP_2) | instid1(SALU_CYCLE_1)
	v_cmp_ne_u32_e32 vcc_lo, 0x7f800000, v55
                                        ; implicit-def: $vgpr55
	s_wait_xcnt 0x0
	s_and_saveexec_b32 s41, vcc_lo
	s_xor_b32 s41, exec_lo, s41
; %bb.362:                              ;   in Loop: Header=BB10_137 Depth=3
	v_bfe_u32 v55, v84, 16, 1
	s_delay_alu instid0(VALU_DEP_1)
	v_add3_u32 v55, v84, v55, 0x7fff
                                        ; implicit-def: $vgpr84
; %bb.363:                              ;   in Loop: Header=BB10_137 Depth=3
	s_and_not1_saveexec_b32 s41, s41
; %bb.364:                              ;   in Loop: Header=BB10_137 Depth=3
	v_and_b32_e32 v55, 0xffff, v84
	v_or_b32_e32 v85, 0x10000, v84
	s_delay_alu instid0(VALU_DEP_2) | instskip(NEXT) | instid1(VALU_DEP_2)
	v_cmp_eq_u32_e32 vcc_lo, 0, v55
	v_cndmask_b32_e32 v55, v85, v84, vcc_lo
; %bb.365:                              ;   in Loop: Header=BB10_137 Depth=3
	s_or_b32 exec_lo, exec_lo, s41
	v_and_b32_e32 v8, 0xffff0000, v8
	s_mov_b32 s41, exec_lo
                                        ; implicit-def: $vgpr44
	s_delay_alu instid0(VALU_DEP_1) | instskip(NEXT) | instid1(VALU_DEP_1)
	v_mul_f32_e32 v8, v56, v8
	v_and_b32_e32 v84, 0x7f800000, v8
	s_delay_alu instid0(VALU_DEP_1)
	v_cmpx_ne_u32_e32 0x7f800000, v84
	s_xor_b32 s41, exec_lo, s41
; %bb.366:                              ;   in Loop: Header=BB10_137 Depth=3
	v_bfe_u32 v84, v8, 16, 1
	s_delay_alu instid0(VALU_DEP_1)
	v_add3_u32 v44, v8, v84, 0x7fff
                                        ; implicit-def: $vgpr8
; %bb.367:                              ;   in Loop: Header=BB10_137 Depth=3
	s_and_not1_saveexec_b32 s41, s41
; %bb.368:                              ;   in Loop: Header=BB10_137 Depth=3
	v_and_b32_e32 v84, 0xffff, v8
	v_or_b32_e32 v85, 0x10000, v8
	s_delay_alu instid0(VALU_DEP_2) | instskip(NEXT) | instid1(VALU_DEP_2)
	v_cmp_eq_u32_e32 vcc_lo, 0, v84
	v_cndmask_b32_e32 v44, v85, v8, vcc_lo
; %bb.369:                              ;   in Loop: Header=BB10_137 Depth=3
	s_or_b32 exec_lo, exec_lo, s41
	v_lshlrev_b32_e32 v8, 16, v9
	s_mov_b32 s41, exec_lo
                                        ; implicit-def: $vgpr45
	s_delay_alu instid0(VALU_DEP_1) | instskip(NEXT) | instid1(VALU_DEP_1)
	v_mul_f32_e32 v8, v56, v8
	v_and_b32_e32 v84, 0x7f800000, v8
	s_delay_alu instid0(VALU_DEP_1)
	v_cmpx_ne_u32_e32 0x7f800000, v84
	s_xor_b32 s41, exec_lo, s41
; %bb.370:                              ;   in Loop: Header=BB10_137 Depth=3
	v_bfe_u32 v84, v8, 16, 1
	s_delay_alu instid0(VALU_DEP_1)
	v_add3_u32 v45, v8, v84, 0x7fff
                                        ; implicit-def: $vgpr8
; %bb.371:                              ;   in Loop: Header=BB10_137 Depth=3
	s_and_not1_saveexec_b32 s41, s41
; %bb.372:                              ;   in Loop: Header=BB10_137 Depth=3
	v_and_b32_e32 v84, 0xffff, v8
	v_or_b32_e32 v85, 0x10000, v8
	s_delay_alu instid0(VALU_DEP_2) | instskip(NEXT) | instid1(VALU_DEP_2)
	v_cmp_eq_u32_e32 vcc_lo, 0, v84
	v_cndmask_b32_e32 v45, v85, v8, vcc_lo
; %bb.373:                              ;   in Loop: Header=BB10_137 Depth=3
	s_or_b32 exec_lo, exec_lo, s41
	v_and_b32_e32 v8, 0xffff0000, v9
	s_mov_b32 s41, exec_lo
                                        ; implicit-def: $vgpr40
	s_delay_alu instid0(VALU_DEP_1) | instskip(NEXT) | instid1(VALU_DEP_1)
	v_mul_f32_e32 v8, v56, v8
	v_and_b32_e32 v9, 0x7f800000, v8
	s_delay_alu instid0(VALU_DEP_1)
	v_cmpx_ne_u32_e32 0x7f800000, v9
	s_xor_b32 s41, exec_lo, s41
; %bb.374:                              ;   in Loop: Header=BB10_137 Depth=3
	v_bfe_u32 v9, v8, 16, 1
	s_delay_alu instid0(VALU_DEP_1)
	v_add3_u32 v40, v8, v9, 0x7fff
                                        ; implicit-def: $vgpr8
; %bb.375:                              ;   in Loop: Header=BB10_137 Depth=3
	s_and_not1_saveexec_b32 s41, s41
; %bb.376:                              ;   in Loop: Header=BB10_137 Depth=3
	v_and_b32_e32 v9, 0xffff, v8
	v_or_b32_e32 v84, 0x10000, v8
	s_delay_alu instid0(VALU_DEP_2) | instskip(NEXT) | instid1(VALU_DEP_2)
	v_cmp_eq_u32_e32 vcc_lo, 0, v9
	v_cndmask_b32_e32 v40, v84, v8, vcc_lo
; %bb.377:                              ;   in Loop: Header=BB10_137 Depth=3
	s_or_b32 exec_lo, exec_lo, s41
	v_lshlrev_b32_e32 v8, 16, v10
	s_mov_b32 s41, exec_lo
                                        ; implicit-def: $vgpr41
	s_delay_alu instid0(VALU_DEP_1) | instskip(NEXT) | instid1(VALU_DEP_1)
	v_mul_f32_e32 v8, v56, v8
	v_and_b32_e32 v9, 0x7f800000, v8
	s_delay_alu instid0(VALU_DEP_1)
	v_cmpx_ne_u32_e32 0x7f800000, v9
	s_xor_b32 s41, exec_lo, s41
; %bb.378:                              ;   in Loop: Header=BB10_137 Depth=3
	v_bfe_u32 v9, v8, 16, 1
	s_delay_alu instid0(VALU_DEP_1)
	v_add3_u32 v41, v8, v9, 0x7fff
                                        ; implicit-def: $vgpr8
; %bb.379:                              ;   in Loop: Header=BB10_137 Depth=3
	s_and_not1_saveexec_b32 s41, s41
; %bb.380:                              ;   in Loop: Header=BB10_137 Depth=3
	v_and_b32_e32 v9, 0xffff, v8
	v_or_b32_e32 v84, 0x10000, v8
	s_delay_alu instid0(VALU_DEP_2) | instskip(NEXT) | instid1(VALU_DEP_2)
	v_cmp_eq_u32_e32 vcc_lo, 0, v9
	v_cndmask_b32_e32 v41, v84, v8, vcc_lo
; %bb.381:                              ;   in Loop: Header=BB10_137 Depth=3
	s_or_b32 exec_lo, exec_lo, s41
	v_and_b32_e32 v8, 0xffff0000, v10
	s_mov_b32 s41, exec_lo
                                        ; implicit-def: $vgpr47
	s_delay_alu instid0(VALU_DEP_1) | instskip(NEXT) | instid1(VALU_DEP_1)
	v_mul_f32_e32 v8, v56, v8
	v_and_b32_e32 v9, 0x7f800000, v8
	s_delay_alu instid0(VALU_DEP_1)
	v_cmpx_ne_u32_e32 0x7f800000, v9
	s_xor_b32 s41, exec_lo, s41
; %bb.382:                              ;   in Loop: Header=BB10_137 Depth=3
	v_bfe_u32 v9, v8, 16, 1
	s_delay_alu instid0(VALU_DEP_1)
	v_add3_u32 v47, v8, v9, 0x7fff
                                        ; implicit-def: $vgpr8
; %bb.383:                              ;   in Loop: Header=BB10_137 Depth=3
	s_and_not1_saveexec_b32 s41, s41
; %bb.384:                              ;   in Loop: Header=BB10_137 Depth=3
	v_and_b32_e32 v9, 0xffff, v8
	v_or_b32_e32 v10, 0x10000, v8
	s_delay_alu instid0(VALU_DEP_2) | instskip(NEXT) | instid1(VALU_DEP_2)
	v_cmp_eq_u32_e32 vcc_lo, 0, v9
	v_cndmask_b32_e32 v47, v10, v8, vcc_lo
; %bb.385:                              ;   in Loop: Header=BB10_137 Depth=3
	s_or_b32 exec_lo, exec_lo, s41
	v_lshlrev_b32_e32 v8, 16, v11
	s_mov_b32 s41, exec_lo
                                        ; implicit-def: $vgpr84
	s_delay_alu instid0(VALU_DEP_1) | instskip(NEXT) | instid1(VALU_DEP_1)
	v_mul_f32_e32 v8, v56, v8
	v_and_b32_e32 v9, 0x7f800000, v8
	s_delay_alu instid0(VALU_DEP_1)
	v_cmpx_ne_u32_e32 0x7f800000, v9
	s_xor_b32 s41, exec_lo, s41
; %bb.386:                              ;   in Loop: Header=BB10_137 Depth=3
	v_bfe_u32 v9, v8, 16, 1
	s_delay_alu instid0(VALU_DEP_1)
	v_add3_u32 v84, v8, v9, 0x7fff
                                        ; implicit-def: $vgpr8
; %bb.387:                              ;   in Loop: Header=BB10_137 Depth=3
	s_and_not1_saveexec_b32 s41, s41
; %bb.388:                              ;   in Loop: Header=BB10_137 Depth=3
	v_and_b32_e32 v9, 0xffff, v8
	v_or_b32_e32 v10, 0x10000, v8
	s_delay_alu instid0(VALU_DEP_2) | instskip(NEXT) | instid1(VALU_DEP_2)
	v_cmp_eq_u32_e32 vcc_lo, 0, v9
	v_cndmask_b32_e32 v84, v10, v8, vcc_lo
; %bb.389:                              ;   in Loop: Header=BB10_137 Depth=3
	s_or_b32 exec_lo, exec_lo, s41
	v_and_b32_e32 v8, 0xffff0000, v11
	s_mov_b32 s41, exec_lo
                                        ; implicit-def: $vgpr85
	s_delay_alu instid0(VALU_DEP_1) | instskip(NEXT) | instid1(VALU_DEP_1)
	v_mul_f32_e32 v8, v56, v8
	v_and_b32_e32 v9, 0x7f800000, v8
	s_delay_alu instid0(VALU_DEP_1)
	v_cmpx_ne_u32_e32 0x7f800000, v9
	s_xor_b32 s41, exec_lo, s41
; %bb.390:                              ;   in Loop: Header=BB10_137 Depth=3
	v_bfe_u32 v9, v8, 16, 1
	s_delay_alu instid0(VALU_DEP_1)
	v_add3_u32 v85, v8, v9, 0x7fff
                                        ; implicit-def: $vgpr8
; %bb.391:                              ;   in Loop: Header=BB10_137 Depth=3
	s_and_not1_saveexec_b32 s41, s41
	s_cbranch_execz .LBB10_136
; %bb.392:                              ;   in Loop: Header=BB10_137 Depth=3
	v_and_b32_e32 v9, 0xffff, v8
	v_or_b32_e32 v10, 0x10000, v8
	s_delay_alu instid0(VALU_DEP_2) | instskip(NEXT) | instid1(VALU_DEP_2)
	v_cmp_eq_u32_e32 vcc_lo, 0, v9
	v_cndmask_b32_e32 v85, v10, v8, vcc_lo
	s_branch .LBB10_136
.LBB10_393:                             ;   in Loop: Header=BB10_57 Depth=2
	s_or_b32 exec_lo, exec_lo, s40
	s_clause 0x1
	scratch_load_b64 v[118:119], off, s33 offset:240
	scratch_load_b32 v4, off, s33 offset:236
.LBB10_394:                             ;   in Loop: Header=BB10_57 Depth=2
	s_wait_xcnt 0x0
	s_or_b32 exec_lo, exec_lo, s13
	s_wait_loadcnt 0x0
	v_dual_mov_b32 v4, 0 :: v_dual_lshlrev_b32 v1, 12, v4
	s_mov_b32 s41, 0
	s_mov_b32 s40, exec_lo
                                        ; implicit-def: $vgpr5
	s_delay_alu instid0(VALU_DEP_1)
	v_cmpx_ne_u32_e64 v13, v1
	s_cbranch_execz .LBB10_432
; %bb.395:                              ;   in Loop: Header=BB10_57 Depth=2
	v_dual_lshlrev_b32 v4, 5, v15 :: v_dual_bitop2_b32 v5, 31, v0 bitop3:0x40
	s_mov_b32 s41, exec_lo
	v_sub_nc_u32_e32 v9, v13, v1
	s_delay_alu instid0(VALU_DEP_2) | instskip(NEXT) | instid1(VALU_DEP_1)
	v_sub_nc_u32_e32 v4, v5, v4
	v_ashrrev_i32_e32 v5, 31, v4
	s_delay_alu instid0(VALU_DEP_1) | instskip(NEXT) | instid1(VALU_DEP_1)
	v_lshrrev_b32_e32 v5, 27, v5
	v_add_nc_u32_e32 v10, v4, v5
	v_ashrrev_i32_e32 v8, 31, v9
	s_delay_alu instid0(VALU_DEP_1) | instskip(NEXT) | instid1(VALU_DEP_3)
	v_lshrrev_b32_e32 v5, 23, v8
	v_and_b32_e32 v8, 0xffffffe0, v10
	s_delay_alu instid0(VALU_DEP_2) | instskip(NEXT) | instid1(VALU_DEP_2)
	v_dual_ashrrev_i32 v10, 5, v10 :: v_dual_add_nc_u32 v11, v9, v5
	v_sub_nc_u32_e32 v5, v4, v8
	s_delay_alu instid0(VALU_DEP_2) | instskip(NEXT) | instid1(VALU_DEP_1)
	v_and_b32_e32 v4, 0xfffffe00, v11
	v_dual_lshlrev_b32 v8, 4, v5 :: v_dual_sub_nc_u32 v15, v9, v4
	s_delay_alu instid0(VALU_DEP_1) | instskip(SKIP_1) | instid1(VALU_DEP_3)
	v_lshl_add_u32 v8, v10, 9, v8
	v_ashrrev_i32_e32 v11, 9, v11
	v_cmp_lt_i32_e32 vcc_lo, 15, v15
	s_delay_alu instid0(VALU_DEP_3) | instskip(NEXT) | instid1(VALU_DEP_3)
	v_sub_nc_u32_e32 v17, v9, v8
	v_add_co_ci_u32_e64 v11, null, 0, v11, vcc_lo
	s_delay_alu instid0(VALU_DEP_1) | instskip(NEXT) | instid1(VALU_DEP_3)
	v_sub_nc_u32_e32 v16, v11, v10
	v_cmpx_lt_i32_e32 15, v17
	s_cbranch_execz .LBB10_431
; %bb.396:                              ;   in Loop: Header=BB10_57 Depth=2
	s_trap 2
	ds_load_b32 v9, v0
	v_add_nc_u32_e32 v22, v8, v1
	s_mov_b32 s60, 0
	s_wait_dscnt 0x0
	s_delay_alu instid0(VALU_DEP_1)
	v_dual_ashrrev_i32 v23, 31, v22 :: v_dual_lshlrev_b32 v24, 16, v9
	s_branch .LBB10_398
.LBB10_397:                             ;   in Loop: Header=BB10_398 Depth=3
	s_or_b32 exec_lo, exec_lo, s61
	v_dual_lshrrev_b32 v26, 16, v26 :: v_dual_lshrrev_b32 v25, 16, v25
	v_dual_lshrrev_b32 v27, 16, v27 :: v_dual_sub_nc_u32 v17, v17, v70
	v_add_nc_u64_e32 v[54:55], v[20:21], v[22:23]
	s_delay_alu instid0(VALU_DEP_3)
	v_and_or_b32 v9, 0xffff0000, v9, v26
	v_lshrrev_b32_e32 v26, 16, v28
	v_add_nc_u64_e32 v[22:23], v[22:23], v[70:71]
	v_cmp_gt_i32_e64 s13, 16, v17
	v_and_or_b32 v8, 0xffff0000, v8, v25
	v_and_or_b32 v10, 0xffff0000, v10, v27
	;; [unrolled: 1-line block ×3, first 2 shown]
	v_sub_nc_u32_e32 v16, v16, v52
	s_or_b32 s60, s13, s60
	global_store_b128 v[54:55], v[8:11], off th:TH_STORE_NT
	s_wait_xcnt 0x0
	s_and_not1_b32 exec_lo, exec_lo, s60
	s_cbranch_execz .LBB10_430
.LBB10_398:                             ;   Parent Loop BB10_47 Depth=1
                                        ;     Parent Loop BB10_57 Depth=2
                                        ; =>    This Inner Loop Header: Depth=3
	s_delay_alu instid0(VALU_DEP_1) | instskip(SKIP_3) | instid1(VALU_DEP_1)
	v_add_nc_u64_e32 v[8:9], v[18:19], v[22:23]
	global_load_b128 v[8:11], v[8:9], off th:TH_LOAD_NT
	s_wait_loadcnt 0x0
	v_lshlrev_b32_e32 v25, 16, v8
	v_mul_f32_e32 v26, v24, v25
	s_delay_alu instid0(VALU_DEP_1) | instskip(NEXT) | instid1(VALU_DEP_1)
	v_and_b32_e32 v25, 0x7f800000, v26
	v_cmp_ne_u32_e64 s13, 0x7f800000, v25
                                        ; implicit-def: $vgpr25
	s_wait_xcnt 0x0
	s_and_saveexec_b32 s61, s13
	s_delay_alu instid0(SALU_CYCLE_1)
	s_xor_b32 s13, exec_lo, s61
; %bb.399:                              ;   in Loop: Header=BB10_398 Depth=3
	v_bfe_u32 v25, v26, 16, 1
	s_delay_alu instid0(VALU_DEP_1)
	v_add3_u32 v25, v26, v25, 0x7fff
                                        ; implicit-def: $vgpr26
; %bb.400:                              ;   in Loop: Header=BB10_398 Depth=3
	s_and_not1_saveexec_b32 s61, s13
; %bb.401:                              ;   in Loop: Header=BB10_398 Depth=3
	v_and_b32_e32 v25, 0xffff, v26
	v_or_b32_e32 v27, 0x10000, v26
	s_delay_alu instid0(VALU_DEP_2) | instskip(NEXT) | instid1(VALU_DEP_1)
	v_cmp_eq_u32_e64 s13, 0, v25
	v_cndmask_b32_e64 v25, v27, v26, s13
; %bb.402:                              ;   in Loop: Header=BB10_398 Depth=3
	s_or_b32 exec_lo, exec_lo, s61
	v_and_b32_e32 v8, 0xffff0000, v8
	s_delay_alu instid0(VALU_DEP_1) | instskip(NEXT) | instid1(VALU_DEP_1)
	v_mul_f32_e32 v26, v24, v8
	v_and_b32_e32 v8, 0x7f800000, v26
	s_delay_alu instid0(VALU_DEP_1) | instskip(SKIP_1) | instid1(SALU_CYCLE_1)
	v_cmp_ne_u32_e64 s13, 0x7f800000, v8
                                        ; implicit-def: $vgpr8
	s_and_saveexec_b32 s61, s13
	s_xor_b32 s13, exec_lo, s61
; %bb.403:                              ;   in Loop: Header=BB10_398 Depth=3
	v_bfe_u32 v8, v26, 16, 1
	s_delay_alu instid0(VALU_DEP_1)
	v_add3_u32 v8, v26, v8, 0x7fff
                                        ; implicit-def: $vgpr26
; %bb.404:                              ;   in Loop: Header=BB10_398 Depth=3
	s_and_not1_saveexec_b32 s61, s13
; %bb.405:                              ;   in Loop: Header=BB10_398 Depth=3
	v_and_b32_e32 v8, 0xffff, v26
	v_or_b32_e32 v27, 0x10000, v26
	s_delay_alu instid0(VALU_DEP_2) | instskip(NEXT) | instid1(VALU_DEP_1)
	v_cmp_eq_u32_e64 s13, 0, v8
	v_cndmask_b32_e64 v8, v27, v26, s13
; %bb.406:                              ;   in Loop: Header=BB10_398 Depth=3
	s_or_b32 exec_lo, exec_lo, s61
	v_lshlrev_b32_e32 v26, 16, v9
	s_delay_alu instid0(VALU_DEP_1) | instskip(NEXT) | instid1(VALU_DEP_1)
	v_mul_f32_e32 v27, v24, v26
	v_and_b32_e32 v26, 0x7f800000, v27
	s_delay_alu instid0(VALU_DEP_1) | instskip(SKIP_1) | instid1(SALU_CYCLE_1)
	v_cmp_ne_u32_e64 s13, 0x7f800000, v26
                                        ; implicit-def: $vgpr26
	s_and_saveexec_b32 s61, s13
	s_xor_b32 s13, exec_lo, s61
; %bb.407:                              ;   in Loop: Header=BB10_398 Depth=3
	v_bfe_u32 v26, v27, 16, 1
	s_delay_alu instid0(VALU_DEP_1)
	v_add3_u32 v26, v27, v26, 0x7fff
                                        ; implicit-def: $vgpr27
; %bb.408:                              ;   in Loop: Header=BB10_398 Depth=3
	s_and_not1_saveexec_b32 s61, s13
; %bb.409:                              ;   in Loop: Header=BB10_398 Depth=3
	v_and_b32_e32 v26, 0xffff, v27
	v_or_b32_e32 v28, 0x10000, v27
	s_delay_alu instid0(VALU_DEP_2) | instskip(NEXT) | instid1(VALU_DEP_1)
	v_cmp_eq_u32_e64 s13, 0, v26
	v_cndmask_b32_e64 v26, v28, v27, s13
; %bb.410:                              ;   in Loop: Header=BB10_398 Depth=3
	s_or_b32 exec_lo, exec_lo, s61
	v_and_b32_e32 v9, 0xffff0000, v9
	s_delay_alu instid0(VALU_DEP_1) | instskip(NEXT) | instid1(VALU_DEP_1)
	v_mul_f32_e32 v27, v24, v9
	v_and_b32_e32 v9, 0x7f800000, v27
	s_delay_alu instid0(VALU_DEP_1) | instskip(SKIP_1) | instid1(SALU_CYCLE_1)
	v_cmp_ne_u32_e64 s13, 0x7f800000, v9
                                        ; implicit-def: $vgpr9
	s_and_saveexec_b32 s61, s13
	s_xor_b32 s13, exec_lo, s61
; %bb.411:                              ;   in Loop: Header=BB10_398 Depth=3
	v_bfe_u32 v9, v27, 16, 1
	s_delay_alu instid0(VALU_DEP_1)
	v_add3_u32 v9, v27, v9, 0x7fff
                                        ; implicit-def: $vgpr27
; %bb.412:                              ;   in Loop: Header=BB10_398 Depth=3
	s_and_not1_saveexec_b32 s61, s13
; %bb.413:                              ;   in Loop: Header=BB10_398 Depth=3
	v_and_b32_e32 v9, 0xffff, v27
	v_or_b32_e32 v28, 0x10000, v27
	s_delay_alu instid0(VALU_DEP_2) | instskip(NEXT) | instid1(VALU_DEP_1)
	v_cmp_eq_u32_e64 s13, 0, v9
	v_cndmask_b32_e64 v9, v28, v27, s13
; %bb.414:                              ;   in Loop: Header=BB10_398 Depth=3
	s_or_b32 exec_lo, exec_lo, s61
	v_lshlrev_b32_e32 v27, 16, v10
	s_delay_alu instid0(VALU_DEP_1) | instskip(NEXT) | instid1(VALU_DEP_1)
	v_mul_f32_e32 v28, v24, v27
	v_and_b32_e32 v27, 0x7f800000, v28
	s_delay_alu instid0(VALU_DEP_1) | instskip(SKIP_1) | instid1(SALU_CYCLE_1)
	v_cmp_ne_u32_e64 s13, 0x7f800000, v27
                                        ; implicit-def: $vgpr27
	s_and_saveexec_b32 s61, s13
	s_xor_b32 s13, exec_lo, s61
; %bb.415:                              ;   in Loop: Header=BB10_398 Depth=3
	v_bfe_u32 v27, v28, 16, 1
	s_delay_alu instid0(VALU_DEP_1)
	v_add3_u32 v27, v28, v27, 0x7fff
                                        ; implicit-def: $vgpr28
; %bb.416:                              ;   in Loop: Header=BB10_398 Depth=3
	s_and_not1_saveexec_b32 s61, s13
; %bb.417:                              ;   in Loop: Header=BB10_398 Depth=3
	v_and_b32_e32 v27, 0xffff, v28
	v_or_b32_e32 v29, 0x10000, v28
	s_delay_alu instid0(VALU_DEP_2) | instskip(NEXT) | instid1(VALU_DEP_1)
	v_cmp_eq_u32_e64 s13, 0, v27
	v_cndmask_b32_e64 v27, v29, v28, s13
; %bb.418:                              ;   in Loop: Header=BB10_398 Depth=3
	s_or_b32 exec_lo, exec_lo, s61
	v_and_b32_e32 v10, 0xffff0000, v10
	s_delay_alu instid0(VALU_DEP_1) | instskip(NEXT) | instid1(VALU_DEP_1)
	v_mul_f32_e32 v28, v24, v10
	v_and_b32_e32 v10, 0x7f800000, v28
	s_delay_alu instid0(VALU_DEP_1) | instskip(SKIP_1) | instid1(SALU_CYCLE_1)
	v_cmp_ne_u32_e64 s13, 0x7f800000, v10
                                        ; implicit-def: $vgpr10
	s_and_saveexec_b32 s61, s13
	s_xor_b32 s13, exec_lo, s61
; %bb.419:                              ;   in Loop: Header=BB10_398 Depth=3
	v_bfe_u32 v10, v28, 16, 1
	s_delay_alu instid0(VALU_DEP_1)
	v_add3_u32 v10, v28, v10, 0x7fff
                                        ; implicit-def: $vgpr28
; %bb.420:                              ;   in Loop: Header=BB10_398 Depth=3
	s_and_not1_saveexec_b32 s61, s13
; %bb.421:                              ;   in Loop: Header=BB10_398 Depth=3
	v_and_b32_e32 v10, 0xffff, v28
	v_or_b32_e32 v29, 0x10000, v28
	s_delay_alu instid0(VALU_DEP_2) | instskip(NEXT) | instid1(VALU_DEP_1)
	v_cmp_eq_u32_e64 s13, 0, v10
	v_cndmask_b32_e64 v10, v29, v28, s13
; %bb.422:                              ;   in Loop: Header=BB10_398 Depth=3
	s_or_b32 exec_lo, exec_lo, s61
	v_lshlrev_b32_e32 v28, 16, v11
	s_delay_alu instid0(VALU_DEP_1) | instskip(NEXT) | instid1(VALU_DEP_1)
	v_mul_f32_e32 v29, v24, v28
	v_and_b32_e32 v28, 0x7f800000, v29
	s_delay_alu instid0(VALU_DEP_1) | instskip(SKIP_1) | instid1(SALU_CYCLE_1)
	v_cmp_ne_u32_e64 s13, 0x7f800000, v28
                                        ; implicit-def: $vgpr28
	s_and_saveexec_b32 s61, s13
	s_xor_b32 s13, exec_lo, s61
; %bb.423:                              ;   in Loop: Header=BB10_398 Depth=3
	v_bfe_u32 v28, v29, 16, 1
	s_delay_alu instid0(VALU_DEP_1)
	v_add3_u32 v28, v29, v28, 0x7fff
                                        ; implicit-def: $vgpr29
; %bb.424:                              ;   in Loop: Header=BB10_398 Depth=3
	s_and_not1_saveexec_b32 s61, s13
; %bb.425:                              ;   in Loop: Header=BB10_398 Depth=3
	v_and_b32_e32 v28, 0xffff, v29
	v_or_b32_e32 v31, 0x10000, v29
	s_delay_alu instid0(VALU_DEP_2) | instskip(NEXT) | instid1(VALU_DEP_1)
	v_cmp_eq_u32_e64 s13, 0, v28
	v_cndmask_b32_e64 v28, v31, v29, s13
; %bb.426:                              ;   in Loop: Header=BB10_398 Depth=3
	s_or_b32 exec_lo, exec_lo, s61
	v_and_b32_e32 v11, 0xffff0000, v11
	s_delay_alu instid0(VALU_DEP_1) | instskip(NEXT) | instid1(VALU_DEP_1)
	v_mul_f32_e32 v29, v24, v11
	v_and_b32_e32 v11, 0x7f800000, v29
	s_delay_alu instid0(VALU_DEP_1) | instskip(SKIP_1) | instid1(SALU_CYCLE_1)
	v_cmp_ne_u32_e64 s13, 0x7f800000, v11
                                        ; implicit-def: $vgpr11
	s_and_saveexec_b32 s61, s13
	s_xor_b32 s13, exec_lo, s61
; %bb.427:                              ;   in Loop: Header=BB10_398 Depth=3
	v_bfe_u32 v11, v29, 16, 1
	s_delay_alu instid0(VALU_DEP_1)
	v_add3_u32 v11, v29, v11, 0x7fff
                                        ; implicit-def: $vgpr29
; %bb.428:                              ;   in Loop: Header=BB10_398 Depth=3
	s_and_not1_saveexec_b32 s61, s13
	s_cbranch_execz .LBB10_397
; %bb.429:                              ;   in Loop: Header=BB10_398 Depth=3
	v_and_b32_e32 v11, 0xffff, v29
	v_or_b32_e32 v31, 0x10000, v29
	s_delay_alu instid0(VALU_DEP_2) | instskip(NEXT) | instid1(VALU_DEP_1)
	v_cmp_eq_u32_e64 s13, 0, v11
	v_cndmask_b32_e64 v11, v31, v29, s13
	s_branch .LBB10_397
.LBB10_430:                             ;   in Loop: Header=BB10_57 Depth=2
	s_or_b32 exec_lo, exec_lo, s60
.LBB10_431:                             ;   in Loop: Header=BB10_57 Depth=2
	s_delay_alu instid0(SALU_CYCLE_1) | instskip(NEXT) | instid1(VALU_DEP_2)
	s_or_b32 exec_lo, exec_lo, s41
	v_cmp_lt_i32_e64 s13, 0, v16
	s_delay_alu instid0(VALU_DEP_1) | instskip(NEXT) | instid1(VALU_DEP_1)
	v_dual_cndmask_b32 v10, 0, v52, s13 :: v_dual_bitop2_b32 v8, 14, v13 bitop3:0x40
	v_dual_sub_nc_u32 v9, v15, v8 :: v_dual_cndmask_b32 v13, v15, v8, vcc_lo
	s_delay_alu instid0(VALU_DEP_1) | instskip(NEXT) | instid1(VALU_DEP_2)
	v_dual_cndmask_b32 v8, 0, v9 :: v_dual_sub_nc_u32 v9, v10, v16
	v_cmp_ne_u32_e32 vcc_lo, 0, v13
	s_delay_alu instid0(VALU_DEP_2) | instskip(NEXT) | instid1(VALU_DEP_3)
	v_add3_u32 v4, v4, v1, v8
	v_lshl_add_u32 v5, v9, 5, v5
	s_and_b32 s41, vcc_lo, exec_lo
.LBB10_432:                             ;   in Loop: Header=BB10_57 Depth=2
	s_or_b32 exec_lo, exec_lo, s40
	s_and_saveexec_b32 s13, s41
	s_cbranch_execz .LBB10_509
.LBB10_433:                             ;   in Loop: Header=BB10_57 Depth=2
	v_ashrrev_i32_e32 v8, 31, v13
	v_ashrrev_i32_e32 v1, 31, v5
	s_mov_b32 s40, exec_lo
	s_delay_alu instid0(VALU_DEP_1) | instskip(NEXT) | instid1(VALU_DEP_1)
	v_dual_lshrrev_b32 v8, 22, v8 :: v_dual_lshrrev_b32 v1, 27, v1
	v_add_nc_u32_e32 v8, v13, v8
	s_delay_alu instid0(VALU_DEP_1) | instskip(NEXT) | instid1(VALU_DEP_1)
	v_dual_add_nc_u32 v1, v5, v1 :: v_dual_ashrrev_i32 v25, 10, v8
	v_ashrrev_i32_e32 v15, 5, v1
	s_delay_alu instid0(VALU_DEP_1) | instskip(NEXT) | instid1(VALU_DEP_1)
	v_sub_nc_u32_e32 v24, v25, v15
	v_cmpx_lt_i32_e32 0, v24
	s_cbranch_execz .LBB10_501
; %bb.434:                              ;   in Loop: Header=BB10_57 Depth=2
	v_and_b32_e32 v1, 0x7fffffe0, v1
	s_trap 2
	ds_load_b32 v16, v0
	v_mov_b64_e32 v[10:11], v[20:21]
	v_mov_b64_e32 v[22:23], v[18:19]
	v_dual_sub_nc_u32 v1, v5, v1 :: v_dual_lshlrev_b32 v8, 10, v15
	s_mov_b32 s41, 0
	s_delay_alu instid0(VALU_DEP_1) | instskip(NEXT) | instid1(VALU_DEP_1)
	v_lshlrev_b32_e32 v1, 1, v1
	v_add3_u32 v8, v1, v4, v8
	s_delay_alu instid0(VALU_DEP_1)
	v_ashrrev_i32_e32 v9, 31, v8
	s_wait_dscnt 0x0
	v_lshlrev_b32_e32 v26, 16, v16
	s_branch .LBB10_436
.LBB10_435:                             ;   in Loop: Header=BB10_436 Depth=3
	s_or_b32 exec_lo, exec_lo, s60
	v_sub_nc_u32_e32 v24, v24, v52
	v_add_nc_u64_e32 v[112:113], v[8:9], v[10:11]
	v_add_nc_u64_e32 v[22:23], v[22:23], v[80:81]
	;; [unrolled: 1-line block ×3, first 2 shown]
	s_clause 0x7
	flat_store_d16_hi_b16 v[112:113], v27 th:TH_STORE_NT
	flat_store_d16_hi_b16 v[112:113], v28 offset:64 th:TH_STORE_NT
	flat_store_d16_hi_b16 v[112:113], v1 offset:128 th:TH_STORE_NT
	;; [unrolled: 1-line block ×7, first 2 shown]
	v_cmp_gt_i32_e32 vcc_lo, 1, v24
	s_clause 0x7
	flat_store_d16_hi_b16 v[112:113], v55 offset:512 th:TH_STORE_NT
	flat_store_d16_hi_b16 v[112:113], v64 offset:576 th:TH_STORE_NT
	;; [unrolled: 1-line block ×8, first 2 shown]
	s_or_b32 s41, vcc_lo, s41
	s_wait_xcnt 0x0
	s_and_not1_b32 exec_lo, exec_lo, s41
	s_cbranch_execz .LBB10_500
.LBB10_436:                             ;   Parent Loop BB10_47 Depth=1
                                        ;     Parent Loop BB10_57 Depth=2
                                        ; =>    This Inner Loop Header: Depth=3
	s_delay_alu instid0(VALU_DEP_2) | instskip(SKIP_4) | instid1(VALU_DEP_1)
	v_add_nc_u64_e32 v[42:43], v[8:9], v[22:23]
	s_mov_b32 s60, exec_lo
                                        ; implicit-def: $vgpr27
	flat_load_u16 v1, v[42:43] th:TH_LOAD_NT
	s_wait_loadcnt_dscnt 0x0
	v_lshlrev_b32_e32 v1, 16, v1
	v_mul_f32_e32 v1, v26, v1
	s_delay_alu instid0(VALU_DEP_1) | instskip(SKIP_1) | instid1(VALU_DEP_1)
	v_and_b32_e32 v16, 0x7f800000, v1
	s_wait_xcnt 0x0
	v_cmpx_ne_u32_e32 0x7f800000, v16
	s_xor_b32 s60, exec_lo, s60
; %bb.437:                              ;   in Loop: Header=BB10_436 Depth=3
	v_bfe_u32 v16, v1, 16, 1
	s_delay_alu instid0(VALU_DEP_1)
	v_add3_u32 v27, v1, v16, 0x7fff
                                        ; implicit-def: $vgpr1
; %bb.438:                              ;   in Loop: Header=BB10_436 Depth=3
	s_and_not1_saveexec_b32 s60, s60
; %bb.439:                              ;   in Loop: Header=BB10_436 Depth=3
	v_and_b32_e32 v16, 0xffff, v1
	v_or_b32_e32 v17, 0x10000, v1
	s_delay_alu instid0(VALU_DEP_2) | instskip(NEXT) | instid1(VALU_DEP_2)
	v_cmp_eq_u32_e32 vcc_lo, 0, v16
	v_cndmask_b32_e32 v27, v17, v1, vcc_lo
; %bb.440:                              ;   in Loop: Header=BB10_436 Depth=3
	s_or_b32 exec_lo, exec_lo, s60
	flat_load_u16 v1, v[42:43] offset:64 th:TH_LOAD_NT
	s_mov_b32 s60, exec_lo
                                        ; implicit-def: $vgpr28
	s_wait_loadcnt_dscnt 0x0
	v_lshlrev_b32_e32 v1, 16, v1
	s_delay_alu instid0(VALU_DEP_1) | instskip(NEXT) | instid1(VALU_DEP_1)
	v_mul_f32_e32 v1, v26, v1
	v_and_b32_e32 v16, 0x7f800000, v1
	s_wait_xcnt 0x0
	s_delay_alu instid0(VALU_DEP_1)
	v_cmpx_ne_u32_e32 0x7f800000, v16
	s_xor_b32 s60, exec_lo, s60
; %bb.441:                              ;   in Loop: Header=BB10_436 Depth=3
	v_bfe_u32 v16, v1, 16, 1
	s_delay_alu instid0(VALU_DEP_1)
	v_add3_u32 v28, v1, v16, 0x7fff
                                        ; implicit-def: $vgpr1
; %bb.442:                              ;   in Loop: Header=BB10_436 Depth=3
	s_and_not1_saveexec_b32 s60, s60
; %bb.443:                              ;   in Loop: Header=BB10_436 Depth=3
	v_and_b32_e32 v16, 0xffff, v1
	v_or_b32_e32 v17, 0x10000, v1
	s_delay_alu instid0(VALU_DEP_2) | instskip(NEXT) | instid1(VALU_DEP_2)
	v_cmp_eq_u32_e32 vcc_lo, 0, v16
	v_cndmask_b32_e32 v28, v17, v1, vcc_lo
; %bb.444:                              ;   in Loop: Header=BB10_436 Depth=3
	s_or_b32 exec_lo, exec_lo, s60
	flat_load_u16 v1, v[42:43] offset:128 th:TH_LOAD_NT
	s_wait_loadcnt_dscnt 0x0
	v_lshlrev_b32_e32 v1, 16, v1
	s_delay_alu instid0(VALU_DEP_1) | instskip(NEXT) | instid1(VALU_DEP_1)
	v_mul_f32_e32 v16, v26, v1
	v_and_b32_e32 v1, 0x7f800000, v16
	s_delay_alu instid0(VALU_DEP_1) | instskip(SKIP_2) | instid1(SALU_CYCLE_1)
	v_cmp_ne_u32_e32 vcc_lo, 0x7f800000, v1
                                        ; implicit-def: $vgpr1
	s_wait_xcnt 0x0
	s_and_saveexec_b32 s60, vcc_lo
	s_xor_b32 s60, exec_lo, s60
; %bb.445:                              ;   in Loop: Header=BB10_436 Depth=3
	v_bfe_u32 v1, v16, 16, 1
	s_delay_alu instid0(VALU_DEP_1)
	v_add3_u32 v1, v16, v1, 0x7fff
                                        ; implicit-def: $vgpr16
; %bb.446:                              ;   in Loop: Header=BB10_436 Depth=3
	s_and_not1_saveexec_b32 s60, s60
; %bb.447:                              ;   in Loop: Header=BB10_436 Depth=3
	v_and_b32_e32 v1, 0xffff, v16
	v_or_b32_e32 v17, 0x10000, v16
	s_delay_alu instid0(VALU_DEP_2) | instskip(NEXT) | instid1(VALU_DEP_2)
	v_cmp_eq_u32_e32 vcc_lo, 0, v1
	v_cndmask_b32_e32 v1, v17, v16, vcc_lo
; %bb.448:                              ;   in Loop: Header=BB10_436 Depth=3
	s_or_b32 exec_lo, exec_lo, s60
	flat_load_u16 v16, v[42:43] offset:192 th:TH_LOAD_NT
	s_mov_b32 s60, exec_lo
                                        ; implicit-def: $vgpr29
	s_wait_loadcnt_dscnt 0x0
	v_lshlrev_b32_e32 v16, 16, v16
	s_delay_alu instid0(VALU_DEP_1) | instskip(NEXT) | instid1(VALU_DEP_1)
	v_mul_f32_e32 v16, v26, v16
	v_and_b32_e32 v17, 0x7f800000, v16
	s_wait_xcnt 0x0
	s_delay_alu instid0(VALU_DEP_1)
	v_cmpx_ne_u32_e32 0x7f800000, v17
	s_xor_b32 s60, exec_lo, s60
; %bb.449:                              ;   in Loop: Header=BB10_436 Depth=3
	v_bfe_u32 v17, v16, 16, 1
	s_delay_alu instid0(VALU_DEP_1)
	v_add3_u32 v29, v16, v17, 0x7fff
                                        ; implicit-def: $vgpr16
; %bb.450:                              ;   in Loop: Header=BB10_436 Depth=3
	s_and_not1_saveexec_b32 s60, s60
; %bb.451:                              ;   in Loop: Header=BB10_436 Depth=3
	v_and_b32_e32 v17, 0xffff, v16
	v_or_b32_e32 v29, 0x10000, v16
	s_delay_alu instid0(VALU_DEP_2) | instskip(NEXT) | instid1(VALU_DEP_2)
	v_cmp_eq_u32_e32 vcc_lo, 0, v17
	v_cndmask_b32_e32 v29, v29, v16, vcc_lo
; %bb.452:                              ;   in Loop: Header=BB10_436 Depth=3
	s_or_b32 exec_lo, exec_lo, s60
	flat_load_u16 v16, v[42:43] offset:256 th:TH_LOAD_NT
	s_wait_loadcnt_dscnt 0x0
	v_lshlrev_b32_e32 v16, 16, v16
	s_delay_alu instid0(VALU_DEP_1) | instskip(NEXT) | instid1(VALU_DEP_1)
	v_mul_f32_e32 v17, v26, v16
	v_and_b32_e32 v16, 0x7f800000, v17
	s_delay_alu instid0(VALU_DEP_1) | instskip(SKIP_2) | instid1(SALU_CYCLE_1)
	v_cmp_ne_u32_e32 vcc_lo, 0x7f800000, v16
                                        ; implicit-def: $vgpr16
	s_wait_xcnt 0x0
	s_and_saveexec_b32 s60, vcc_lo
	s_xor_b32 s60, exec_lo, s60
; %bb.453:                              ;   in Loop: Header=BB10_436 Depth=3
	v_bfe_u32 v16, v17, 16, 1
	s_delay_alu instid0(VALU_DEP_1)
	v_add3_u32 v16, v17, v16, 0x7fff
                                        ; implicit-def: $vgpr17
; %bb.454:                              ;   in Loop: Header=BB10_436 Depth=3
	s_and_not1_saveexec_b32 s60, s60
; %bb.455:                              ;   in Loop: Header=BB10_436 Depth=3
	v_and_b32_e32 v16, 0xffff, v17
	v_or_b32_e32 v31, 0x10000, v17
	s_delay_alu instid0(VALU_DEP_2) | instskip(NEXT) | instid1(VALU_DEP_2)
	v_cmp_eq_u32_e32 vcc_lo, 0, v16
	v_cndmask_b32_e32 v16, v31, v17, vcc_lo
; %bb.456:                              ;   in Loop: Header=BB10_436 Depth=3
	s_or_b32 exec_lo, exec_lo, s60
	flat_load_u16 v17, v[42:43] offset:320 th:TH_LOAD_NT
	s_wait_loadcnt_dscnt 0x0
	v_lshlrev_b32_e32 v17, 16, v17
	s_delay_alu instid0(VALU_DEP_1) | instskip(NEXT) | instid1(VALU_DEP_1)
	v_mul_f32_e32 v31, v26, v17
	v_and_b32_e32 v17, 0x7f800000, v31
	s_delay_alu instid0(VALU_DEP_1) | instskip(SKIP_2) | instid1(SALU_CYCLE_1)
	v_cmp_ne_u32_e32 vcc_lo, 0x7f800000, v17
                                        ; implicit-def: $vgpr17
	s_wait_xcnt 0x0
	s_and_saveexec_b32 s60, vcc_lo
	s_xor_b32 s60, exec_lo, s60
; %bb.457:                              ;   in Loop: Header=BB10_436 Depth=3
	v_bfe_u32 v17, v31, 16, 1
	s_delay_alu instid0(VALU_DEP_1)
	v_add3_u32 v17, v31, v17, 0x7fff
                                        ; implicit-def: $vgpr31
; %bb.458:                              ;   in Loop: Header=BB10_436 Depth=3
	s_and_not1_saveexec_b32 s60, s60
; %bb.459:                              ;   in Loop: Header=BB10_436 Depth=3
	v_and_b32_e32 v17, 0xffff, v31
	v_or_b32_e32 v54, 0x10000, v31
	s_delay_alu instid0(VALU_DEP_2) | instskip(NEXT) | instid1(VALU_DEP_2)
	v_cmp_eq_u32_e32 vcc_lo, 0, v17
	v_cndmask_b32_e32 v17, v54, v31, vcc_lo
; %bb.460:                              ;   in Loop: Header=BB10_436 Depth=3
	s_or_b32 exec_lo, exec_lo, s60
	flat_load_u16 v31, v[42:43] offset:384 th:TH_LOAD_NT
	s_wait_loadcnt_dscnt 0x0
	v_lshlrev_b32_e32 v31, 16, v31
	s_delay_alu instid0(VALU_DEP_1) | instskip(NEXT) | instid1(VALU_DEP_1)
	v_mul_f32_e32 v54, v26, v31
	v_and_b32_e32 v31, 0x7f800000, v54
	s_delay_alu instid0(VALU_DEP_1) | instskip(SKIP_2) | instid1(SALU_CYCLE_1)
	v_cmp_ne_u32_e32 vcc_lo, 0x7f800000, v31
                                        ; implicit-def: $vgpr31
	s_wait_xcnt 0x0
	s_and_saveexec_b32 s60, vcc_lo
	s_xor_b32 s60, exec_lo, s60
; %bb.461:                              ;   in Loop: Header=BB10_436 Depth=3
	v_bfe_u32 v31, v54, 16, 1
	s_delay_alu instid0(VALU_DEP_1)
	v_add3_u32 v31, v54, v31, 0x7fff
                                        ; implicit-def: $vgpr54
; %bb.462:                              ;   in Loop: Header=BB10_436 Depth=3
	s_and_not1_saveexec_b32 s60, s60
; %bb.463:                              ;   in Loop: Header=BB10_436 Depth=3
	v_and_b32_e32 v31, 0xffff, v54
	v_or_b32_e32 v55, 0x10000, v54
	s_delay_alu instid0(VALU_DEP_2) | instskip(NEXT) | instid1(VALU_DEP_2)
	v_cmp_eq_u32_e32 vcc_lo, 0, v31
	v_cndmask_b32_e32 v31, v55, v54, vcc_lo
; %bb.464:                              ;   in Loop: Header=BB10_436 Depth=3
	s_or_b32 exec_lo, exec_lo, s60
	flat_load_u16 v54, v[42:43] offset:448 th:TH_LOAD_NT
	s_wait_loadcnt_dscnt 0x0
	v_lshlrev_b32_e32 v54, 16, v54
	s_delay_alu instid0(VALU_DEP_1) | instskip(NEXT) | instid1(VALU_DEP_1)
	v_mul_f32_e32 v55, v26, v54
	v_and_b32_e32 v54, 0x7f800000, v55
	s_delay_alu instid0(VALU_DEP_1) | instskip(SKIP_2) | instid1(SALU_CYCLE_1)
	v_cmp_ne_u32_e32 vcc_lo, 0x7f800000, v54
                                        ; implicit-def: $vgpr54
	s_wait_xcnt 0x0
	s_and_saveexec_b32 s60, vcc_lo
	s_xor_b32 s60, exec_lo, s60
; %bb.465:                              ;   in Loop: Header=BB10_436 Depth=3
	v_bfe_u32 v54, v55, 16, 1
	s_delay_alu instid0(VALU_DEP_1)
	v_add3_u32 v54, v55, v54, 0x7fff
                                        ; implicit-def: $vgpr55
; %bb.466:                              ;   in Loop: Header=BB10_436 Depth=3
	s_and_not1_saveexec_b32 s60, s60
; %bb.467:                              ;   in Loop: Header=BB10_436 Depth=3
	v_and_b32_e32 v54, 0xffff, v55
	v_or_b32_e32 v64, 0x10000, v55
	s_delay_alu instid0(VALU_DEP_2) | instskip(NEXT) | instid1(VALU_DEP_2)
	v_cmp_eq_u32_e32 vcc_lo, 0, v54
	v_cndmask_b32_e32 v54, v64, v55, vcc_lo
; %bb.468:                              ;   in Loop: Header=BB10_436 Depth=3
	s_or_b32 exec_lo, exec_lo, s60
	flat_load_u16 v55, v[42:43] offset:512 th:TH_LOAD_NT
	s_wait_loadcnt_dscnt 0x0
	v_lshlrev_b32_e32 v55, 16, v55
	s_delay_alu instid0(VALU_DEP_1) | instskip(NEXT) | instid1(VALU_DEP_1)
	v_mul_f32_e32 v64, v26, v55
	v_and_b32_e32 v55, 0x7f800000, v64
	s_delay_alu instid0(VALU_DEP_1) | instskip(SKIP_2) | instid1(SALU_CYCLE_1)
	v_cmp_ne_u32_e32 vcc_lo, 0x7f800000, v55
                                        ; implicit-def: $vgpr55
	s_wait_xcnt 0x0
	s_and_saveexec_b32 s60, vcc_lo
	s_xor_b32 s60, exec_lo, s60
; %bb.469:                              ;   in Loop: Header=BB10_436 Depth=3
	v_bfe_u32 v55, v64, 16, 1
	s_delay_alu instid0(VALU_DEP_1)
	v_add3_u32 v55, v64, v55, 0x7fff
                                        ; implicit-def: $vgpr64
; %bb.470:                              ;   in Loop: Header=BB10_436 Depth=3
	s_and_not1_saveexec_b32 s60, s60
; %bb.471:                              ;   in Loop: Header=BB10_436 Depth=3
	v_and_b32_e32 v55, 0xffff, v64
	v_or_b32_e32 v65, 0x10000, v64
	s_delay_alu instid0(VALU_DEP_2) | instskip(NEXT) | instid1(VALU_DEP_2)
	v_cmp_eq_u32_e32 vcc_lo, 0, v55
	v_cndmask_b32_e32 v55, v65, v64, vcc_lo
; %bb.472:                              ;   in Loop: Header=BB10_436 Depth=3
	s_or_b32 exec_lo, exec_lo, s60
	flat_load_u16 v64, v[42:43] offset:576 th:TH_LOAD_NT
	s_wait_loadcnt_dscnt 0x0
	v_lshlrev_b32_e32 v64, 16, v64
	s_delay_alu instid0(VALU_DEP_1) | instskip(NEXT) | instid1(VALU_DEP_1)
	v_mul_f32_e32 v65, v26, v64
	v_and_b32_e32 v64, 0x7f800000, v65
	s_delay_alu instid0(VALU_DEP_1) | instskip(SKIP_2) | instid1(SALU_CYCLE_1)
	v_cmp_ne_u32_e32 vcc_lo, 0x7f800000, v64
                                        ; implicit-def: $vgpr64
	s_wait_xcnt 0x0
	s_and_saveexec_b32 s60, vcc_lo
	s_xor_b32 s60, exec_lo, s60
; %bb.473:                              ;   in Loop: Header=BB10_436 Depth=3
	v_bfe_u32 v64, v65, 16, 1
	s_delay_alu instid0(VALU_DEP_1)
	v_add3_u32 v64, v65, v64, 0x7fff
                                        ; implicit-def: $vgpr65
; %bb.474:                              ;   in Loop: Header=BB10_436 Depth=3
	s_and_not1_saveexec_b32 s60, s60
; %bb.475:                              ;   in Loop: Header=BB10_436 Depth=3
	v_and_b32_e32 v64, 0xffff, v65
	v_or_b32_e32 v66, 0x10000, v65
	s_delay_alu instid0(VALU_DEP_2) | instskip(NEXT) | instid1(VALU_DEP_2)
	v_cmp_eq_u32_e32 vcc_lo, 0, v64
	v_cndmask_b32_e32 v64, v66, v65, vcc_lo
; %bb.476:                              ;   in Loop: Header=BB10_436 Depth=3
	s_or_b32 exec_lo, exec_lo, s60
	flat_load_u16 v65, v[42:43] offset:640 th:TH_LOAD_NT
	s_wait_loadcnt_dscnt 0x0
	v_lshlrev_b32_e32 v65, 16, v65
	s_delay_alu instid0(VALU_DEP_1) | instskip(NEXT) | instid1(VALU_DEP_1)
	v_mul_f32_e32 v66, v26, v65
	v_and_b32_e32 v65, 0x7f800000, v66
	s_delay_alu instid0(VALU_DEP_1) | instskip(SKIP_2) | instid1(SALU_CYCLE_1)
	v_cmp_ne_u32_e32 vcc_lo, 0x7f800000, v65
                                        ; implicit-def: $vgpr65
	s_wait_xcnt 0x0
	s_and_saveexec_b32 s60, vcc_lo
	s_xor_b32 s60, exec_lo, s60
; %bb.477:                              ;   in Loop: Header=BB10_436 Depth=3
	v_bfe_u32 v65, v66, 16, 1
	s_delay_alu instid0(VALU_DEP_1)
	v_add3_u32 v65, v66, v65, 0x7fff
                                        ; implicit-def: $vgpr66
; %bb.478:                              ;   in Loop: Header=BB10_436 Depth=3
	s_and_not1_saveexec_b32 s60, s60
; %bb.479:                              ;   in Loop: Header=BB10_436 Depth=3
	v_and_b32_e32 v65, 0xffff, v66
	v_or_b32_e32 v67, 0x10000, v66
	s_delay_alu instid0(VALU_DEP_2) | instskip(NEXT) | instid1(VALU_DEP_2)
	v_cmp_eq_u32_e32 vcc_lo, 0, v65
	v_cndmask_b32_e32 v65, v67, v66, vcc_lo
; %bb.480:                              ;   in Loop: Header=BB10_436 Depth=3
	s_or_b32 exec_lo, exec_lo, s60
	flat_load_u16 v66, v[42:43] offset:704 th:TH_LOAD_NT
	s_wait_loadcnt_dscnt 0x0
	v_lshlrev_b32_e32 v66, 16, v66
	s_delay_alu instid0(VALU_DEP_1) | instskip(NEXT) | instid1(VALU_DEP_1)
	v_mul_f32_e32 v67, v26, v66
	v_and_b32_e32 v66, 0x7f800000, v67
	s_delay_alu instid0(VALU_DEP_1) | instskip(SKIP_2) | instid1(SALU_CYCLE_1)
	v_cmp_ne_u32_e32 vcc_lo, 0x7f800000, v66
                                        ; implicit-def: $vgpr66
	s_wait_xcnt 0x0
	s_and_saveexec_b32 s60, vcc_lo
	s_xor_b32 s60, exec_lo, s60
; %bb.481:                              ;   in Loop: Header=BB10_436 Depth=3
	v_bfe_u32 v66, v67, 16, 1
	s_delay_alu instid0(VALU_DEP_1)
	v_add3_u32 v66, v67, v66, 0x7fff
                                        ; implicit-def: $vgpr67
; %bb.482:                              ;   in Loop: Header=BB10_436 Depth=3
	s_and_not1_saveexec_b32 s60, s60
; %bb.483:                              ;   in Loop: Header=BB10_436 Depth=3
	v_and_b32_e32 v66, 0xffff, v67
	v_or_b32_e32 v84, 0x10000, v67
	s_delay_alu instid0(VALU_DEP_2) | instskip(NEXT) | instid1(VALU_DEP_2)
	v_cmp_eq_u32_e32 vcc_lo, 0, v66
	v_cndmask_b32_e32 v66, v84, v67, vcc_lo
; %bb.484:                              ;   in Loop: Header=BB10_436 Depth=3
	s_or_b32 exec_lo, exec_lo, s60
	flat_load_u16 v67, v[42:43] offset:768 th:TH_LOAD_NT
	s_wait_loadcnt_dscnt 0x0
	v_lshlrev_b32_e32 v67, 16, v67
	s_delay_alu instid0(VALU_DEP_1) | instskip(NEXT) | instid1(VALU_DEP_1)
	v_mul_f32_e32 v84, v26, v67
	v_and_b32_e32 v67, 0x7f800000, v84
	s_delay_alu instid0(VALU_DEP_1) | instskip(SKIP_2) | instid1(SALU_CYCLE_1)
	v_cmp_ne_u32_e32 vcc_lo, 0x7f800000, v67
                                        ; implicit-def: $vgpr67
	s_wait_xcnt 0x0
	s_and_saveexec_b32 s60, vcc_lo
	s_xor_b32 s60, exec_lo, s60
; %bb.485:                              ;   in Loop: Header=BB10_436 Depth=3
	v_bfe_u32 v67, v84, 16, 1
	s_delay_alu instid0(VALU_DEP_1)
	v_add3_u32 v67, v84, v67, 0x7fff
                                        ; implicit-def: $vgpr84
; %bb.486:                              ;   in Loop: Header=BB10_436 Depth=3
	s_and_not1_saveexec_b32 s60, s60
; %bb.487:                              ;   in Loop: Header=BB10_436 Depth=3
	v_and_b32_e32 v67, 0xffff, v84
	v_or_b32_e32 v85, 0x10000, v84
	s_delay_alu instid0(VALU_DEP_2) | instskip(NEXT) | instid1(VALU_DEP_2)
	v_cmp_eq_u32_e32 vcc_lo, 0, v67
	v_cndmask_b32_e32 v67, v85, v84, vcc_lo
; %bb.488:                              ;   in Loop: Header=BB10_436 Depth=3
	s_or_b32 exec_lo, exec_lo, s60
	flat_load_u16 v84, v[42:43] offset:832 th:TH_LOAD_NT
	s_wait_loadcnt_dscnt 0x0
	v_lshlrev_b32_e32 v84, 16, v84
	s_delay_alu instid0(VALU_DEP_1) | instskip(NEXT) | instid1(VALU_DEP_1)
	v_mul_f32_e32 v85, v26, v84
	v_and_b32_e32 v84, 0x7f800000, v85
	s_delay_alu instid0(VALU_DEP_1) | instskip(SKIP_2) | instid1(SALU_CYCLE_1)
	v_cmp_ne_u32_e32 vcc_lo, 0x7f800000, v84
                                        ; implicit-def: $vgpr84
	s_wait_xcnt 0x0
	s_and_saveexec_b32 s60, vcc_lo
	s_xor_b32 s60, exec_lo, s60
; %bb.489:                              ;   in Loop: Header=BB10_436 Depth=3
	v_bfe_u32 v84, v85, 16, 1
	s_delay_alu instid0(VALU_DEP_1)
	v_add3_u32 v84, v85, v84, 0x7fff
                                        ; implicit-def: $vgpr85
; %bb.490:                              ;   in Loop: Header=BB10_436 Depth=3
	s_and_not1_saveexec_b32 s60, s60
; %bb.491:                              ;   in Loop: Header=BB10_436 Depth=3
	v_and_b32_e32 v84, 0xffff, v85
	v_or_b32_e32 v112, 0x10000, v85
	s_delay_alu instid0(VALU_DEP_2) | instskip(NEXT) | instid1(VALU_DEP_2)
	v_cmp_eq_u32_e32 vcc_lo, 0, v84
	v_cndmask_b32_e32 v84, v112, v85, vcc_lo
; %bb.492:                              ;   in Loop: Header=BB10_436 Depth=3
	s_or_b32 exec_lo, exec_lo, s60
	flat_load_u16 v85, v[42:43] offset:896 th:TH_LOAD_NT
	s_wait_loadcnt_dscnt 0x0
	v_lshlrev_b32_e32 v85, 16, v85
	s_delay_alu instid0(VALU_DEP_1) | instskip(NEXT) | instid1(VALU_DEP_1)
	v_mul_f32_e32 v114, v26, v85
	v_and_b32_e32 v85, 0x7f800000, v114
	s_delay_alu instid0(VALU_DEP_1) | instskip(SKIP_2) | instid1(SALU_CYCLE_1)
	v_cmp_ne_u32_e32 vcc_lo, 0x7f800000, v85
                                        ; implicit-def: $vgpr85
	s_wait_xcnt 0x0
	s_and_saveexec_b32 s60, vcc_lo
	s_xor_b32 s60, exec_lo, s60
; %bb.493:                              ;   in Loop: Header=BB10_436 Depth=3
	v_bfe_u32 v85, v114, 16, 1
	s_delay_alu instid0(VALU_DEP_1)
	v_add3_u32 v85, v114, v85, 0x7fff
                                        ; implicit-def: $vgpr114
; %bb.494:                              ;   in Loop: Header=BB10_436 Depth=3
	s_and_not1_saveexec_b32 s60, s60
; %bb.495:                              ;   in Loop: Header=BB10_436 Depth=3
	v_and_b32_e32 v85, 0xffff, v114
	v_or_b32_e32 v112, 0x10000, v114
	s_delay_alu instid0(VALU_DEP_2) | instskip(NEXT) | instid1(VALU_DEP_2)
	v_cmp_eq_u32_e32 vcc_lo, 0, v85
	v_cndmask_b32_e32 v85, v112, v114, vcc_lo
; %bb.496:                              ;   in Loop: Header=BB10_436 Depth=3
	s_or_b32 exec_lo, exec_lo, s60
	flat_load_u16 v112, v[42:43] offset:960 th:TH_LOAD_NT
	s_mov_b32 s60, exec_lo
                                        ; implicit-def: $vgpr114
	s_wait_loadcnt_dscnt 0x0
	v_lshlrev_b32_e32 v112, 16, v112
	s_delay_alu instid0(VALU_DEP_1) | instskip(NEXT) | instid1(VALU_DEP_1)
	v_mul_f32_e32 v115, v26, v112
	v_and_b32_e32 v112, 0x7f800000, v115
	s_wait_xcnt 0x0
	s_delay_alu instid0(VALU_DEP_1)
	v_cmpx_ne_u32_e32 0x7f800000, v112
	s_xor_b32 s60, exec_lo, s60
; %bb.497:                              ;   in Loop: Header=BB10_436 Depth=3
	v_bfe_u32 v112, v115, 16, 1
	s_delay_alu instid0(VALU_DEP_1)
	v_add3_u32 v114, v115, v112, 0x7fff
                                        ; implicit-def: $vgpr115
; %bb.498:                              ;   in Loop: Header=BB10_436 Depth=3
	s_and_not1_saveexec_b32 s60, s60
	s_cbranch_execz .LBB10_435
; %bb.499:                              ;   in Loop: Header=BB10_436 Depth=3
	v_and_b32_e32 v112, 0xffff, v115
	v_or_b32_e32 v113, 0x10000, v115
	s_delay_alu instid0(VALU_DEP_2) | instskip(NEXT) | instid1(VALU_DEP_2)
	v_cmp_eq_u32_e32 vcc_lo, 0, v112
	v_cndmask_b32_e32 v114, v113, v115, vcc_lo
	s_branch .LBB10_435
.LBB10_500:                             ;   in Loop: Header=BB10_57 Depth=2
	s_or_b32 exec_lo, exec_lo, s41
.LBB10_501:                             ;   in Loop: Header=BB10_57 Depth=2
	s_delay_alu instid0(SALU_CYCLE_1) | instskip(SKIP_1) | instid1(VALU_DEP_1)
	s_or_b32 exec_lo, exec_lo, s40
	v_lshlrev_b32_e32 v1, 10, v25
	v_cmp_ne_u32_e32 vcc_lo, v13, v1
	s_and_b32 exec_lo, exec_lo, vcc_lo
	s_cbranch_execz .LBB10_509
; %bb.502:                              ;   in Loop: Header=BB10_57 Depth=2
	v_lshlrev_b32_e32 v8, 5, v15
	s_delay_alu instid0(VALU_DEP_1) | instskip(SKIP_1) | instid1(VALU_DEP_1)
	v_sub_nc_u32_e32 v5, v5, v8
	v_lshlrev_b32_e32 v8, 5, v24
	v_sub_nc_u32_e32 v5, v5, v8
	s_delay_alu instid0(VALU_DEP_1) | instskip(NEXT) | instid1(VALU_DEP_1)
	v_ashrrev_i32_e32 v8, 31, v5
	v_lshrrev_b32_e32 v8, 27, v8
	s_delay_alu instid0(VALU_DEP_1) | instskip(NEXT) | instid1(VALU_DEP_1)
	v_add_nc_u32_e32 v8, v5, v8
	v_and_b32_e32 v9, 0x7fffffe0, v8
	s_delay_alu instid0(VALU_DEP_1) | instskip(NEXT) | instid1(VALU_DEP_1)
	v_dual_lshlrev_b32 v8, 1, v8 :: v_dual_sub_nc_u32 v5, v5, v9
	v_and_b32_e32 v8, 0xffffffc0, v8
	s_delay_alu instid0(VALU_DEP_2) | instskip(NEXT) | instid1(VALU_DEP_1)
	v_lshlrev_b32_e32 v5, 1, v5
	v_add3_u32 v5, v8, v5, v1
	s_delay_alu instid0(VALU_DEP_1) | instskip(NEXT) | instid1(VALU_DEP_1)
	v_sub_nc_u32_e32 v1, v13, v5
	v_cmp_lt_i32_e32 vcc_lo, 1, v1
	s_and_b32 exec_lo, exec_lo, vcc_lo
	s_cbranch_execz .LBB10_509
; %bb.503:                              ;   in Loop: Header=BB10_57 Depth=2
	s_trap 2
	ds_load_b32 v10, v0
	v_add_nc_u32_e32 v8, v5, v4
	s_mov_b32 s40, 0
	s_wait_dscnt 0x0
	s_delay_alu instid0(VALU_DEP_1)
	v_dual_lshlrev_b32 v4, 16, v10 :: v_dual_ashrrev_i32 v9, 31, v8
	s_branch .LBB10_505
.LBB10_504:                             ;   in Loop: Header=BB10_505 Depth=3
	s_or_b32 exec_lo, exec_lo, s41
	v_sub_nc_u32_e32 v1, v1, v82
	v_add_nc_u64_e32 v[10:11], v[20:21], v[8:9]
	v_add_nc_u64_e32 v[8:9], v[8:9], v[82:83]
	s_delay_alu instid0(VALU_DEP_3)
	v_cmp_gt_i32_e32 vcc_lo, 2, v1
	flat_store_d16_hi_b16 v[10:11], v5 th:TH_STORE_NT
	s_or_b32 s40, vcc_lo, s40
	s_wait_xcnt 0x0
	s_and_not1_b32 exec_lo, exec_lo, s40
	s_cbranch_execz .LBB10_509
.LBB10_505:                             ;   Parent Loop BB10_47 Depth=1
                                        ;     Parent Loop BB10_57 Depth=2
                                        ; =>    This Inner Loop Header: Depth=3
	s_delay_alu instid0(VALU_DEP_1) | instskip(SKIP_4) | instid1(VALU_DEP_1)
	v_add_nc_u64_e32 v[10:11], v[18:19], v[8:9]
	flat_load_u16 v5, v[10:11] th:TH_LOAD_NT
	s_wait_loadcnt_dscnt 0x0
	v_lshlrev_b32_e32 v5, 16, v5
	s_wait_xcnt 0x0
	v_mul_f32_e32 v10, v4, v5
	s_delay_alu instid0(VALU_DEP_1) | instskip(NEXT) | instid1(VALU_DEP_1)
	v_and_b32_e32 v5, 0x7f800000, v10
	v_cmp_ne_u32_e32 vcc_lo, 0x7f800000, v5
                                        ; implicit-def: $vgpr5
	s_and_saveexec_b32 s41, vcc_lo
	s_delay_alu instid0(SALU_CYCLE_1)
	s_xor_b32 s41, exec_lo, s41
; %bb.506:                              ;   in Loop: Header=BB10_505 Depth=3
	v_bfe_u32 v5, v10, 16, 1
	s_delay_alu instid0(VALU_DEP_1)
	v_add3_u32 v5, v10, v5, 0x7fff
                                        ; implicit-def: $vgpr10
; %bb.507:                              ;   in Loop: Header=BB10_505 Depth=3
	s_and_not1_saveexec_b32 s41, s41
	s_cbranch_execz .LBB10_504
; %bb.508:                              ;   in Loop: Header=BB10_505 Depth=3
	v_and_b32_e32 v5, 0xffff, v10
	v_or_b32_e32 v11, 0x10000, v10
	s_delay_alu instid0(VALU_DEP_2) | instskip(NEXT) | instid1(VALU_DEP_2)
	v_cmp_eq_u32_e32 vcc_lo, 0, v5
	v_cndmask_b32_e32 v5, v11, v10, vcc_lo
	s_branch .LBB10_504
.LBB10_509:                             ;   in Loop: Header=BB10_57 Depth=2
	s_or_b32 exec_lo, exec_lo, s13
	v_cmp_lt_i32_e64 s13, 0, v2
	s_and_saveexec_b32 s40, s2
	s_cbranch_execz .LBB10_130
.LBB10_510:                             ;   in Loop: Header=BB10_57 Depth=2
	s_and_saveexec_b32 s41, s3
	s_delay_alu instid0(SALU_CYCLE_1)
	s_xor_b32 s41, exec_lo, s41
	s_cbranch_execz .LBB10_525
; %bb.511:                              ;   in Loop: Header=BB10_57 Depth=2
	s_and_saveexec_b32 s60, s6
	s_cbranch_execz .LBB10_524
; %bb.512:                              ;   in Loop: Header=BB10_57 Depth=2
	s_mov_b32 s62, exec_lo
	s_mov_b32 s61, exec_lo
	v_mbcnt_lo_u32_b32 v1, s62, 0
	global_wb scope:SCOPE_DEV
	s_wait_storecnt 0x0
	s_wait_loadcnt_dscnt 0x0
	global_inv scope:SCOPE_DEV
	v_cmpx_eq_u32_e32 0, v1
	s_cbranch_execz .LBB10_514
; %bb.513:                              ;   in Loop: Header=BB10_57 Depth=2
	s_bcnt1_i32_b32 s62, s62
	s_delay_alu instid0(SALU_CYCLE_1)
	v_mov_b32_e32 v2, s62
	s_wait_loadcnt 0x0
	ds_add_u64 v0, v[2:3]
	s_trap 2
.LBB10_514:                             ;   in Loop: Header=BB10_57 Depth=2
	s_or_b32 exec_lo, exec_lo, s61
	s_trap 2
	ds_load_b64 v[4:5], v0
	s_wait_dscnt 0x0
	v_add_nc_u64_e32 v[48:49], v[48:49], v[52:53]
	s_mov_b32 s61, exec_lo
	s_delay_alu instid0(VALU_DEP_1)
	v_cmpx_lt_u64_e64 v[4:5], v[48:49]
	s_cbranch_execz .LBB10_523
; %bb.515:                              ;   in Loop: Header=BB10_57 Depth=2
	s_mov_b32 s62, 0
	s_mov_b32 s73, 0
                                        ; implicit-def: $sgpr63
                                        ; implicit-def: $sgpr72
	s_branch .LBB10_517
.LBB10_516:                             ;   in Loop: Header=BB10_517 Depth=3
	s_or_b32 exec_lo, exec_lo, s75
	s_delay_alu instid0(SALU_CYCLE_1) | instskip(NEXT) | instid1(SALU_CYCLE_1)
	s_and_b32 s74, exec_lo, s76
	s_or_b32 s62, s74, s62
	s_and_not1_b32 s63, s63, exec_lo
	s_and_b32 s74, s72, exec_lo
	s_delay_alu instid0(SALU_CYCLE_1)
	s_or_b32 s63, s63, s74
	s_and_not1_b32 exec_lo, exec_lo, s62
	s_cbranch_execz .LBB10_521
.LBB10_517:                             ;   Parent Loop BB10_47 Depth=1
                                        ;     Parent Loop BB10_57 Depth=2
                                        ; =>    This Inner Loop Header: Depth=3
	s_add_co_i32 s73, s73, 1
	s_delay_alu instid0(SALU_CYCLE_1) | instskip(SKIP_1) | instid1(SALU_CYCLE_1)
	s_cmp_lg_u32 s73, 0x2710
	s_cselect_b32 s74, -1, 0
	s_and_b32 vcc_lo, exec_lo, s74
	s_cbranch_vccz .LBB10_519
; %bb.518:                              ;   in Loop: Header=BB10_517 Depth=3
	s_mov_b32 s76, -1
	s_or_b32 s72, s72, exec_lo
	s_and_saveexec_b32 s75, s74
	s_cbranch_execz .LBB10_516
	s_branch .LBB10_520
.LBB10_519:                             ;   in Loop: Header=BB10_517 Depth=3
	s_trap 2
	ds_load_b64 v[4:5], v0
	s_and_not1_b32 s74, s74, exec_lo
	s_mov_b32 s73, 0
	s_wait_loadcnt_dscnt 0x0
	flat_load_b32 v1, v[4:5] scope:SCOPE_SYS
	s_wait_loadcnt_dscnt 0x0
	global_inv scope:SCOPE_SYS
	v_cmp_eq_u32_e32 vcc_lo, 0, v1
	s_and_b32 s75, vcc_lo, exec_lo
	s_delay_alu instid0(SALU_CYCLE_1)
	s_or_b32 s74, s74, s75
	s_mov_b32 s76, -1
	s_or_b32 s72, s72, exec_lo
	s_wait_xcnt 0x0
	s_and_saveexec_b32 s75, s74
	s_cbranch_execz .LBB10_516
.LBB10_520:                             ;   in Loop: Header=BB10_517 Depth=3
	s_sleep 1
	s_trap 2
	ds_load_b64 v[4:5], v0
	s_wait_dscnt 0x0
	s_and_not1_b32 s72, s72, exec_lo
	v_cmp_ge_u64_e32 vcc_lo, v[4:5], v[48:49]
	s_or_not1_b32 s76, vcc_lo, exec_lo
	s_branch .LBB10_516
.LBB10_521:                             ;   in Loop: Header=BB10_57 Depth=2
	s_or_b32 exec_lo, exec_lo, s62
	s_and_saveexec_b32 s62, s63
	s_delay_alu instid0(SALU_CYCLE_1)
	s_xor_b32 s62, exec_lo, s62
	s_cbranch_execz .LBB10_523
; %bb.522:                              ;   in Loop: Header=BB10_57 Depth=2
	ds_store_b32 v0, v89
	s_trap 2
.LBB10_523:                             ;   in Loop: Header=BB10_57 Depth=2
	s_or_b32 exec_lo, exec_lo, s61
	;;#ASMSTART
	s_wakeup
	;;#ASMEND
.LBB10_524:                             ;   in Loop: Header=BB10_57 Depth=2
	s_or_b32 exec_lo, exec_lo, s60
.LBB10_525:                             ;   in Loop: Header=BB10_57 Depth=2
	s_and_not1_saveexec_b32 s41, s41
	s_cbranch_execz .LBB10_527
; %bb.526:                              ;   in Loop: Header=BB10_57 Depth=2
	global_wb scope:SCOPE_DEV
	s_wait_storecnt 0x0
	s_wait_loadcnt_dscnt 0x0
	global_inv scope:SCOPE_DEV
	s_barrier_signal -1
	s_barrier_wait -1
.LBB10_527:                             ;   in Loop: Header=BB10_57 Depth=2
	s_or_b32 exec_lo, exec_lo, s41
	s_delay_alu instid0(SALU_CYCLE_1) | instskip(SKIP_1) | instid1(SALU_CYCLE_1)
	s_or_b32 exec_lo, exec_lo, s40
                                        ; implicit-def: $vgpr1
	s_and_saveexec_b32 s40, s12
	s_xor_b32 s40, exec_lo, s40
	s_cbranch_execnz .LBB10_131
.LBB10_528:                             ;   in Loop: Header=BB10_57 Depth=2
	s_and_not1_saveexec_b32 s13, s40
	s_cbranch_execz .LBB10_547
.LBB10_529:                             ;   in Loop: Header=BB10_57 Depth=2
	s_and_saveexec_b32 s40, s3
	s_delay_alu instid0(SALU_CYCLE_1)
	s_xor_b32 s40, exec_lo, s40
	s_cbranch_execz .LBB10_544
; %bb.530:                              ;   in Loop: Header=BB10_57 Depth=2
	s_and_saveexec_b32 s41, s6
	s_cbranch_execz .LBB10_543
; %bb.531:                              ;   in Loop: Header=BB10_57 Depth=2
	s_mov_b32 s61, exec_lo
	s_mov_b32 s60, exec_lo
	v_mbcnt_lo_u32_b32 v1, s61, 0
	;;#ASMSTART
	s_waitcnt lgkmcnt(0) vmcnt(0)
	;;#ASMEND
	s_delay_alu instid0(VALU_DEP_1)
	v_cmpx_eq_u32_e32 0, v1
	s_cbranch_execz .LBB10_533
; %bb.532:                              ;   in Loop: Header=BB10_57 Depth=2
	s_bcnt1_i32_b32 s61, s61
	s_delay_alu instid0(SALU_CYCLE_1)
	v_mov_b32_e32 v2, s61
	s_wait_storecnt 0x0
	s_wait_loadcnt_dscnt 0x0
	ds_add_u64 v0, v[2:3]
	s_trap 2
.LBB10_533:                             ;   in Loop: Header=BB10_57 Depth=2
	s_or_b32 exec_lo, exec_lo, s60
	s_trap 2
	ds_load_b64 v[4:5], v0
	s_wait_dscnt 0x0
	v_add_nc_u64_e32 v[48:49], v[48:49], v[52:53]
	s_mov_b32 s60, exec_lo
	s_delay_alu instid0(VALU_DEP_1)
	v_cmpx_lt_u64_e64 v[4:5], v[48:49]
	s_cbranch_execz .LBB10_542
; %bb.534:                              ;   in Loop: Header=BB10_57 Depth=2
	s_mov_b32 s61, 0
	s_mov_b32 s72, 0
                                        ; implicit-def: $sgpr62
                                        ; implicit-def: $sgpr63
	s_branch .LBB10_536
.LBB10_535:                             ;   in Loop: Header=BB10_536 Depth=3
	s_or_b32 exec_lo, exec_lo, s74
	s_delay_alu instid0(SALU_CYCLE_1) | instskip(NEXT) | instid1(SALU_CYCLE_1)
	s_and_b32 s73, exec_lo, s75
	s_or_b32 s61, s73, s61
	s_and_not1_b32 s62, s62, exec_lo
	s_and_b32 s73, s63, exec_lo
	s_delay_alu instid0(SALU_CYCLE_1)
	s_or_b32 s62, s62, s73
	s_and_not1_b32 exec_lo, exec_lo, s61
	s_cbranch_execz .LBB10_540
.LBB10_536:                             ;   Parent Loop BB10_47 Depth=1
                                        ;     Parent Loop BB10_57 Depth=2
                                        ; =>    This Inner Loop Header: Depth=3
	s_add_co_i32 s72, s72, 1
	s_delay_alu instid0(SALU_CYCLE_1) | instskip(SKIP_1) | instid1(SALU_CYCLE_1)
	s_cmp_lg_u32 s72, 0x2710
	s_cselect_b32 s73, -1, 0
	s_and_b32 vcc_lo, exec_lo, s73
	s_cbranch_vccz .LBB10_538
; %bb.537:                              ;   in Loop: Header=BB10_536 Depth=3
	s_mov_b32 s75, -1
	s_or_b32 s63, s63, exec_lo
	s_and_saveexec_b32 s74, s73
	s_cbranch_execz .LBB10_535
	s_branch .LBB10_539
.LBB10_538:                             ;   in Loop: Header=BB10_536 Depth=3
	s_trap 2
	ds_load_b64 v[4:5], v0
	s_and_not1_b32 s73, s73, exec_lo
	s_mov_b32 s72, 0
	s_wait_storecnt 0x0
	s_wait_loadcnt_dscnt 0x0
	flat_load_b32 v1, v[4:5] scope:SCOPE_SYS
	s_wait_loadcnt_dscnt 0x0
	global_inv scope:SCOPE_SYS
	v_cmp_eq_u32_e32 vcc_lo, 0, v1
	s_and_b32 s74, vcc_lo, exec_lo
	s_delay_alu instid0(SALU_CYCLE_1)
	s_or_b32 s73, s73, s74
	s_mov_b32 s75, -1
	s_or_b32 s63, s63, exec_lo
	s_wait_xcnt 0x0
	s_and_saveexec_b32 s74, s73
	s_cbranch_execz .LBB10_535
.LBB10_539:                             ;   in Loop: Header=BB10_536 Depth=3
	s_sleep 1
	s_trap 2
	ds_load_b64 v[4:5], v0
	s_wait_dscnt 0x0
	s_and_not1_b32 s63, s63, exec_lo
	v_cmp_ge_u64_e32 vcc_lo, v[4:5], v[48:49]
	s_or_not1_b32 s75, vcc_lo, exec_lo
	s_branch .LBB10_535
.LBB10_540:                             ;   in Loop: Header=BB10_57 Depth=2
	s_or_b32 exec_lo, exec_lo, s61
	s_and_saveexec_b32 s61, s62
	s_delay_alu instid0(SALU_CYCLE_1)
	s_xor_b32 s61, exec_lo, s61
	s_cbranch_execz .LBB10_542
; %bb.541:                              ;   in Loop: Header=BB10_57 Depth=2
	ds_store_b32 v0, v89
	s_trap 2
.LBB10_542:                             ;   in Loop: Header=BB10_57 Depth=2
	s_or_b32 exec_lo, exec_lo, s60
	;;#ASMSTART
	s_wakeup
	;;#ASMEND
.LBB10_543:                             ;   in Loop: Header=BB10_57 Depth=2
	s_or_b32 exec_lo, exec_lo, s41
.LBB10_544:                             ;   in Loop: Header=BB10_57 Depth=2
	s_and_not1_saveexec_b32 s40, s40
	s_cbranch_execz .LBB10_546
; %bb.545:                              ;   in Loop: Header=BB10_57 Depth=2
	;;#ASMSTART
	s_waitcnt lgkmcnt(0) vmcnt(0)
	;;#ASMEND
	s_barrier_signal -1
	s_barrier_wait -1
.LBB10_546:                             ;   in Loop: Header=BB10_57 Depth=2
	s_or_b32 exec_lo, exec_lo, s40
	v_and_b32_e32 v1, 16, v30
.LBB10_547:                             ;   in Loop: Header=BB10_57 Depth=2
	s_or_b32 exec_lo, exec_lo, s13
	s_delay_alu instid0(SALU_CYCLE_1) | instskip(NEXT) | instid1(VALU_DEP_1)
	s_mov_b32 s13, exec_lo
	v_cmpx_ne_u32_e32 0, v1
	s_cbranch_execz .LBB10_56
; %bb.548:                              ;   in Loop: Header=BB10_57 Depth=2
	s_and_saveexec_b32 s40, s5
	s_cbranch_execz .LBB10_55
; %bb.549:                              ;   in Loop: Header=BB10_57 Depth=2
	global_wb scope:SCOPE_SYS
	s_wait_storecnt 0x0
	s_wait_loadcnt_dscnt 0x0
	flat_store_b32 v[38:39], v89 scope:SCOPE_SYS
	s_branch .LBB10_55
.LBB10_550:                             ;   in Loop: Header=BB10_47 Depth=1
	s_or_b32 exec_lo, exec_lo, s15
.LBB10_551:                             ;   in Loop: Header=BB10_47 Depth=1
	s_delay_alu instid0(SALU_CYCLE_1) | instskip(NEXT) | instid1(SALU_CYCLE_1)
	s_or_b32 exec_lo, exec_lo, s14
	s_mov_b32 s14, exec_lo
	v_cmpx_gt_i32_e32 2, v1
	s_cbranch_execz .LBB10_625
; %bb.552:                              ;   in Loop: Header=BB10_47 Depth=1
	v_cmp_eq_u32_e64 s18, 0, v1
	s_mov_b32 s15, 0
	s_branch .LBB10_555
.LBB10_553:                             ;   in Loop: Header=BB10_555 Depth=2
	s_wait_xcnt 0x0
	s_or_b32 exec_lo, exec_lo, s18
	v_add_nc_u64_e32 v[116:117], 2, v[116:117]
	global_wb scope:SCOPE_SYS
	s_wait_storecnt 0x0
	s_wait_loadcnt_dscnt 0x0
	flat_store_b64 v[32:33], v[116:117] scope:SCOPE_SYS
.LBB10_554:                             ;   in Loop: Header=BB10_555 Depth=2
	s_wait_xcnt 0x0
	s_or_b32 exec_lo, exec_lo, s13
	v_add_nc_u32_e32 v14, v12, v14
	s_mov_b32 s18, 0
	s_and_not1_b32 exec_lo, exec_lo, s15
	s_cbranch_execz .LBB10_624
.LBB10_555:                             ;   Parent Loop BB10_47 Depth=1
                                        ; =>  This Loop Header: Depth=2
                                        ;       Child Loop BB10_561 Depth 3
                                        ;       Child Loop BB10_585 Depth 3
	;; [unrolled: 1-line block ×3, first 2 shown]
	s_delay_alu instid0(VALU_DEP_1) | instskip(SKIP_2) | instid1(VALU_DEP_2)
	v_sub_nc_u32_e32 v1, v46, v14
	v_and_b32_e32 v2, 8, v30
	s_mov_b32 s27, exec_lo
	v_min_i32_e32 v12, v12, v1
	s_delay_alu instid0(VALU_DEP_2)
	v_cmpx_ne_u32_e32 0, v2
	s_cbranch_execz .LBB10_577
; %bb.556:                              ;   in Loop: Header=BB10_555 Depth=2
	s_wait_loadcnt_dscnt 0x1
	v_add_nc_u64_e32 v[4:5], 8, v[50:51]
	v_add_nc_u64_e32 v[8:9], 2, v[116:117]
	s_mov_b32 s40, exec_lo
	s_delay_alu instid0(VALU_DEP_1)
	v_cmpx_lt_u64_e64 v[4:5], v[8:9]
	s_cbranch_execz .LBB10_568
; %bb.557:                              ;   in Loop: Header=BB10_555 Depth=2
	v_and_b32_e32 v1, 64, v30
	s_mov_b32 s41, 0
	s_mov_b32 s63, 0
                                        ; implicit-def: $sgpr60
                                        ; implicit-def: $sgpr61
                                        ; implicit-def: $sgpr62
	s_delay_alu instid0(VALU_DEP_1)
	v_cmp_eq_u32_e32 vcc_lo, 0, v1
	s_branch .LBB10_561
.LBB10_558:                             ;   in Loop: Header=BB10_561 Depth=3
	s_wait_loadcnt_dscnt 0x0
	v_add_nc_u64_e32 v[4:5], 8, v[50:51]
	s_or_b32 s74, s74, exec_lo
	s_delay_alu instid0(VALU_DEP_1)
	v_cmp_ge_u64_e64 s13, v[4:5], v[8:9]
	s_or_not1_b32 s73, s13, exec_lo
.LBB10_559:                             ;   in Loop: Header=BB10_561 Depth=3
	s_or_b32 exec_lo, exec_lo, s76
	s_delay_alu instid0(SALU_CYCLE_1)
	s_and_not1_b32 s13, s62, exec_lo
	s_and_b32 s62, s74, exec_lo
	s_and_not1_b32 s61, s61, exec_lo
	s_and_b32 s73, s73, exec_lo
	s_or_b32 s62, s13, s62
	s_or_b32 s61, s61, s73
.LBB10_560:                             ;   in Loop: Header=BB10_561 Depth=3
	s_or_b32 exec_lo, exec_lo, s72
	s_delay_alu instid0(SALU_CYCLE_1) | instskip(NEXT) | instid1(SALU_CYCLE_1)
	s_and_b32 s13, exec_lo, s61
	s_or_b32 s41, s13, s41
	s_and_not1_b32 s13, s60, exec_lo
	s_and_b32 s60, s62, exec_lo
	s_delay_alu instid0(SALU_CYCLE_1)
	s_or_b32 s60, s13, s60
	s_and_not1_b32 exec_lo, exec_lo, s41
	s_cbranch_execz .LBB10_565
.LBB10_561:                             ;   Parent Loop BB10_47 Depth=1
                                        ;     Parent Loop BB10_555 Depth=2
                                        ; =>    This Inner Loop Header: Depth=3
	s_sleep 1
	s_wait_loadcnt_dscnt 0x0
	flat_load_b64 v[50:51], v[32:33] scope:SCOPE_SYS
	s_or_b32 s62, s62, exec_lo
	s_or_b32 s61, s61, exec_lo
                                        ; implicit-def: $vgpr1
	s_wait_xcnt 0x0
	s_and_saveexec_b32 s72, vcc_lo
	s_cbranch_execz .LBB10_560
; %bb.562:                              ;   in Loop: Header=BB10_561 Depth=3
	s_cmp_lt_i32 s63, 0x270f
	s_mov_b32 s73, -1
	s_cselect_b32 s75, -1, 0
	s_cmp_gt_i32 s63, 0x270e
	s_cbranch_scc0 .LBB10_564
; %bb.563:                              ;   in Loop: Header=BB10_561 Depth=3
	s_trap 2
	ds_load_b64 v[4:5], v0
	s_and_not1_b32 s63, s75, exec_lo
	s_mov_b32 s74, 0
	s_wait_storecnt 0x0
	s_wait_loadcnt_dscnt 0x0
	flat_load_b32 v1, v[4:5] scope:SCOPE_SYS
	s_wait_loadcnt_dscnt 0x0
	global_inv scope:SCOPE_SYS
	v_cmp_eq_u32_e64 s13, 0, v1
	s_and_b32 s13, s13, exec_lo
	s_delay_alu instid0(SALU_CYCLE_1)
	s_or_b32 s75, s63, s13
	s_mov_b32 s63, 0
	s_wait_xcnt 0x0
	s_and_saveexec_b32 s76, s75
	s_cbranch_execz .LBB10_559
	s_branch .LBB10_558
.LBB10_564:                             ;   in Loop: Header=BB10_561 Depth=3
	s_add_co_i32 s63, s63, 1
	s_mov_b32 s74, -1
                                        ; implicit-def: $vgpr1
	s_and_saveexec_b32 s76, s75
	s_cbranch_execz .LBB10_559
	s_branch .LBB10_558
.LBB10_565:                             ;   in Loop: Header=BB10_555 Depth=2
	s_or_b32 exec_lo, exec_lo, s41
	s_xor_b32 s13, s60, -1
	s_delay_alu instid0(SALU_CYCLE_1) | instskip(NEXT) | instid1(SALU_CYCLE_1)
	s_and_saveexec_b32 s41, s13
	s_xor_b32 s13, exec_lo, s41
	s_cbranch_execz .LBB10_567
; %bb.566:                              ;   in Loop: Header=BB10_555 Depth=2
	v_or_b32_e32 v30, 64, v30
	s_wait_storecnt 0x0
	s_wait_loadcnt_dscnt 0x0
	ds_store_b32 v0, v1
	s_trap 2
.LBB10_567:                             ;   in Loop: Header=BB10_555 Depth=2
	s_or_b32 exec_lo, exec_lo, s13
.LBB10_568:                             ;   in Loop: Header=BB10_555 Depth=2
	s_delay_alu instid0(SALU_CYCLE_1) | instskip(SKIP_4) | instid1(VALU_DEP_1)
	s_or_b32 exec_lo, exec_lo, s40
	v_and_b32_e32 v1, 0x100, v30
	s_mov_b32 s40, 0
	s_mov_b32 s13, exec_lo
	;;#ASMSTART
	s_wakeup
	;;#ASMEND
                                        ; implicit-def: $vgpr10_vgpr11
	v_cmpx_ne_u32_e32 0, v1
	s_xor_b32 s13, exec_lo, s13
	s_cbranch_execz .LBB10_589
; %bb.569:                              ;   in Loop: Header=BB10_555 Depth=2
	v_and_b32_e32 v2, 7, v116
	v_ashrrev_i32_e32 v13, 31, v12
	s_mov_b32 s40, -1
	s_mov_b32 s41, exec_lo
                                        ; implicit-def: $vgpr10_vgpr11
	s_delay_alu instid0(VALU_DEP_2) | instskip(NEXT) | instid1(VALU_DEP_2)
	v_mad_nc_u64_u32 v[16:17], v2, 24, v[6:7]
	v_lshlrev_b64_e32 v[4:5], 1, v[12:13]
	s_clause 0x1
	flat_load_b32 v1, v[16:17]
	flat_store_b64 v[16:17], v[4:5] offset:8
	s_wait_loadcnt_dscnt 0x1
	s_wait_xcnt 0x0
	v_cmpx_eq_u32_e32 1, v1
	s_cbranch_execz .LBB10_571
; %bb.570:                              ;   in Loop: Header=BB10_555 Depth=2
	flat_load_b32 v4, v[16:17] offset:4 scope:SCOPE_SYS
	s_xor_b32 s40, exec_lo, -1
	s_wait_loadcnt_dscnt 0x0
	v_ashrrev_i32_e32 v5, 31, v4
	s_delay_alu instid0(VALU_DEP_1)
	v_lshrrev_b64 v[10:11], 1, v[4:5]
.LBB10_571:                             ;   in Loop: Header=BB10_555 Depth=2
	s_wait_xcnt 0x0
	s_or_b32 exec_lo, exec_lo, s41
	s_delay_alu instid0(SALU_CYCLE_1)
	s_and_b32 s40, s40, exec_lo
                                        ; implicit-def: $vgpr116_vgpr117
	s_and_not1_saveexec_b32 s13, s13
	s_cbranch_execnz .LBB10_590
.LBB10_572:                             ;   in Loop: Header=BB10_555 Depth=2
	s_or_b32 exec_lo, exec_lo, s13
	s_and_saveexec_b32 s13, s40
.LBB10_573:                             ;   in Loop: Header=BB10_555 Depth=2
	v_mul_u64_e32 v[10:11], v[2:3], v[34:35]
.LBB10_574:                             ;   in Loop: Header=BB10_555 Depth=2
	s_or_b32 exec_lo, exec_lo, s13
	v_and_b32_e32 v1, 0x2000, v30
	s_delay_alu instid0(VALU_DEP_2)
	v_lshl_add_u64 v[4:5], v[10:11], 1, v[36:37]
	s_mov_b32 s13, exec_lo
	ds_store_b64 v0, v[4:5] offset:784
	v_cmpx_ne_u32_e32 0, v1
	s_cbranch_execz .LBB10_576
; %bb.575:                              ;   in Loop: Header=BB10_555 Depth=2
	ds_load_b64 v[4:5], v0 offset:872
	s_wait_dscnt 0x0
	v_add_nc_u64_e32 v[4:5], 1, v[4:5]
	ds_store_b64 v0, v[4:5] offset:872
.LBB10_576:                             ;   in Loop: Header=BB10_555 Depth=2
	s_or_b32 exec_lo, exec_lo, s13
	v_mov_b64_e32 v[116:117], v[8:9]
.LBB10_577:                             ;   in Loop: Header=BB10_555 Depth=2
	s_or_b32 exec_lo, exec_lo, s27
	s_xor_b32 s13, s18, -1
	s_delay_alu instid0(SALU_CYCLE_1) | instskip(NEXT) | instid1(SALU_CYCLE_1)
	s_and_b32 s13, exec_lo, s13
	s_or_b32 s15, s13, s15
	s_and_saveexec_b32 s13, s2
	s_cbranch_execz .LBB10_598
; %bb.578:                              ;   in Loop: Header=BB10_555 Depth=2
	s_and_saveexec_b32 s18, s3
	s_delay_alu instid0(SALU_CYCLE_1)
	s_xor_b32 s18, exec_lo, s18
	s_cbranch_execz .LBB10_595
; %bb.579:                              ;   in Loop: Header=BB10_555 Depth=2
	s_and_saveexec_b32 s27, s6
	s_cbranch_execz .LBB10_594
; %bb.580:                              ;   in Loop: Header=BB10_555 Depth=2
	s_mov_b32 s41, exec_lo
	s_mov_b32 s40, exec_lo
	v_mbcnt_lo_u32_b32 v1, s41, 0
	global_wb scope:SCOPE_DEV
	s_wait_storecnt 0x0
	s_wait_loadcnt_dscnt 0x0
	global_inv scope:SCOPE_DEV
	v_cmpx_eq_u32_e32 0, v1
	s_cbranch_execz .LBB10_582
; %bb.581:                              ;   in Loop: Header=BB10_555 Depth=2
	s_bcnt1_i32_b32 s41, s41
	s_delay_alu instid0(SALU_CYCLE_1)
	v_mov_b32_e32 v2, s41
	s_wait_loadcnt 0x0
	ds_add_u64 v0, v[2:3]
	s_trap 2
.LBB10_582:                             ;   in Loop: Header=BB10_555 Depth=2
	s_or_b32 exec_lo, exec_lo, s40
	s_trap 2
	ds_load_b64 v[4:5], v0
	s_wait_dscnt 0x0
	v_add_nc_u64_e32 v[48:49], v[48:49], v[52:53]
	s_mov_b32 s40, exec_lo
	s_delay_alu instid0(VALU_DEP_1)
	v_cmpx_lt_u64_e64 v[4:5], v[48:49]
	s_cbranch_execz .LBB10_593
; %bb.583:                              ;   in Loop: Header=BB10_555 Depth=2
	s_mov_b32 s41, 0
	s_mov_b32 s62, 0
                                        ; implicit-def: $sgpr60
                                        ; implicit-def: $sgpr61
	s_branch .LBB10_585
.LBB10_584:                             ;   in Loop: Header=BB10_585 Depth=3
	s_or_b32 exec_lo, exec_lo, s72
	s_delay_alu instid0(SALU_CYCLE_1) | instskip(NEXT) | instid1(SALU_CYCLE_1)
	s_and_b32 s63, exec_lo, s73
	s_or_b32 s41, s63, s41
	s_and_not1_b32 s60, s60, exec_lo
	s_and_b32 s63, s61, exec_lo
	s_delay_alu instid0(SALU_CYCLE_1)
	s_or_b32 s60, s60, s63
	s_and_not1_b32 exec_lo, exec_lo, s41
	s_cbranch_execz .LBB10_591
.LBB10_585:                             ;   Parent Loop BB10_47 Depth=1
                                        ;     Parent Loop BB10_555 Depth=2
                                        ; =>    This Inner Loop Header: Depth=3
	s_add_co_i32 s62, s62, 1
	s_delay_alu instid0(SALU_CYCLE_1) | instskip(SKIP_1) | instid1(SALU_CYCLE_1)
	s_cmp_lg_u32 s62, 0x2710
	s_cselect_b32 s63, -1, 0
	s_and_b32 vcc_lo, exec_lo, s63
	s_cbranch_vccz .LBB10_587
; %bb.586:                              ;   in Loop: Header=BB10_585 Depth=3
	s_mov_b32 s73, -1
	s_or_b32 s61, s61, exec_lo
	s_and_saveexec_b32 s72, s63
	s_cbranch_execz .LBB10_584
	s_branch .LBB10_588
.LBB10_587:                             ;   in Loop: Header=BB10_585 Depth=3
	s_trap 2
	ds_load_b64 v[4:5], v0
	s_and_not1_b32 s63, s63, exec_lo
	s_mov_b32 s62, 0
	s_wait_loadcnt_dscnt 0x0
	flat_load_b32 v1, v[4:5] scope:SCOPE_SYS
	s_wait_loadcnt_dscnt 0x0
	global_inv scope:SCOPE_SYS
	v_cmp_eq_u32_e32 vcc_lo, 0, v1
	s_and_b32 s72, vcc_lo, exec_lo
	s_delay_alu instid0(SALU_CYCLE_1)
	s_or_b32 s63, s63, s72
	s_mov_b32 s73, -1
	s_or_b32 s61, s61, exec_lo
	s_wait_xcnt 0x0
	s_and_saveexec_b32 s72, s63
	s_cbranch_execz .LBB10_584
.LBB10_588:                             ;   in Loop: Header=BB10_585 Depth=3
	s_sleep 1
	s_trap 2
	ds_load_b64 v[4:5], v0
	s_wait_dscnt 0x0
	s_and_not1_b32 s61, s61, exec_lo
	v_cmp_ge_u64_e32 vcc_lo, v[4:5], v[48:49]
	s_or_not1_b32 s73, vcc_lo, exec_lo
	s_branch .LBB10_584
.LBB10_589:                             ;   in Loop: Header=BB10_555 Depth=2
	s_and_not1_saveexec_b32 s13, s13
	s_cbranch_execz .LBB10_572
.LBB10_590:                             ;   in Loop: Header=BB10_555 Depth=2
	v_and_b32_e32 v2, 7, v116
	s_or_b32 s40, s40, exec_lo
	s_or_b32 exec_lo, exec_lo, s13
	s_and_saveexec_b32 s13, s40
	s_cbranch_execnz .LBB10_573
	s_branch .LBB10_574
.LBB10_591:                             ;   in Loop: Header=BB10_555 Depth=2
	s_or_b32 exec_lo, exec_lo, s41
	s_and_saveexec_b32 s41, s60
	s_delay_alu instid0(SALU_CYCLE_1)
	s_xor_b32 s41, exec_lo, s41
	s_cbranch_execz .LBB10_593
; %bb.592:                              ;   in Loop: Header=BB10_555 Depth=2
	ds_store_b32 v0, v89
	s_trap 2
.LBB10_593:                             ;   in Loop: Header=BB10_555 Depth=2
	s_or_b32 exec_lo, exec_lo, s40
	;;#ASMSTART
	s_wakeup
	;;#ASMEND
.LBB10_594:                             ;   in Loop: Header=BB10_555 Depth=2
	s_or_b32 exec_lo, exec_lo, s27
.LBB10_595:                             ;   in Loop: Header=BB10_555 Depth=2
	s_and_not1_saveexec_b32 s18, s18
	s_cbranch_execz .LBB10_597
; %bb.596:                              ;   in Loop: Header=BB10_555 Depth=2
	global_wb scope:SCOPE_DEV
	s_wait_storecnt 0x0
	s_wait_loadcnt_dscnt 0x0
	global_inv scope:SCOPE_DEV
	s_barrier_signal -1
	s_barrier_wait -1
.LBB10_597:                             ;   in Loop: Header=BB10_555 Depth=2
	s_or_b32 exec_lo, exec_lo, s18
.LBB10_598:                             ;   in Loop: Header=BB10_555 Depth=2
	s_delay_alu instid0(SALU_CYCLE_1) | instskip(SKIP_1) | instid1(SALU_CYCLE_1)
	s_or_b32 exec_lo, exec_lo, s13
                                        ; implicit-def: $vgpr1
	s_and_saveexec_b32 s13, s12
	s_xor_b32 s18, exec_lo, s13
	s_cbranch_execz .LBB10_602
; %bb.599:                              ;   in Loop: Header=BB10_555 Depth=2
	s_trap 2
	ds_load_b32 v1, v0
	v_cmp_lt_i32_e32 vcc_lo, 0, v12
	s_wait_dscnt 0x0
	v_readfirstlane_b32 s13, v1
	v_and_b32_e32 v1, 16, v30
	s_cmp_eq_u32 s13, 0
	s_delay_alu instid0(VALU_DEP_1) | instskip(SKIP_3) | instid1(SALU_CYCLE_1)
	v_cmp_ne_u32_e64 s13, 0, v1
	s_cselect_b32 s27, -1, 0
	v_and_b32_e32 v1, 16, v30
	s_and_b32 s27, vcc_lo, s27
	s_and_b32 s27, s13, s27
	s_delay_alu instid0(SALU_CYCLE_1)
	s_and_saveexec_b32 s13, s27
	s_cbranch_execz .LBB10_601
; %bb.600:                              ;   in Loop: Header=BB10_555 Depth=2
	v_mov_b32_e32 v1, 1
	global_wb scope:SCOPE_SYS
	s_wait_loadcnt 0x0
	s_wait_storecnt 0x0
	global_inv scope:SCOPE_SYS
.LBB10_601:                             ;   in Loop: Header=BB10_555 Depth=2
	s_or_b32 exec_lo, exec_lo, s13
	s_and_not1_saveexec_b32 s13, s18
	s_cbranch_execz .LBB10_621
	s_branch .LBB10_603
.LBB10_602:                             ;   in Loop: Header=BB10_555 Depth=2
	s_and_not1_saveexec_b32 s13, s18
	s_cbranch_execz .LBB10_621
.LBB10_603:                             ;   in Loop: Header=BB10_555 Depth=2
	s_and_saveexec_b32 s18, s3
	s_delay_alu instid0(SALU_CYCLE_1)
	s_xor_b32 s18, exec_lo, s18
	s_cbranch_execz .LBB10_618
; %bb.604:                              ;   in Loop: Header=BB10_555 Depth=2
	s_and_saveexec_b32 s27, s6
	s_cbranch_execz .LBB10_617
; %bb.605:                              ;   in Loop: Header=BB10_555 Depth=2
	s_mov_b32 s41, exec_lo
	s_mov_b32 s40, exec_lo
	v_mbcnt_lo_u32_b32 v1, s41, 0
	;;#ASMSTART
	s_waitcnt lgkmcnt(0) vmcnt(0)
	;;#ASMEND
	s_delay_alu instid0(VALU_DEP_1)
	v_cmpx_eq_u32_e32 0, v1
	s_cbranch_execz .LBB10_607
; %bb.606:                              ;   in Loop: Header=BB10_555 Depth=2
	s_bcnt1_i32_b32 s41, s41
	s_delay_alu instid0(SALU_CYCLE_1)
	v_mov_b32_e32 v2, s41
	s_wait_storecnt 0x0
	s_wait_loadcnt_dscnt 0x0
	ds_add_u64 v0, v[2:3]
	s_trap 2
.LBB10_607:                             ;   in Loop: Header=BB10_555 Depth=2
	s_or_b32 exec_lo, exec_lo, s40
	s_trap 2
	ds_load_b64 v[4:5], v0
	s_wait_dscnt 0x0
	v_add_nc_u64_e32 v[48:49], v[48:49], v[52:53]
	s_mov_b32 s40, exec_lo
	s_delay_alu instid0(VALU_DEP_1)
	v_cmpx_lt_u64_e64 v[4:5], v[48:49]
	s_cbranch_execz .LBB10_616
; %bb.608:                              ;   in Loop: Header=BB10_555 Depth=2
	s_mov_b32 s41, 0
	s_mov_b32 s62, 0
                                        ; implicit-def: $sgpr60
                                        ; implicit-def: $sgpr61
	s_branch .LBB10_610
.LBB10_609:                             ;   in Loop: Header=BB10_610 Depth=3
	s_or_b32 exec_lo, exec_lo, s72
	s_delay_alu instid0(SALU_CYCLE_1) | instskip(NEXT) | instid1(SALU_CYCLE_1)
	s_and_b32 s63, exec_lo, s73
	s_or_b32 s41, s63, s41
	s_and_not1_b32 s60, s60, exec_lo
	s_and_b32 s63, s61, exec_lo
	s_delay_alu instid0(SALU_CYCLE_1)
	s_or_b32 s60, s60, s63
	s_and_not1_b32 exec_lo, exec_lo, s41
	s_cbranch_execz .LBB10_614
.LBB10_610:                             ;   Parent Loop BB10_47 Depth=1
                                        ;     Parent Loop BB10_555 Depth=2
                                        ; =>    This Inner Loop Header: Depth=3
	s_add_co_i32 s62, s62, 1
	s_delay_alu instid0(SALU_CYCLE_1) | instskip(SKIP_1) | instid1(SALU_CYCLE_1)
	s_cmp_lg_u32 s62, 0x2710
	s_cselect_b32 s63, -1, 0
	s_and_b32 vcc_lo, exec_lo, s63
	s_cbranch_vccz .LBB10_612
; %bb.611:                              ;   in Loop: Header=BB10_610 Depth=3
	s_mov_b32 s73, -1
	s_or_b32 s61, s61, exec_lo
	s_and_saveexec_b32 s72, s63
	s_cbranch_execz .LBB10_609
	s_branch .LBB10_613
.LBB10_612:                             ;   in Loop: Header=BB10_610 Depth=3
	s_trap 2
	ds_load_b64 v[4:5], v0
	s_and_not1_b32 s63, s63, exec_lo
	s_mov_b32 s62, 0
	s_wait_storecnt 0x0
	s_wait_loadcnt_dscnt 0x0
	flat_load_b32 v1, v[4:5] scope:SCOPE_SYS
	s_wait_loadcnt_dscnt 0x0
	global_inv scope:SCOPE_SYS
	v_cmp_eq_u32_e32 vcc_lo, 0, v1
	s_and_b32 s72, vcc_lo, exec_lo
	s_delay_alu instid0(SALU_CYCLE_1)
	s_or_b32 s63, s63, s72
	s_mov_b32 s73, -1
	s_or_b32 s61, s61, exec_lo
	s_wait_xcnt 0x0
	s_and_saveexec_b32 s72, s63
	s_cbranch_execz .LBB10_609
.LBB10_613:                             ;   in Loop: Header=BB10_610 Depth=3
	s_sleep 1
	s_trap 2
	ds_load_b64 v[4:5], v0
	s_wait_dscnt 0x0
	s_and_not1_b32 s61, s61, exec_lo
	v_cmp_ge_u64_e32 vcc_lo, v[4:5], v[48:49]
	s_or_not1_b32 s73, vcc_lo, exec_lo
	s_branch .LBB10_609
.LBB10_614:                             ;   in Loop: Header=BB10_555 Depth=2
	s_or_b32 exec_lo, exec_lo, s41
	s_and_saveexec_b32 s41, s60
	s_delay_alu instid0(SALU_CYCLE_1)
	s_xor_b32 s41, exec_lo, s41
	s_cbranch_execz .LBB10_616
; %bb.615:                              ;   in Loop: Header=BB10_555 Depth=2
	ds_store_b32 v0, v89
	s_trap 2
.LBB10_616:                             ;   in Loop: Header=BB10_555 Depth=2
	s_or_b32 exec_lo, exec_lo, s40
	;;#ASMSTART
	s_wakeup
	;;#ASMEND
.LBB10_617:                             ;   in Loop: Header=BB10_555 Depth=2
	s_or_b32 exec_lo, exec_lo, s27
.LBB10_618:                             ;   in Loop: Header=BB10_555 Depth=2
	s_and_not1_saveexec_b32 s18, s18
	s_cbranch_execz .LBB10_620
; %bb.619:                              ;   in Loop: Header=BB10_555 Depth=2
	;;#ASMSTART
	s_waitcnt lgkmcnt(0) vmcnt(0)
	;;#ASMEND
	s_barrier_signal -1
	s_barrier_wait -1
.LBB10_620:                             ;   in Loop: Header=BB10_555 Depth=2
	s_or_b32 exec_lo, exec_lo, s18
	v_and_b32_e32 v1, 16, v30
.LBB10_621:                             ;   in Loop: Header=BB10_555 Depth=2
	s_or_b32 exec_lo, exec_lo, s13
	s_delay_alu instid0(SALU_CYCLE_1) | instskip(NEXT) | instid1(VALU_DEP_1)
	s_mov_b32 s13, exec_lo
	v_cmpx_ne_u32_e32 0, v1
	s_cbranch_execz .LBB10_554
; %bb.622:                              ;   in Loop: Header=BB10_555 Depth=2
	s_and_saveexec_b32 s18, s5
	s_cbranch_execz .LBB10_553
; %bb.623:                              ;   in Loop: Header=BB10_555 Depth=2
	global_wb scope:SCOPE_SYS
	s_wait_storecnt 0x0
	s_wait_loadcnt_dscnt 0x0
	flat_store_b32 v[38:39], v89 scope:SCOPE_SYS
	s_branch .LBB10_553
.LBB10_624:                             ;   in Loop: Header=BB10_47 Depth=1
	s_or_b32 exec_lo, exec_lo, s15
.LBB10_625:                             ;   in Loop: Header=BB10_47 Depth=1
	s_delay_alu instid0(SALU_CYCLE_1) | instskip(NEXT) | instid1(SALU_CYCLE_1)
	s_or_b32 exec_lo, exec_lo, s14
	s_and_not1_b32 vcc_lo, exec_lo, s46
	s_cbranch_vccnz .LBB10_1304
; %bb.626:                              ;   in Loop: Header=BB10_47 Depth=1
	s_mov_b32 s14, 2
	s_branch .LBB10_629
.LBB10_627:                             ;   in Loop: Header=BB10_629 Depth=2
	s_or_b32 exec_lo, exec_lo, s18
.LBB10_628:                             ;   in Loop: Header=BB10_629 Depth=2
	s_delay_alu instid0(SALU_CYCLE_1) | instskip(SKIP_1) | instid1(SALU_CYCLE_1)
	s_or_b32 exec_lo, exec_lo, s15
	s_add_co_i32 s14, s14, 1
	s_cmp_eq_u32 s14, s16
	s_cbranch_scc1 .LBB10_1304
.LBB10_629:                             ;   Parent Loop BB10_47 Depth=1
                                        ; =>  This Loop Header: Depth=2
                                        ;       Child Loop BB10_632 Depth 3
                                        ;         Child Loop BB10_640 Depth 4
                                        ;         Child Loop BB10_668 Depth 4
	;; [unrolled: 1-line block ×9, first 2 shown]
                                        ;       Child Loop BB10_1232 Depth 3
                                        ;         Child Loop BB10_1238 Depth 4
                                        ;         Child Loop BB10_1266 Depth 4
	;; [unrolled: 1-line block ×3, first 2 shown]
	s_clause 0x1
	scratch_load_b64 v[8:9], off, s33 offset:204
	scratch_load_b64 v[4:5], off, s33 offset:196
	s_sub_co_i32 s13, s44, s14
	s_mov_b32 s18, 0
	s_cmp_ge_i32 s13, s16
	v_mov_b32_e32 v44, 0
	s_cselect_b32 s15, s16, 0
	s_delay_alu instid0(SALU_CYCLE_1) | instskip(NEXT) | instid1(SALU_CYCLE_1)
	s_sub_co_i32 s40, s13, s15
	s_ashr_i32 s41, s40, 31
	s_wait_loadcnt 0x1
	v_mul_u64_e32 v[46:47], s[40:41], v[8:9]
	s_wait_loadcnt 0x0
	s_delay_alu instid0(VALU_DEP_1) | instskip(NEXT) | instid1(VALU_DEP_1)
	v_sub_nc_u64_e32 v[4:5], v[4:5], v[46:47]
	v_min_i64 v[4:5], v[8:9], v[4:5]
	s_delay_alu instid0(VALU_DEP_1) | instskip(SKIP_1) | instid1(VALU_DEP_2)
	v_max_i32_e32 v74, 0, v4
	v_cmp_lt_i32_e32 vcc_lo, 0, v4
	v_add_nc_u32_e32 v1, 31, v74
	s_and_b32 s13, s57, vcc_lo
	s_delay_alu instid0(VALU_DEP_1) | instskip(NEXT) | instid1(VALU_DEP_1)
	v_lshrrev_b32_e32 v1, 1, v1
	v_and_b32_e32 v2, 0x3ffffff0, v1
	s_delay_alu instid0(VALU_DEP_1)
	v_dual_mov_b32 v1, 0 :: v_dual_max_i32 v42, s45, v2
	s_wait_xcnt 0x0
	s_and_saveexec_b32 s15, s13
	s_cbranch_execz .LBB10_1229
; %bb.630:                              ;   in Loop: Header=BB10_629 Depth=2
	v_mov_b32_e32 v44, 0
	s_mov_b32 s40, 1
	s_mov_b32 s27, -1
	s_branch .LBB10_632
.LBB10_631:                             ;   in Loop: Header=BB10_632 Depth=3
	s_wait_xcnt 0x0
	s_or_b32 exec_lo, exec_lo, s13
	v_dual_mov_b32 v1, s40 :: v_dual_add_nc_u32 v44, v42, v44
	s_xor_b32 s13, s27, -1
	s_mov_b32 s27, 0
	s_mov_b32 s40, 2
	s_delay_alu instid0(VALU_DEP_1) | instskip(SKIP_1) | instid1(SALU_CYCLE_1)
	v_cmp_ge_i32_e32 vcc_lo, v44, v74
	s_or_b32 s13, s13, vcc_lo
	s_and_b32 s13, exec_lo, s13
	s_delay_alu instid0(SALU_CYCLE_1) | instskip(NEXT) | instid1(SALU_CYCLE_1)
	s_or_b32 s18, s13, s18
	s_and_not1_b32 exec_lo, exec_lo, s18
	s_cbranch_execz .LBB10_1228
.LBB10_632:                             ;   Parent Loop BB10_47 Depth=1
                                        ;     Parent Loop BB10_629 Depth=2
                                        ; =>    This Loop Header: Depth=3
                                        ;         Child Loop BB10_640 Depth 4
                                        ;         Child Loop BB10_668 Depth 4
	;; [unrolled: 1-line block ×9, first 2 shown]
	s_and_saveexec_b32 s13, s0
	s_cbranch_execz .LBB10_634
; %bb.633:                              ;   in Loop: Header=BB10_632 Depth=3
	s_trap 2
	scratch_load_b64 v[8:9], off, s33 offset:188 ; 8-byte Folded Reload
	ds_load_b64 v[4:5], v0
	v_ashrrev_i32_e32 v45, 31, v44
	s_wait_loadcnt_dscnt 0x0
	v_lshl_add_u64 v[4:5], v[8:9], 1, v[4:5]
	s_delay_alu instid0(VALU_DEP_1) | instskip(NEXT) | instid1(VALU_DEP_1)
	v_lshl_add_u64 v[4:5], v[46:47], 1, v[4:5]
	v_lshl_add_u64 v[4:5], v[44:45], 1, v[4:5]
	ds_store_b64 v0, v[4:5]
	v_mov_b64_e32 v[4:5], 0
	ds_store_b64 v0, v[4:5]
.LBB10_634:                             ;   in Loop: Header=BB10_632 Depth=3
	s_wait_xcnt 0x0
	s_or_b32 exec_lo, exec_lo, s13
	v_dual_sub_nc_u32 v1, v74, v44 :: v_dual_bitop2_b32 v2, 12, v30 bitop3:0x40
	s_mov_b32 s41, exec_lo
	s_delay_alu instid0(VALU_DEP_1) | instskip(NEXT) | instid1(VALU_DEP_2)
	v_min_i32_e32 v42, v42, v1
	v_cmpx_ne_u32_e32 0, v2
	s_cbranch_execz .LBB10_660
; %bb.635:                              ;   in Loop: Header=BB10_632 Depth=3
	v_and_b32_e32 v2, 8, v30
	v_add_nc_u64_e32 v[8:9], 2, v[116:117]
	s_mov_b32 s60, exec_lo
	s_wait_loadcnt_dscnt 0x1
	s_delay_alu instid0(VALU_DEP_2) | instskip(NEXT) | instid1(VALU_DEP_1)
	v_add_nc_u64_e32 v[4:5], v[50:51], v[2:3]
	v_cmpx_lt_u64_e64 v[4:5], v[8:9]
	s_cbranch_execz .LBB10_647
; %bb.636:                              ;   in Loop: Header=BB10_632 Depth=3
	v_and_b32_e32 v1, 64, v30
	s_mov_b32 s61, 0
	s_mov_b32 s73, 0
                                        ; implicit-def: $sgpr62
                                        ; implicit-def: $sgpr63
                                        ; implicit-def: $sgpr72
	s_delay_alu instid0(VALU_DEP_1)
	v_cmp_eq_u32_e32 vcc_lo, 0, v1
	s_branch .LBB10_640
.LBB10_637:                             ;   in Loop: Header=BB10_640 Depth=4
	s_wait_loadcnt_dscnt 0x0
	v_add_nc_u64_e32 v[4:5], v[50:51], v[2:3]
	s_or_b32 s76, s76, exec_lo
	s_delay_alu instid0(VALU_DEP_1)
	v_cmp_ge_u64_e64 s13, v[4:5], v[8:9]
	s_or_not1_b32 s75, s13, exec_lo
.LBB10_638:                             ;   in Loop: Header=BB10_640 Depth=4
	s_or_b32 exec_lo, exec_lo, s78
	s_delay_alu instid0(SALU_CYCLE_1)
	s_and_not1_b32 s13, s72, exec_lo
	s_and_b32 s72, s76, exec_lo
	s_and_not1_b32 s63, s63, exec_lo
	s_and_b32 s75, s75, exec_lo
	s_or_b32 s72, s13, s72
	s_or_b32 s63, s63, s75
.LBB10_639:                             ;   in Loop: Header=BB10_640 Depth=4
	s_or_b32 exec_lo, exec_lo, s74
	s_delay_alu instid0(SALU_CYCLE_1) | instskip(NEXT) | instid1(SALU_CYCLE_1)
	s_and_b32 s13, exec_lo, s63
	s_or_b32 s61, s13, s61
	s_and_not1_b32 s13, s62, exec_lo
	s_and_b32 s62, s72, exec_lo
	s_delay_alu instid0(SALU_CYCLE_1)
	s_or_b32 s62, s13, s62
	s_and_not1_b32 exec_lo, exec_lo, s61
	s_cbranch_execz .LBB10_644
.LBB10_640:                             ;   Parent Loop BB10_47 Depth=1
                                        ;     Parent Loop BB10_629 Depth=2
                                        ;       Parent Loop BB10_632 Depth=3
                                        ; =>      This Inner Loop Header: Depth=4
	s_sleep 1
	s_wait_loadcnt_dscnt 0x0
	flat_load_b64 v[50:51], v[32:33] scope:SCOPE_SYS
	s_or_b32 s72, s72, exec_lo
	s_or_b32 s63, s63, exec_lo
                                        ; implicit-def: $vgpr1
	s_wait_xcnt 0x0
	s_and_saveexec_b32 s74, vcc_lo
	s_cbranch_execz .LBB10_639
; %bb.641:                              ;   in Loop: Header=BB10_640 Depth=4
	s_cmp_lt_i32 s73, 0x270f
	s_mov_b32 s75, -1
	s_cselect_b32 s77, -1, 0
	s_cmp_gt_i32 s73, 0x270e
	s_cbranch_scc0 .LBB10_643
; %bb.642:                              ;   in Loop: Header=BB10_640 Depth=4
	s_trap 2
	ds_load_b64 v[4:5], v0
	s_and_not1_b32 s73, s77, exec_lo
	s_mov_b32 s76, 0
	s_wait_storecnt 0x0
	s_wait_loadcnt_dscnt 0x0
	flat_load_b32 v1, v[4:5] scope:SCOPE_SYS
	s_wait_loadcnt_dscnt 0x0
	global_inv scope:SCOPE_SYS
	v_cmp_eq_u32_e64 s13, 0, v1
	s_and_b32 s13, s13, exec_lo
	s_delay_alu instid0(SALU_CYCLE_1)
	s_or_b32 s77, s73, s13
	s_mov_b32 s73, 0
	s_wait_xcnt 0x0
	s_and_saveexec_b32 s78, s77
	s_cbranch_execz .LBB10_638
	s_branch .LBB10_637
.LBB10_643:                             ;   in Loop: Header=BB10_640 Depth=4
	s_add_co_i32 s73, s73, 1
	s_mov_b32 s76, -1
                                        ; implicit-def: $vgpr1
	s_and_saveexec_b32 s78, s77
	s_cbranch_execz .LBB10_638
	s_branch .LBB10_637
.LBB10_644:                             ;   in Loop: Header=BB10_632 Depth=3
	s_or_b32 exec_lo, exec_lo, s61
	s_xor_b32 s13, s62, -1
	s_delay_alu instid0(SALU_CYCLE_1) | instskip(NEXT) | instid1(SALU_CYCLE_1)
	s_and_saveexec_b32 s61, s13
	s_xor_b32 s13, exec_lo, s61
	s_cbranch_execz .LBB10_646
; %bb.645:                              ;   in Loop: Header=BB10_632 Depth=3
	v_or_b32_e32 v30, 64, v30
	s_wait_storecnt 0x0
	s_wait_loadcnt_dscnt 0x0
	ds_store_b32 v0, v1
	s_trap 2
.LBB10_646:                             ;   in Loop: Header=BB10_632 Depth=3
	s_or_b32 exec_lo, exec_lo, s13
.LBB10_647:                             ;   in Loop: Header=BB10_632 Depth=3
	s_delay_alu instid0(SALU_CYCLE_1) | instskip(SKIP_3) | instid1(VALU_DEP_1)
	s_or_b32 exec_lo, exec_lo, s60
	v_and_b32_e32 v1, 0x108, v30
	s_mov_b32 s13, exec_lo
	;;#ASMSTART
	s_wakeup
	;;#ASMEND
                                        ; implicit-def: $vgpr10_vgpr11
	v_cmpx_ne_u32_e32 0x108, v1
	s_xor_b32 s13, exec_lo, s13
; %bb.648:                              ;   in Loop: Header=BB10_632 Depth=3
	v_dual_mov_b32 v11, v3 :: v_dual_bitop2_b32 v10, 7, v116 bitop3:0x40
                                        ; implicit-def: $vgpr116_vgpr117
; %bb.649:                              ;   in Loop: Header=BB10_632 Depth=3
	s_and_not1_saveexec_b32 s13, s13
	s_cbranch_execz .LBB10_651
; %bb.650:                              ;   in Loop: Header=BB10_632 Depth=3
	v_dual_ashrrev_i32 v43, 31, v42 :: v_dual_bitop2_b32 v10, 7, v116 bitop3:0x40
	v_mov_b32_e32 v11, v3
	s_delay_alu instid0(VALU_DEP_2) | instskip(NEXT) | instid1(VALU_DEP_3)
	v_mad_nc_u64_u32 v[4:5], v10, 24, v[6:7]
	v_lshlrev_b64_e32 v[12:13], 1, v[42:43]
	flat_store_b64 v[4:5], v[12:13] offset:8
.LBB10_651:                             ;   in Loop: Header=BB10_632 Depth=3
	s_wait_xcnt 0x0
	s_or_b32 exec_lo, exec_lo, s13
	v_and_b32_e32 v1, 0x100, v30
	s_mov_b32 s13, -1
	s_mov_b32 s60, exec_lo
                                        ; implicit-def: $vgpr12_vgpr13
	s_delay_alu instid0(VALU_DEP_1)
	v_cmpx_ne_u32_e32 0, v1
	s_cbranch_execz .LBB10_655
; %bb.652:                              ;   in Loop: Header=BB10_632 Depth=3
	v_mad_nc_u64_u32 v[14:15], v10, 24, v[6:7]
	s_mov_b32 s61, exec_lo
                                        ; implicit-def: $vgpr12_vgpr13
	s_delay_alu instid0(VALU_DEP_1)
	v_mad_u32 v15, v11, 24, v15
	flat_load_b32 v1, v[14:15]
	s_wait_loadcnt_dscnt 0x0
	v_cmp_ne_u32_e32 vcc_lo, 1, v1
	s_wait_xcnt 0x0
	v_cmpx_eq_u32_e32 1, v1
	s_cbranch_execz .LBB10_654
; %bb.653:                              ;   in Loop: Header=BB10_632 Depth=3
	flat_load_b32 v4, v[14:15] offset:4 scope:SCOPE_SYS
	s_wait_loadcnt_dscnt 0x0
	v_ashrrev_i32_e32 v5, 31, v4
	s_delay_alu instid0(VALU_DEP_1)
	v_lshrrev_b64 v[12:13], 1, v[4:5]
.LBB10_654:                             ;   in Loop: Header=BB10_632 Depth=3
	s_wait_xcnt 0x0
	s_or_b32 exec_lo, exec_lo, s61
	s_delay_alu instid0(SALU_CYCLE_1)
	s_or_not1_b32 s13, vcc_lo, exec_lo
.LBB10_655:                             ;   in Loop: Header=BB10_632 Depth=3
	s_or_b32 exec_lo, exec_lo, s60
	s_and_saveexec_b32 s60, s13
; %bb.656:                              ;   in Loop: Header=BB10_632 Depth=3
	v_mul_u64_e32 v[12:13], v[10:11], v[34:35]
; %bb.657:                              ;   in Loop: Header=BB10_632 Depth=3
	s_or_b32 exec_lo, exec_lo, s60
	v_cmp_eq_u32_e32 vcc_lo, 0, v2
	v_and_b32_e32 v2, 0x2000, v30
	s_delay_alu instid0(VALU_DEP_3) | instskip(SKIP_2) | instid1(VALU_DEP_1)
	v_lshl_add_u64 v[4:5], v[12:13], 1, v[36:37]
	s_mov_b32 s13, exec_lo
	v_cndmask_b32_e32 v1, 0xc8, v90, vcc_lo
	v_add_nc_u32_e32 v1, v0, v1
	ds_store_b64 v1, v[4:5] offset:584
	v_cmpx_ne_u32_e32 0, v2
	s_cbranch_execz .LBB10_659
; %bb.658:                              ;   in Loop: Header=BB10_632 Depth=3
	ds_load_b64 v[4:5], v0 offset:872
	s_wait_dscnt 0x0
	v_add_nc_u64_e32 v[4:5], 1, v[4:5]
	ds_store_b64 v0, v[4:5] offset:872
.LBB10_659:                             ;   in Loop: Header=BB10_632 Depth=3
	s_or_b32 exec_lo, exec_lo, s13
	v_mov_b64_e32 v[116:117], v[8:9]
.LBB10_660:                             ;   in Loop: Header=BB10_632 Depth=3
	s_or_b32 exec_lo, exec_lo, s41
	s_and_saveexec_b32 s13, s2
	s_cbranch_execz .LBB10_679
; %bb.661:                              ;   in Loop: Header=BB10_632 Depth=3
	s_and_saveexec_b32 s41, s3
	s_delay_alu instid0(SALU_CYCLE_1)
	s_xor_b32 s41, exec_lo, s41
	s_cbranch_execz .LBB10_676
; %bb.662:                              ;   in Loop: Header=BB10_632 Depth=3
	s_and_saveexec_b32 s60, s6
	s_cbranch_execz .LBB10_675
; %bb.663:                              ;   in Loop: Header=BB10_632 Depth=3
	s_mov_b32 s62, exec_lo
	s_mov_b32 s61, exec_lo
	v_mbcnt_lo_u32_b32 v1, s62, 0
	global_wb scope:SCOPE_DEV
	s_wait_storecnt 0x0
	s_wait_loadcnt_dscnt 0x0
	global_inv scope:SCOPE_DEV
	v_cmpx_eq_u32_e32 0, v1
	s_cbranch_execz .LBB10_665
; %bb.664:                              ;   in Loop: Header=BB10_632 Depth=3
	s_bcnt1_i32_b32 s62, s62
	s_delay_alu instid0(SALU_CYCLE_1)
	v_mov_b32_e32 v2, s62
	s_wait_loadcnt 0x0
	ds_add_u64 v0, v[2:3]
	s_trap 2
.LBB10_665:                             ;   in Loop: Header=BB10_632 Depth=3
	s_or_b32 exec_lo, exec_lo, s61
	s_trap 2
	ds_load_b64 v[4:5], v0
	s_wait_dscnt 0x0
	v_add_nc_u64_e32 v[48:49], v[48:49], v[52:53]
	s_mov_b32 s61, exec_lo
	s_delay_alu instid0(VALU_DEP_1)
	v_cmpx_lt_u64_e64 v[4:5], v[48:49]
	s_cbranch_execz .LBB10_674
; %bb.666:                              ;   in Loop: Header=BB10_632 Depth=3
	s_mov_b32 s62, 0
	s_mov_b32 s73, 0
                                        ; implicit-def: $sgpr63
                                        ; implicit-def: $sgpr72
	s_branch .LBB10_668
.LBB10_667:                             ;   in Loop: Header=BB10_668 Depth=4
	s_or_b32 exec_lo, exec_lo, s75
	s_delay_alu instid0(SALU_CYCLE_1) | instskip(NEXT) | instid1(SALU_CYCLE_1)
	s_and_b32 s74, exec_lo, s76
	s_or_b32 s62, s74, s62
	s_and_not1_b32 s63, s63, exec_lo
	s_and_b32 s74, s72, exec_lo
	s_delay_alu instid0(SALU_CYCLE_1)
	s_or_b32 s63, s63, s74
	s_and_not1_b32 exec_lo, exec_lo, s62
	s_cbranch_execz .LBB10_672
.LBB10_668:                             ;   Parent Loop BB10_47 Depth=1
                                        ;     Parent Loop BB10_629 Depth=2
                                        ;       Parent Loop BB10_632 Depth=3
                                        ; =>      This Inner Loop Header: Depth=4
	s_add_co_i32 s73, s73, 1
	s_delay_alu instid0(SALU_CYCLE_1) | instskip(SKIP_1) | instid1(SALU_CYCLE_1)
	s_cmp_lg_u32 s73, 0x2710
	s_cselect_b32 s74, -1, 0
	s_and_b32 vcc_lo, exec_lo, s74
	s_cbranch_vccz .LBB10_670
; %bb.669:                              ;   in Loop: Header=BB10_668 Depth=4
	s_mov_b32 s76, -1
	s_or_b32 s72, s72, exec_lo
	s_and_saveexec_b32 s75, s74
	s_cbranch_execz .LBB10_667
	s_branch .LBB10_671
.LBB10_670:                             ;   in Loop: Header=BB10_668 Depth=4
	s_trap 2
	ds_load_b64 v[4:5], v0
	s_and_not1_b32 s74, s74, exec_lo
	s_mov_b32 s73, 0
	s_wait_loadcnt_dscnt 0x0
	flat_load_b32 v1, v[4:5] scope:SCOPE_SYS
	s_wait_loadcnt_dscnt 0x0
	global_inv scope:SCOPE_SYS
	v_cmp_eq_u32_e32 vcc_lo, 0, v1
	s_and_b32 s75, vcc_lo, exec_lo
	s_delay_alu instid0(SALU_CYCLE_1)
	s_or_b32 s74, s74, s75
	s_mov_b32 s76, -1
	s_or_b32 s72, s72, exec_lo
	s_wait_xcnt 0x0
	s_and_saveexec_b32 s75, s74
	s_cbranch_execz .LBB10_667
.LBB10_671:                             ;   in Loop: Header=BB10_668 Depth=4
	s_sleep 1
	s_trap 2
	ds_load_b64 v[4:5], v0
	s_wait_dscnt 0x0
	s_and_not1_b32 s72, s72, exec_lo
	v_cmp_ge_u64_e32 vcc_lo, v[4:5], v[48:49]
	s_or_not1_b32 s76, vcc_lo, exec_lo
	s_branch .LBB10_667
.LBB10_672:                             ;   in Loop: Header=BB10_632 Depth=3
	s_or_b32 exec_lo, exec_lo, s62
	s_and_saveexec_b32 s62, s63
	s_delay_alu instid0(SALU_CYCLE_1)
	s_xor_b32 s62, exec_lo, s62
	s_cbranch_execz .LBB10_674
; %bb.673:                              ;   in Loop: Header=BB10_632 Depth=3
	ds_store_b32 v0, v89
	s_trap 2
.LBB10_674:                             ;   in Loop: Header=BB10_632 Depth=3
	s_or_b32 exec_lo, exec_lo, s61
	;;#ASMSTART
	s_wakeup
	;;#ASMEND
.LBB10_675:                             ;   in Loop: Header=BB10_632 Depth=3
	s_or_b32 exec_lo, exec_lo, s60
.LBB10_676:                             ;   in Loop: Header=BB10_632 Depth=3
	s_and_not1_saveexec_b32 s41, s41
	s_cbranch_execz .LBB10_678
; %bb.677:                              ;   in Loop: Header=BB10_632 Depth=3
	global_wb scope:SCOPE_DEV
	s_wait_storecnt 0x0
	s_wait_loadcnt_dscnt 0x0
	global_inv scope:SCOPE_DEV
	s_barrier_signal -1
	s_barrier_wait -1
.LBB10_678:                             ;   in Loop: Header=BB10_632 Depth=3
	s_or_b32 exec_lo, exec_lo, s41
.LBB10_679:                             ;   in Loop: Header=BB10_632 Depth=3
	s_delay_alu instid0(SALU_CYCLE_1) | instskip(SKIP_4) | instid1(VALU_DEP_1)
	s_or_b32 exec_lo, exec_lo, s13
	s_trap 2
	ds_load_b32 v1, v0
	v_and_b32_e32 v2, 0x4000, v30
	s_xor_b32 s13, s1, -1
	v_cmp_ne_u32_e32 vcc_lo, 0, v2
	s_and_b32 s41, s13, vcc_lo
	s_delay_alu instid0(SALU_CYCLE_1)
	s_and_saveexec_b32 s13, s41
	s_cbranch_execz .LBB10_698
; %bb.680:                              ;   in Loop: Header=BB10_632 Depth=3
	s_and_saveexec_b32 s41, s3
	s_delay_alu instid0(SALU_CYCLE_1)
	s_xor_b32 s41, exec_lo, s41
	s_cbranch_execz .LBB10_695
; %bb.681:                              ;   in Loop: Header=BB10_632 Depth=3
	s_and_saveexec_b32 s60, s6
	s_cbranch_execz .LBB10_694
; %bb.682:                              ;   in Loop: Header=BB10_632 Depth=3
	s_mov_b32 s62, exec_lo
	s_mov_b32 s61, exec_lo
	v_mbcnt_lo_u32_b32 v2, s62, 0
	global_wb scope:SCOPE_DEV
	s_wait_storecnt 0x0
	s_wait_loadcnt_dscnt 0x0
	global_inv scope:SCOPE_DEV
	v_cmpx_eq_u32_e32 0, v2
	s_cbranch_execz .LBB10_684
; %bb.683:                              ;   in Loop: Header=BB10_632 Depth=3
	s_bcnt1_i32_b32 s62, s62
	s_delay_alu instid0(SALU_CYCLE_1)
	v_mov_b32_e32 v2, s62
	s_wait_loadcnt 0x0
	ds_add_u64 v0, v[2:3]
	s_trap 2
.LBB10_684:                             ;   in Loop: Header=BB10_632 Depth=3
	s_or_b32 exec_lo, exec_lo, s61
	s_trap 2
	ds_load_b64 v[4:5], v0
	s_wait_dscnt 0x0
	v_add_nc_u64_e32 v[48:49], v[48:49], v[52:53]
	s_mov_b32 s61, exec_lo
	s_delay_alu instid0(VALU_DEP_1)
	v_cmpx_lt_u64_e64 v[4:5], v[48:49]
	s_cbranch_execz .LBB10_693
; %bb.685:                              ;   in Loop: Header=BB10_632 Depth=3
	s_mov_b32 s62, 0
	s_mov_b32 s73, 0
                                        ; implicit-def: $sgpr63
                                        ; implicit-def: $sgpr72
	s_branch .LBB10_687
.LBB10_686:                             ;   in Loop: Header=BB10_687 Depth=4
	s_or_b32 exec_lo, exec_lo, s75
	s_delay_alu instid0(SALU_CYCLE_1) | instskip(NEXT) | instid1(SALU_CYCLE_1)
	s_and_b32 s74, exec_lo, s76
	s_or_b32 s62, s74, s62
	s_and_not1_b32 s63, s63, exec_lo
	s_and_b32 s74, s72, exec_lo
	s_delay_alu instid0(SALU_CYCLE_1)
	s_or_b32 s63, s63, s74
	s_and_not1_b32 exec_lo, exec_lo, s62
	s_cbranch_execz .LBB10_691
.LBB10_687:                             ;   Parent Loop BB10_47 Depth=1
                                        ;     Parent Loop BB10_629 Depth=2
                                        ;       Parent Loop BB10_632 Depth=3
                                        ; =>      This Inner Loop Header: Depth=4
	s_add_co_i32 s73, s73, 1
	s_delay_alu instid0(SALU_CYCLE_1) | instskip(SKIP_1) | instid1(SALU_CYCLE_1)
	s_cmp_lg_u32 s73, 0x2710
	s_cselect_b32 s74, -1, 0
	s_and_b32 vcc_lo, exec_lo, s74
	s_cbranch_vccz .LBB10_689
; %bb.688:                              ;   in Loop: Header=BB10_687 Depth=4
	s_mov_b32 s76, -1
	s_or_b32 s72, s72, exec_lo
	s_and_saveexec_b32 s75, s74
	s_cbranch_execz .LBB10_686
	s_branch .LBB10_690
.LBB10_689:                             ;   in Loop: Header=BB10_687 Depth=4
	s_trap 2
	ds_load_b64 v[4:5], v0
	s_and_not1_b32 s74, s74, exec_lo
	s_mov_b32 s73, 0
	s_wait_loadcnt_dscnt 0x0
	flat_load_b32 v2, v[4:5] scope:SCOPE_SYS
	s_wait_loadcnt_dscnt 0x0
	global_inv scope:SCOPE_SYS
	v_cmp_eq_u32_e32 vcc_lo, 0, v2
	s_and_b32 s75, vcc_lo, exec_lo
	s_delay_alu instid0(SALU_CYCLE_1)
	s_or_b32 s74, s74, s75
	s_mov_b32 s76, -1
	s_or_b32 s72, s72, exec_lo
	s_wait_xcnt 0x0
	s_and_saveexec_b32 s75, s74
	s_cbranch_execz .LBB10_686
.LBB10_690:                             ;   in Loop: Header=BB10_687 Depth=4
	s_sleep 1
	s_trap 2
	ds_load_b64 v[4:5], v0
	s_wait_dscnt 0x0
	s_and_not1_b32 s72, s72, exec_lo
	v_cmp_ge_u64_e32 vcc_lo, v[4:5], v[48:49]
	s_or_not1_b32 s76, vcc_lo, exec_lo
	s_branch .LBB10_686
.LBB10_691:                             ;   in Loop: Header=BB10_632 Depth=3
	s_or_b32 exec_lo, exec_lo, s62
	s_and_saveexec_b32 s62, s63
	s_delay_alu instid0(SALU_CYCLE_1)
	s_xor_b32 s62, exec_lo, s62
	s_cbranch_execz .LBB10_693
; %bb.692:                              ;   in Loop: Header=BB10_632 Depth=3
	ds_store_b32 v0, v89
	s_trap 2
.LBB10_693:                             ;   in Loop: Header=BB10_632 Depth=3
	s_or_b32 exec_lo, exec_lo, s61
	;;#ASMSTART
	s_wakeup
	;;#ASMEND
.LBB10_694:                             ;   in Loop: Header=BB10_632 Depth=3
	s_or_b32 exec_lo, exec_lo, s60
.LBB10_695:                             ;   in Loop: Header=BB10_632 Depth=3
	s_and_not1_saveexec_b32 s41, s41
	s_cbranch_execz .LBB10_697
; %bb.696:                              ;   in Loop: Header=BB10_632 Depth=3
	global_wb scope:SCOPE_DEV
	s_wait_storecnt 0x0
	s_wait_loadcnt_dscnt 0x0
	global_inv scope:SCOPE_DEV
	s_barrier_signal -1
	s_barrier_wait -1
.LBB10_697:                             ;   in Loop: Header=BB10_632 Depth=3
	s_or_b32 exec_lo, exec_lo, s41
.LBB10_698:                             ;   in Loop: Header=BB10_632 Depth=3
	s_delay_alu instid0(SALU_CYCLE_1)
	s_or_b32 exec_lo, exec_lo, s13
	s_trap 2
	ds_load_b64 v[56:57], v0
	s_wait_dscnt 0x0
	v_cmp_eq_u64_e32 vcc_lo, 0, v[56:57]
	s_cbranch_vccnz .LBB10_706
; %bb.699:                              ;   in Loop: Header=BB10_632 Depth=3
	s_trap 2
	ds_load_b64 v[58:59], v0
	s_wait_dscnt 0x0
	v_cmp_eq_u64_e32 vcc_lo, 0, v[58:59]
	s_cbranch_vccnz .LBB10_706
; %bb.700:                              ;   in Loop: Header=BB10_632 Depth=3
	s_mov_b32 s13, -1
	s_and_saveexec_b32 s41, s11
	s_cbranch_execz .LBB10_702
; %bb.701:                              ;   in Loop: Header=BB10_632 Depth=3
	ds_load_b32 v2, v0 offset:720
	s_wait_dscnt 0x0
	v_and_b32_e32 v2, 15, v2
	s_delay_alu instid0(VALU_DEP_1)
	v_cmp_eq_u32_e32 vcc_lo, 0, v2
	s_or_not1_b32 s13, vcc_lo, exec_lo
.LBB10_702:                             ;   in Loop: Header=BB10_632 Depth=3
	s_or_b32 exec_lo, exec_lo, s41
	s_and_saveexec_b32 s41, s10
	s_cbranch_execz .LBB10_704
; %bb.703:                              ;   in Loop: Header=BB10_632 Depth=3
	ds_load_b32 v2, v0 offset:784
	s_wait_dscnt 0x0
	v_and_b32_e32 v2, 15, v2
	s_delay_alu instid0(VALU_DEP_1) | instskip(SKIP_3) | instid1(SALU_CYCLE_1)
	v_cmp_eq_u32_e32 vcc_lo, 0, v2
	s_and_b32 s60, s13, vcc_lo
	s_and_not1_b32 s13, s13, exec_lo
	s_and_b32 s60, s60, exec_lo
	s_or_b32 s13, s13, s60
.LBB10_704:                             ;   in Loop: Header=BB10_632 Depth=3
	s_or_b32 exec_lo, exec_lo, s41
	v_cmp_eq_u32_e32 vcc_lo, 0, v1
	s_xor_b32 s13, s13, -1
	s_mov_b32 s60, -1
	v_cndmask_b32_e64 v4, 0, 1, s13
	v_dual_mov_b32 v14, 0 :: v_dual_cndmask_b32 v2, 0, v42, vcc_lo
	s_delay_alu instid0(VALU_DEP_2) | instskip(NEXT) | instid1(VALU_DEP_2)
	v_cmp_ne_u32_e32 vcc_lo, 0, v4
	v_lshlrev_b32_e32 v43, 1, v2
	s_cbranch_vccz .LBB10_711
; %bb.705:                              ;   in Loop: Header=BB10_632 Depth=3
	v_mov_b32_e32 v15, v0
	s_and_saveexec_b32 s13, s60
	s_cbranch_execnz .LBB10_1042
	s_branch .LBB10_1186
.LBB10_706:                             ;   in Loop: Header=BB10_632 Depth=3
	s_mov_b32 s13, 0
	s_and_saveexec_b32 s41, s2
	s_cbranch_execnz .LBB10_1187
.LBB10_707:                             ;   in Loop: Header=BB10_632 Depth=3
	s_or_b32 exec_lo, exec_lo, s41
                                        ; implicit-def: $vgpr1
	s_and_saveexec_b32 s41, s12
	s_delay_alu instid0(SALU_CYCLE_1)
	s_xor_b32 s41, exec_lo, s41
	s_cbranch_execz .LBB10_1205
.LBB10_708:                             ;   in Loop: Header=BB10_632 Depth=3
	v_and_b32_e32 v1, 16, v30
	s_delay_alu instid0(VALU_DEP_1) | instskip(SKIP_2) | instid1(SALU_CYCLE_1)
	v_cmp_ne_u32_e32 vcc_lo, 0, v1
	v_and_b32_e32 v1, 16, v30
	s_and_b32 s60, vcc_lo, s13
	s_and_saveexec_b32 s13, s60
	s_cbranch_execz .LBB10_710
; %bb.709:                              ;   in Loop: Header=BB10_632 Depth=3
	v_mov_b32_e32 v1, 1
	global_wb scope:SCOPE_SYS
	s_wait_storecnt 0x0
	s_wait_loadcnt_dscnt 0x0
	global_inv scope:SCOPE_SYS
.LBB10_710:                             ;   in Loop: Header=BB10_632 Depth=3
	s_or_b32 exec_lo, exec_lo, s13
	s_and_not1_saveexec_b32 s13, s41
	s_cbranch_execz .LBB10_1224
	s_branch .LBB10_1206
.LBB10_711:                             ;   in Loop: Header=BB10_632 Depth=3
	s_delay_alu instid0(VALU_DEP_1) | instskip(SKIP_1) | instid1(VALU_DEP_1)
	v_ashrrev_i32_e32 v1, 31, v43
	s_mov_b32 s13, exec_lo
	v_lshrrev_b32_e32 v1, 21, v1
	s_delay_alu instid0(VALU_DEP_1) | instskip(NEXT) | instid1(VALU_DEP_1)
	v_add_nc_u32_e32 v1, v43, v1
	v_dual_ashrrev_i32 v75, 11, v1 :: v_dual_lshrrev_b32 v1, 5, v0
	s_delay_alu instid0(VALU_DEP_1) | instskip(NEXT) | instid1(VALU_DEP_1)
	v_sub_nc_u32_e32 v45, v75, v1
	v_cmpx_lt_i32_e32 0, v45
	s_cbranch_execz .LBB10_971
; %bb.712:                              ;   in Loop: Header=BB10_632 Depth=3
	s_trap 2
	ds_load_b64 v[4:5], v0
	ds_load_b32 v1, v0
	scratch_load_b64 v[8:9], off, s33 offset:212 ; 8-byte Folded Reload
	s_mov_b32 s41, 0
	s_wait_dscnt 0x0
	v_lshlrev_b32_e32 v76, 16, v1
	s_wait_loadcnt 0x0
	v_add_nc_u64_e32 v[60:61], v[56:57], v[8:9]
	v_add_nc_u64_e32 v[62:63], v[4:5], v[8:9]
	;; [unrolled: 1-line block ×3, first 2 shown]
	s_branch .LBB10_714
.LBB10_713:                             ;   in Loop: Header=BB10_714 Depth=4
	s_or_b32 exec_lo, exec_lo, s60
	v_dual_lshrrev_b32 v1, 16, v1 :: v_dual_lshrrev_b32 v28, 16, v28
	v_dual_lshrrev_b32 v26, 16, v26 :: v_dual_lshrrev_b32 v27, 16, v27
	v_lshrrev_b32_e32 v64, 16, v64
	s_delay_alu instid0(VALU_DEP_3) | instskip(SKIP_1) | instid1(VALU_DEP_4)
	v_and_or_b32 v13, 0xffff0000, v13, v1
	v_lshrrev_b32_e32 v1, 16, v4
	v_and_or_b32 v14, 0xffff0000, v14, v26
	v_and_or_b32 v15, 0xffff0000, v15, v27
	v_lshrrev_b32_e32 v4, 16, v25
	v_lshrrev_b32_e32 v26, 16, v77
	v_and_or_b32 v16, 0xffff0000, v16, v1
	v_dual_lshrrev_b32 v1, 16, v24 :: v_dual_lshrrev_b32 v24, 16, v119
	v_lshrrev_b32_e32 v27, 16, v65
	v_and_or_b32 v19, 0xffff0000, v19, v4
	v_lshrrev_b32_e32 v4, 16, v31
	s_delay_alu instid0(VALU_DEP_4)
	v_and_or_b32 v18, 0xffff0000, v18, v1
	v_lshrrev_b32_e32 v1, 16, v22
	v_and_or_b32 v25, 0xffff0000, v21, v24
	v_and_or_b32 v24, 0xffff0000, v20, v26
	;; [unrolled: 1-line block ×3, first 2 shown]
	v_dual_lshrrev_b32 v5, 16, v29 :: v_dual_lshrrev_b32 v20, 16, v54
	v_lshrrev_b32_e32 v21, 16, v55
	v_and_or_b32 v12, 0xffff0000, v12, v28
	v_and_or_b32 v27, 0xffff0000, v23, v1
	v_sub_nc_u32_e32 v45, v45, v52
	v_and_or_b32 v17, 0xffff0000, v17, v64
	v_and_or_b32 v9, 0xffff0000, v9, v4
	v_and_or_b32 v8, 0xffff0000, v8, v5
	v_and_or_b32 v10, 0xffff0000, v10, v20
	v_and_or_b32 v11, 0xffff0000, v11, v21
	s_clause 0x3
	global_store_b128 v[72:73], v[24:27], off th:TH_STORE_NT
	global_store_b128 v[72:73], v[16:19], off offset:512 th:TH_STORE_NT
	global_store_b128 v[72:73], v[12:15], off offset:1024 th:TH_STORE_NT
	;; [unrolled: 1-line block ×3, first 2 shown]
	v_add_nc_u64_e32 v[60:61], v[60:61], v[86:87]
	v_add_nc_u64_e32 v[62:63], v[62:63], v[86:87]
	v_cmp_gt_i32_e32 vcc_lo, 1, v45
	s_wait_xcnt 0x0
	v_add_nc_u64_e32 v[72:73], v[72:73], v[86:87]
	s_or_b32 s41, vcc_lo, s41
	s_delay_alu instid0(SALU_CYCLE_1)
	s_and_not1_b32 exec_lo, exec_lo, s41
	s_cbranch_execz .LBB10_970
.LBB10_714:                             ;   Parent Loop BB10_47 Depth=1
                                        ;     Parent Loop BB10_629 Depth=2
                                        ;       Parent Loop BB10_632 Depth=3
                                        ; =>      This Inner Loop Header: Depth=4
	global_load_b128 v[8:11], v[60:61], off th:TH_LOAD_NT
	s_mov_b32 s60, exec_lo
                                        ; implicit-def: $vgpr77
	s_wait_loadcnt 0x0
	v_lshlrev_b32_e32 v1, 16, v8
	s_delay_alu instid0(VALU_DEP_1) | instskip(NEXT) | instid1(VALU_DEP_1)
	v_mul_f32_e32 v1, v76, v1
	v_and_b32_e32 v4, 0x7f800000, v1
	s_wait_xcnt 0x0
	s_delay_alu instid0(VALU_DEP_1)
	v_cmpx_ne_u32_e32 0x7f800000, v4
	s_xor_b32 s60, exec_lo, s60
; %bb.715:                              ;   in Loop: Header=BB10_714 Depth=4
	v_bfe_u32 v4, v1, 16, 1
	s_delay_alu instid0(VALU_DEP_1)
	v_add3_u32 v77, v1, v4, 0x7fff
                                        ; implicit-def: $vgpr1
; %bb.716:                              ;   in Loop: Header=BB10_714 Depth=4
	s_and_not1_saveexec_b32 s60, s60
; %bb.717:                              ;   in Loop: Header=BB10_714 Depth=4
	v_and_b32_e32 v4, 0xffff, v1
	v_or_b32_e32 v5, 0x10000, v1
	s_delay_alu instid0(VALU_DEP_2) | instskip(NEXT) | instid1(VALU_DEP_2)
	v_cmp_eq_u32_e32 vcc_lo, 0, v4
	v_cndmask_b32_e32 v77, v5, v1, vcc_lo
; %bb.718:                              ;   in Loop: Header=BB10_714 Depth=4
	s_or_b32 exec_lo, exec_lo, s60
	v_and_b32_e32 v1, 0xffff0000, v8
	s_mov_b32 s60, exec_lo
                                        ; implicit-def: $vgpr119
	s_delay_alu instid0(VALU_DEP_1) | instskip(NEXT) | instid1(VALU_DEP_1)
	v_mul_f32_e32 v1, v76, v1
	v_and_b32_e32 v4, 0x7f800000, v1
	s_delay_alu instid0(VALU_DEP_1)
	v_cmpx_ne_u32_e32 0x7f800000, v4
	s_xor_b32 s60, exec_lo, s60
; %bb.719:                              ;   in Loop: Header=BB10_714 Depth=4
	v_bfe_u32 v4, v1, 16, 1
	s_delay_alu instid0(VALU_DEP_1)
	v_add3_u32 v119, v1, v4, 0x7fff
                                        ; implicit-def: $vgpr1
; %bb.720:                              ;   in Loop: Header=BB10_714 Depth=4
	s_and_not1_saveexec_b32 s60, s60
; %bb.721:                              ;   in Loop: Header=BB10_714 Depth=4
	v_and_b32_e32 v4, 0xffff, v1
	v_or_b32_e32 v5, 0x10000, v1
	s_delay_alu instid0(VALU_DEP_2) | instskip(NEXT) | instid1(VALU_DEP_2)
	v_cmp_eq_u32_e32 vcc_lo, 0, v4
	v_cndmask_b32_e32 v119, v5, v1, vcc_lo
; %bb.722:                              ;   in Loop: Header=BB10_714 Depth=4
	s_or_b32 exec_lo, exec_lo, s60
	v_lshlrev_b32_e32 v1, 16, v9
	s_mov_b32 s60, exec_lo
                                        ; implicit-def: $vgpr79
	s_delay_alu instid0(VALU_DEP_1) | instskip(NEXT) | instid1(VALU_DEP_1)
	v_mul_f32_e32 v1, v76, v1
	v_and_b32_e32 v4, 0x7f800000, v1
	s_delay_alu instid0(VALU_DEP_1)
	v_cmpx_ne_u32_e32 0x7f800000, v4
	s_xor_b32 s60, exec_lo, s60
; %bb.723:                              ;   in Loop: Header=BB10_714 Depth=4
	v_bfe_u32 v4, v1, 16, 1
	s_delay_alu instid0(VALU_DEP_1)
	v_add3_u32 v79, v1, v4, 0x7fff
                                        ; implicit-def: $vgpr1
; %bb.724:                              ;   in Loop: Header=BB10_714 Depth=4
	s_and_not1_saveexec_b32 s60, s60
; %bb.725:                              ;   in Loop: Header=BB10_714 Depth=4
	v_and_b32_e32 v4, 0xffff, v1
	v_or_b32_e32 v5, 0x10000, v1
	s_delay_alu instid0(VALU_DEP_2) | instskip(NEXT) | instid1(VALU_DEP_2)
	v_cmp_eq_u32_e32 vcc_lo, 0, v4
	v_cndmask_b32_e32 v79, v5, v1, vcc_lo
; %bb.726:                              ;   in Loop: Header=BB10_714 Depth=4
	s_or_b32 exec_lo, exec_lo, s60
	v_and_b32_e32 v1, 0xffff0000, v9
	s_mov_b32 s60, exec_lo
                                        ; implicit-def: $vgpr65
	s_delay_alu instid0(VALU_DEP_1) | instskip(NEXT) | instid1(VALU_DEP_1)
	v_mul_f32_e32 v1, v76, v1
	v_and_b32_e32 v4, 0x7f800000, v1
	s_delay_alu instid0(VALU_DEP_1)
	v_cmpx_ne_u32_e32 0x7f800000, v4
	s_xor_b32 s60, exec_lo, s60
; %bb.727:                              ;   in Loop: Header=BB10_714 Depth=4
	v_bfe_u32 v4, v1, 16, 1
	s_delay_alu instid0(VALU_DEP_1)
	v_add3_u32 v65, v1, v4, 0x7fff
                                        ; implicit-def: $vgpr1
; %bb.728:                              ;   in Loop: Header=BB10_714 Depth=4
	s_and_not1_saveexec_b32 s60, s60
; %bb.729:                              ;   in Loop: Header=BB10_714 Depth=4
	v_and_b32_e32 v4, 0xffff, v1
	v_or_b32_e32 v5, 0x10000, v1
	s_delay_alu instid0(VALU_DEP_2) | instskip(NEXT) | instid1(VALU_DEP_2)
	v_cmp_eq_u32_e32 vcc_lo, 0, v4
	v_cndmask_b32_e32 v65, v5, v1, vcc_lo
; %bb.730:                              ;   in Loop: Header=BB10_714 Depth=4
	s_or_b32 exec_lo, exec_lo, s60
	v_lshlrev_b32_e32 v1, 16, v10
	s_mov_b32 s60, exec_lo
                                        ; implicit-def: $vgpr118
	s_delay_alu instid0(VALU_DEP_1) | instskip(NEXT) | instid1(VALU_DEP_1)
	v_mul_f32_e32 v1, v76, v1
	v_and_b32_e32 v4, 0x7f800000, v1
	s_delay_alu instid0(VALU_DEP_1)
	v_cmpx_ne_u32_e32 0x7f800000, v4
	s_xor_b32 s60, exec_lo, s60
; %bb.731:                              ;   in Loop: Header=BB10_714 Depth=4
	v_bfe_u32 v4, v1, 16, 1
	s_delay_alu instid0(VALU_DEP_1)
	v_add3_u32 v118, v1, v4, 0x7fff
                                        ; implicit-def: $vgpr1
; %bb.732:                              ;   in Loop: Header=BB10_714 Depth=4
	s_and_not1_saveexec_b32 s60, s60
; %bb.733:                              ;   in Loop: Header=BB10_714 Depth=4
	v_and_b32_e32 v4, 0xffff, v1
	v_or_b32_e32 v5, 0x10000, v1
	s_delay_alu instid0(VALU_DEP_2) | instskip(NEXT) | instid1(VALU_DEP_2)
	v_cmp_eq_u32_e32 vcc_lo, 0, v4
	v_cndmask_b32_e32 v118, v5, v1, vcc_lo
; %bb.734:                              ;   in Loop: Header=BB10_714 Depth=4
	s_or_b32 exec_lo, exec_lo, s60
	v_and_b32_e32 v1, 0xffff0000, v10
	s_mov_b32 s60, exec_lo
                                        ; implicit-def: $vgpr5
	s_delay_alu instid0(VALU_DEP_1) | instskip(NEXT) | instid1(VALU_DEP_1)
	v_mul_f32_e32 v1, v76, v1
	v_and_b32_e32 v4, 0x7f800000, v1
	s_delay_alu instid0(VALU_DEP_1)
	v_cmpx_ne_u32_e32 0x7f800000, v4
	s_xor_b32 s60, exec_lo, s60
; %bb.735:                              ;   in Loop: Header=BB10_714 Depth=4
	v_bfe_u32 v4, v1, 16, 1
	s_delay_alu instid0(VALU_DEP_1)
	v_add3_u32 v5, v1, v4, 0x7fff
                                        ; implicit-def: $vgpr1
; %bb.736:                              ;   in Loop: Header=BB10_714 Depth=4
	s_and_not1_saveexec_b32 s60, s60
; %bb.737:                              ;   in Loop: Header=BB10_714 Depth=4
	v_and_b32_e32 v4, 0xffff, v1
	v_or_b32_e32 v5, 0x10000, v1
	s_delay_alu instid0(VALU_DEP_2) | instskip(NEXT) | instid1(VALU_DEP_2)
	v_cmp_eq_u32_e32 vcc_lo, 0, v4
	v_cndmask_b32_e32 v5, v5, v1, vcc_lo
; %bb.738:                              ;   in Loop: Header=BB10_714 Depth=4
	s_or_b32 exec_lo, exec_lo, s60
	v_lshlrev_b32_e32 v1, 16, v11
	s_mov_b32 s60, exec_lo
                                        ; implicit-def: $vgpr64
	s_delay_alu instid0(VALU_DEP_1) | instskip(NEXT) | instid1(VALU_DEP_1)
	v_mul_f32_e32 v1, v76, v1
	v_and_b32_e32 v4, 0x7f800000, v1
	s_delay_alu instid0(VALU_DEP_1)
	v_cmpx_ne_u32_e32 0x7f800000, v4
	s_xor_b32 s60, exec_lo, s60
; %bb.739:                              ;   in Loop: Header=BB10_714 Depth=4
	v_bfe_u32 v4, v1, 16, 1
	s_delay_alu instid0(VALU_DEP_1)
	v_add3_u32 v64, v1, v4, 0x7fff
                                        ; implicit-def: $vgpr1
; %bb.740:                              ;   in Loop: Header=BB10_714 Depth=4
	s_and_not1_saveexec_b32 s60, s60
; %bb.741:                              ;   in Loop: Header=BB10_714 Depth=4
	v_and_b32_e32 v4, 0xffff, v1
	v_or_b32_e32 v8, 0x10000, v1
	s_delay_alu instid0(VALU_DEP_2) | instskip(NEXT) | instid1(VALU_DEP_2)
	v_cmp_eq_u32_e32 vcc_lo, 0, v4
	v_cndmask_b32_e32 v64, v8, v1, vcc_lo
; %bb.742:                              ;   in Loop: Header=BB10_714 Depth=4
	s_or_b32 exec_lo, exec_lo, s60
	v_and_b32_e32 v1, 0xffff0000, v11
	s_mov_b32 s60, exec_lo
                                        ; implicit-def: $vgpr78
	s_delay_alu instid0(VALU_DEP_1) | instskip(NEXT) | instid1(VALU_DEP_1)
	v_mul_f32_e32 v1, v76, v1
	v_and_b32_e32 v4, 0x7f800000, v1
	s_delay_alu instid0(VALU_DEP_1)
	v_cmpx_ne_u32_e32 0x7f800000, v4
	s_xor_b32 s60, exec_lo, s60
; %bb.743:                              ;   in Loop: Header=BB10_714 Depth=4
	v_bfe_u32 v4, v1, 16, 1
	s_delay_alu instid0(VALU_DEP_1)
	v_add3_u32 v78, v1, v4, 0x7fff
                                        ; implicit-def: $vgpr1
; %bb.744:                              ;   in Loop: Header=BB10_714 Depth=4
	s_and_not1_saveexec_b32 s60, s60
; %bb.745:                              ;   in Loop: Header=BB10_714 Depth=4
	v_and_b32_e32 v4, 0xffff, v1
	v_or_b32_e32 v8, 0x10000, v1
	s_delay_alu instid0(VALU_DEP_2) | instskip(NEXT) | instid1(VALU_DEP_2)
	v_cmp_eq_u32_e32 vcc_lo, 0, v4
	v_cndmask_b32_e32 v78, v8, v1, vcc_lo
; %bb.746:                              ;   in Loop: Header=BB10_714 Depth=4
	s_or_b32 exec_lo, exec_lo, s60
	global_load_b128 v[8:11], v[60:61], off offset:512 th:TH_LOAD_NT
	s_wait_loadcnt 0x0
	v_lshlrev_b32_e32 v1, 16, v8
	s_delay_alu instid0(VALU_DEP_1) | instskip(NEXT) | instid1(VALU_DEP_1)
	v_mul_f32_e32 v1, v76, v1
	v_and_b32_e32 v4, 0x7f800000, v1
	s_delay_alu instid0(VALU_DEP_1) | instskip(SKIP_2) | instid1(SALU_CYCLE_1)
	v_cmp_ne_u32_e32 vcc_lo, 0x7f800000, v4
                                        ; implicit-def: $vgpr4
	s_wait_xcnt 0x0
	s_and_saveexec_b32 s60, vcc_lo
	s_xor_b32 s60, exec_lo, s60
; %bb.747:                              ;   in Loop: Header=BB10_714 Depth=4
	v_bfe_u32 v4, v1, 16, 1
	s_delay_alu instid0(VALU_DEP_1)
	v_add3_u32 v4, v1, v4, 0x7fff
                                        ; implicit-def: $vgpr1
; %bb.748:                              ;   in Loop: Header=BB10_714 Depth=4
	s_and_not1_saveexec_b32 s60, s60
; %bb.749:                              ;   in Loop: Header=BB10_714 Depth=4
	v_and_b32_e32 v4, 0xffff, v1
	v_or_b32_e32 v12, 0x10000, v1
	s_delay_alu instid0(VALU_DEP_2) | instskip(NEXT) | instid1(VALU_DEP_2)
	v_cmp_eq_u32_e32 vcc_lo, 0, v4
	v_cndmask_b32_e32 v4, v12, v1, vcc_lo
; %bb.750:                              ;   in Loop: Header=BB10_714 Depth=4
	s_or_b32 exec_lo, exec_lo, s60
	v_and_b32_e32 v1, 0xffff0000, v8
	s_mov_b32 s60, exec_lo
                                        ; implicit-def: $vgpr66
	s_delay_alu instid0(VALU_DEP_1) | instskip(NEXT) | instid1(VALU_DEP_1)
	v_mul_f32_e32 v1, v76, v1
	v_and_b32_e32 v8, 0x7f800000, v1
	s_delay_alu instid0(VALU_DEP_1)
	v_cmpx_ne_u32_e32 0x7f800000, v8
	s_xor_b32 s60, exec_lo, s60
; %bb.751:                              ;   in Loop: Header=BB10_714 Depth=4
	v_bfe_u32 v8, v1, 16, 1
	s_delay_alu instid0(VALU_DEP_1)
	v_add3_u32 v66, v1, v8, 0x7fff
                                        ; implicit-def: $vgpr1
; %bb.752:                              ;   in Loop: Header=BB10_714 Depth=4
	s_and_not1_saveexec_b32 s60, s60
; %bb.753:                              ;   in Loop: Header=BB10_714 Depth=4
	v_and_b32_e32 v8, 0xffff, v1
	v_or_b32_e32 v12, 0x10000, v1
	s_delay_alu instid0(VALU_DEP_2) | instskip(NEXT) | instid1(VALU_DEP_2)
	v_cmp_eq_u32_e32 vcc_lo, 0, v8
	v_cndmask_b32_e32 v66, v12, v1, vcc_lo
; %bb.754:                              ;   in Loop: Header=BB10_714 Depth=4
	s_or_b32 exec_lo, exec_lo, s60
	v_lshlrev_b32_e32 v1, 16, v9
	s_mov_b32 s60, exec_lo
                                        ; implicit-def: $vgpr67
	s_delay_alu instid0(VALU_DEP_1) | instskip(NEXT) | instid1(VALU_DEP_1)
	v_mul_f32_e32 v1, v76, v1
	v_and_b32_e32 v8, 0x7f800000, v1
	s_delay_alu instid0(VALU_DEP_1)
	v_cmpx_ne_u32_e32 0x7f800000, v8
	s_xor_b32 s60, exec_lo, s60
; %bb.755:                              ;   in Loop: Header=BB10_714 Depth=4
	v_bfe_u32 v8, v1, 16, 1
	s_delay_alu instid0(VALU_DEP_1)
	v_add3_u32 v67, v1, v8, 0x7fff
                                        ; implicit-def: $vgpr1
; %bb.756:                              ;   in Loop: Header=BB10_714 Depth=4
	s_and_not1_saveexec_b32 s60, s60
; %bb.757:                              ;   in Loop: Header=BB10_714 Depth=4
	v_and_b32_e32 v8, 0xffff, v1
	v_or_b32_e32 v12, 0x10000, v1
	s_delay_alu instid0(VALU_DEP_2) | instskip(NEXT) | instid1(VALU_DEP_2)
	v_cmp_eq_u32_e32 vcc_lo, 0, v8
	v_cndmask_b32_e32 v67, v12, v1, vcc_lo
; %bb.758:                              ;   in Loop: Header=BB10_714 Depth=4
	s_or_b32 exec_lo, exec_lo, s60
	v_and_b32_e32 v1, 0xffff0000, v9
	s_mov_b32 s60, exec_lo
                                        ; implicit-def: $vgpr24
	s_delay_alu instid0(VALU_DEP_1) | instskip(NEXT) | instid1(VALU_DEP_1)
	v_mul_f32_e32 v1, v76, v1
	v_and_b32_e32 v8, 0x7f800000, v1
	s_delay_alu instid0(VALU_DEP_1)
	v_cmpx_ne_u32_e32 0x7f800000, v8
	s_xor_b32 s60, exec_lo, s60
; %bb.759:                              ;   in Loop: Header=BB10_714 Depth=4
	v_bfe_u32 v8, v1, 16, 1
	s_delay_alu instid0(VALU_DEP_1)
	v_add3_u32 v24, v1, v8, 0x7fff
                                        ; implicit-def: $vgpr1
; %bb.760:                              ;   in Loop: Header=BB10_714 Depth=4
	s_and_not1_saveexec_b32 s60, s60
; %bb.761:                              ;   in Loop: Header=BB10_714 Depth=4
	v_and_b32_e32 v8, 0xffff, v1
	v_or_b32_e32 v9, 0x10000, v1
	s_delay_alu instid0(VALU_DEP_2) | instskip(NEXT) | instid1(VALU_DEP_2)
	v_cmp_eq_u32_e32 vcc_lo, 0, v8
	v_cndmask_b32_e32 v24, v9, v1, vcc_lo
; %bb.762:                              ;   in Loop: Header=BB10_714 Depth=4
	s_or_b32 exec_lo, exec_lo, s60
	v_lshlrev_b32_e32 v1, 16, v10
	s_mov_b32 s60, exec_lo
                                        ; implicit-def: $vgpr25
	s_delay_alu instid0(VALU_DEP_1) | instskip(NEXT) | instid1(VALU_DEP_1)
	v_mul_f32_e32 v1, v76, v1
	v_and_b32_e32 v8, 0x7f800000, v1
	s_delay_alu instid0(VALU_DEP_1)
	v_cmpx_ne_u32_e32 0x7f800000, v8
	s_xor_b32 s60, exec_lo, s60
; %bb.763:                              ;   in Loop: Header=BB10_714 Depth=4
	v_bfe_u32 v8, v1, 16, 1
	s_delay_alu instid0(VALU_DEP_1)
	v_add3_u32 v25, v1, v8, 0x7fff
                                        ; implicit-def: $vgpr1
; %bb.764:                              ;   in Loop: Header=BB10_714 Depth=4
	s_and_not1_saveexec_b32 s60, s60
; %bb.765:                              ;   in Loop: Header=BB10_714 Depth=4
	v_and_b32_e32 v8, 0xffff, v1
	v_or_b32_e32 v9, 0x10000, v1
	s_delay_alu instid0(VALU_DEP_2) | instskip(NEXT) | instid1(VALU_DEP_2)
	v_cmp_eq_u32_e32 vcc_lo, 0, v8
	v_cndmask_b32_e32 v25, v9, v1, vcc_lo
; %bb.766:                              ;   in Loop: Header=BB10_714 Depth=4
	s_or_b32 exec_lo, exec_lo, s60
	v_and_b32_e32 v1, 0xffff0000, v10
	s_mov_b32 s60, exec_lo
                                        ; implicit-def: $vgpr28
	s_delay_alu instid0(VALU_DEP_1) | instskip(NEXT) | instid1(VALU_DEP_1)
	v_mul_f32_e32 v1, v76, v1
	v_and_b32_e32 v8, 0x7f800000, v1
	s_delay_alu instid0(VALU_DEP_1)
	v_cmpx_ne_u32_e32 0x7f800000, v8
	s_xor_b32 s60, exec_lo, s60
; %bb.767:                              ;   in Loop: Header=BB10_714 Depth=4
	v_bfe_u32 v8, v1, 16, 1
	s_delay_alu instid0(VALU_DEP_1)
	v_add3_u32 v28, v1, v8, 0x7fff
                                        ; implicit-def: $vgpr1
; %bb.768:                              ;   in Loop: Header=BB10_714 Depth=4
	s_and_not1_saveexec_b32 s60, s60
; %bb.769:                              ;   in Loop: Header=BB10_714 Depth=4
	v_and_b32_e32 v8, 0xffff, v1
	v_or_b32_e32 v9, 0x10000, v1
	s_delay_alu instid0(VALU_DEP_2) | instskip(NEXT) | instid1(VALU_DEP_2)
	v_cmp_eq_u32_e32 vcc_lo, 0, v8
	v_cndmask_b32_e32 v28, v9, v1, vcc_lo
; %bb.770:                              ;   in Loop: Header=BB10_714 Depth=4
	s_or_b32 exec_lo, exec_lo, s60
	v_lshlrev_b32_e32 v1, 16, v11
	s_mov_b32 s60, exec_lo
                                        ; implicit-def: $vgpr29
	s_delay_alu instid0(VALU_DEP_1) | instskip(NEXT) | instid1(VALU_DEP_1)
	v_mul_f32_e32 v1, v76, v1
	v_and_b32_e32 v8, 0x7f800000, v1
	s_delay_alu instid0(VALU_DEP_1)
	v_cmpx_ne_u32_e32 0x7f800000, v8
	s_xor_b32 s60, exec_lo, s60
; %bb.771:                              ;   in Loop: Header=BB10_714 Depth=4
	v_bfe_u32 v8, v1, 16, 1
	s_delay_alu instid0(VALU_DEP_1)
	v_add3_u32 v29, v1, v8, 0x7fff
                                        ; implicit-def: $vgpr1
; %bb.772:                              ;   in Loop: Header=BB10_714 Depth=4
	s_and_not1_saveexec_b32 s60, s60
; %bb.773:                              ;   in Loop: Header=BB10_714 Depth=4
	v_and_b32_e32 v8, 0xffff, v1
	v_or_b32_e32 v9, 0x10000, v1
	s_delay_alu instid0(VALU_DEP_2) | instskip(NEXT) | instid1(VALU_DEP_2)
	v_cmp_eq_u32_e32 vcc_lo, 0, v8
	v_cndmask_b32_e32 v29, v9, v1, vcc_lo
; %bb.774:                              ;   in Loop: Header=BB10_714 Depth=4
	s_or_b32 exec_lo, exec_lo, s60
	v_and_b32_e32 v1, 0xffff0000, v11
	s_mov_b32 s60, exec_lo
                                        ; implicit-def: $vgpr121
	s_delay_alu instid0(VALU_DEP_1) | instskip(NEXT) | instid1(VALU_DEP_1)
	v_mul_f32_e32 v1, v76, v1
	v_and_b32_e32 v8, 0x7f800000, v1
	s_delay_alu instid0(VALU_DEP_1)
	v_cmpx_ne_u32_e32 0x7f800000, v8
	s_xor_b32 s60, exec_lo, s60
; %bb.775:                              ;   in Loop: Header=BB10_714 Depth=4
	v_bfe_u32 v8, v1, 16, 1
	s_delay_alu instid0(VALU_DEP_1)
	v_add3_u32 v121, v1, v8, 0x7fff
                                        ; implicit-def: $vgpr1
; %bb.776:                              ;   in Loop: Header=BB10_714 Depth=4
	s_and_not1_saveexec_b32 s60, s60
; %bb.777:                              ;   in Loop: Header=BB10_714 Depth=4
	v_and_b32_e32 v8, 0xffff, v1
	v_or_b32_e32 v9, 0x10000, v1
	s_delay_alu instid0(VALU_DEP_2) | instskip(NEXT) | instid1(VALU_DEP_2)
	v_cmp_eq_u32_e32 vcc_lo, 0, v8
	v_cndmask_b32_e32 v121, v9, v1, vcc_lo
; %bb.778:                              ;   in Loop: Header=BB10_714 Depth=4
	s_or_b32 exec_lo, exec_lo, s60
	global_load_b128 v[8:11], v[60:61], off offset:1024 th:TH_LOAD_NT
	s_mov_b32 s60, exec_lo
                                        ; implicit-def: $vgpr122
	s_wait_loadcnt 0x0
	v_lshlrev_b32_e32 v1, 16, v8
	s_delay_alu instid0(VALU_DEP_1) | instskip(NEXT) | instid1(VALU_DEP_1)
	v_mul_f32_e32 v1, v76, v1
	v_and_b32_e32 v12, 0x7f800000, v1
	s_wait_xcnt 0x0
	s_delay_alu instid0(VALU_DEP_1)
	v_cmpx_ne_u32_e32 0x7f800000, v12
	s_xor_b32 s60, exec_lo, s60
; %bb.779:                              ;   in Loop: Header=BB10_714 Depth=4
	v_bfe_u32 v12, v1, 16, 1
	s_delay_alu instid0(VALU_DEP_1)
	v_add3_u32 v122, v1, v12, 0x7fff
                                        ; implicit-def: $vgpr1
; %bb.780:                              ;   in Loop: Header=BB10_714 Depth=4
	s_and_not1_saveexec_b32 s60, s60
; %bb.781:                              ;   in Loop: Header=BB10_714 Depth=4
	v_and_b32_e32 v12, 0xffff, v1
	v_or_b32_e32 v13, 0x10000, v1
	s_delay_alu instid0(VALU_DEP_2) | instskip(NEXT) | instid1(VALU_DEP_2)
	v_cmp_eq_u32_e32 vcc_lo, 0, v12
	v_cndmask_b32_e32 v122, v13, v1, vcc_lo
; %bb.782:                              ;   in Loop: Header=BB10_714 Depth=4
	s_or_b32 exec_lo, exec_lo, s60
	v_and_b32_e32 v1, 0xffff0000, v8
	s_mov_b32 s60, exec_lo
                                        ; implicit-def: $vgpr111
	s_delay_alu instid0(VALU_DEP_1) | instskip(NEXT) | instid1(VALU_DEP_1)
	v_mul_f32_e32 v1, v76, v1
	v_and_b32_e32 v8, 0x7f800000, v1
	s_delay_alu instid0(VALU_DEP_1)
	v_cmpx_ne_u32_e32 0x7f800000, v8
	s_xor_b32 s60, exec_lo, s60
; %bb.783:                              ;   in Loop: Header=BB10_714 Depth=4
	v_bfe_u32 v8, v1, 16, 1
	s_delay_alu instid0(VALU_DEP_1)
	v_add3_u32 v111, v1, v8, 0x7fff
                                        ; implicit-def: $vgpr1
; %bb.784:                              ;   in Loop: Header=BB10_714 Depth=4
	s_and_not1_saveexec_b32 s60, s60
; %bb.785:                              ;   in Loop: Header=BB10_714 Depth=4
	v_and_b32_e32 v8, 0xffff, v1
	v_or_b32_e32 v12, 0x10000, v1
	s_delay_alu instid0(VALU_DEP_2) | instskip(NEXT) | instid1(VALU_DEP_2)
	v_cmp_eq_u32_e32 vcc_lo, 0, v8
	v_cndmask_b32_e32 v111, v12, v1, vcc_lo
; %bb.786:                              ;   in Loop: Header=BB10_714 Depth=4
	s_or_b32 exec_lo, exec_lo, s60
	v_lshlrev_b32_e32 v1, 16, v9
	s_mov_b32 s60, exec_lo
                                        ; implicit-def: $vgpr120
	s_delay_alu instid0(VALU_DEP_1) | instskip(NEXT) | instid1(VALU_DEP_1)
	v_mul_f32_e32 v1, v76, v1
	v_and_b32_e32 v8, 0x7f800000, v1
	s_delay_alu instid0(VALU_DEP_1)
	v_cmpx_ne_u32_e32 0x7f800000, v8
	s_xor_b32 s60, exec_lo, s60
; %bb.787:                              ;   in Loop: Header=BB10_714 Depth=4
	v_bfe_u32 v8, v1, 16, 1
	s_delay_alu instid0(VALU_DEP_1)
	v_add3_u32 v120, v1, v8, 0x7fff
                                        ; implicit-def: $vgpr1
; %bb.788:                              ;   in Loop: Header=BB10_714 Depth=4
	s_and_not1_saveexec_b32 s60, s60
; %bb.789:                              ;   in Loop: Header=BB10_714 Depth=4
	v_and_b32_e32 v8, 0xffff, v1
	v_or_b32_e32 v12, 0x10000, v1
	s_delay_alu instid0(VALU_DEP_2) | instskip(NEXT) | instid1(VALU_DEP_2)
	v_cmp_eq_u32_e32 vcc_lo, 0, v8
	v_cndmask_b32_e32 v120, v12, v1, vcc_lo
; %bb.790:                              ;   in Loop: Header=BB10_714 Depth=4
	s_or_b32 exec_lo, exec_lo, s60
	v_and_b32_e32 v1, 0xffff0000, v9
	s_mov_b32 s60, exec_lo
                                        ; implicit-def: $vgpr26
	s_delay_alu instid0(VALU_DEP_1) | instskip(NEXT) | instid1(VALU_DEP_1)
	v_mul_f32_e32 v1, v76, v1
	v_and_b32_e32 v8, 0x7f800000, v1
	s_delay_alu instid0(VALU_DEP_1)
	v_cmpx_ne_u32_e32 0x7f800000, v8
	s_xor_b32 s60, exec_lo, s60
; %bb.791:                              ;   in Loop: Header=BB10_714 Depth=4
	v_bfe_u32 v8, v1, 16, 1
	s_delay_alu instid0(VALU_DEP_1)
	v_add3_u32 v26, v1, v8, 0x7fff
                                        ; implicit-def: $vgpr1
; %bb.792:                              ;   in Loop: Header=BB10_714 Depth=4
	s_and_not1_saveexec_b32 s60, s60
; %bb.793:                              ;   in Loop: Header=BB10_714 Depth=4
	v_and_b32_e32 v8, 0xffff, v1
	v_or_b32_e32 v9, 0x10000, v1
	s_delay_alu instid0(VALU_DEP_2) | instskip(NEXT) | instid1(VALU_DEP_2)
	v_cmp_eq_u32_e32 vcc_lo, 0, v8
	v_cndmask_b32_e32 v26, v9, v1, vcc_lo
; %bb.794:                              ;   in Loop: Header=BB10_714 Depth=4
	s_or_b32 exec_lo, exec_lo, s60
	v_lshlrev_b32_e32 v1, 16, v10
	s_mov_b32 s60, exec_lo
                                        ; implicit-def: $vgpr27
	s_delay_alu instid0(VALU_DEP_1) | instskip(NEXT) | instid1(VALU_DEP_1)
	v_mul_f32_e32 v1, v76, v1
	v_and_b32_e32 v8, 0x7f800000, v1
	s_delay_alu instid0(VALU_DEP_1)
	v_cmpx_ne_u32_e32 0x7f800000, v8
	s_xor_b32 s60, exec_lo, s60
; %bb.795:                              ;   in Loop: Header=BB10_714 Depth=4
	v_bfe_u32 v8, v1, 16, 1
	s_delay_alu instid0(VALU_DEP_1)
	v_add3_u32 v27, v1, v8, 0x7fff
                                        ; implicit-def: $vgpr1
; %bb.796:                              ;   in Loop: Header=BB10_714 Depth=4
	s_and_not1_saveexec_b32 s60, s60
; %bb.797:                              ;   in Loop: Header=BB10_714 Depth=4
	v_and_b32_e32 v8, 0xffff, v1
	v_or_b32_e32 v9, 0x10000, v1
	s_delay_alu instid0(VALU_DEP_2) | instskip(NEXT) | instid1(VALU_DEP_2)
	v_cmp_eq_u32_e32 vcc_lo, 0, v8
	v_cndmask_b32_e32 v27, v9, v1, vcc_lo
; %bb.798:                              ;   in Loop: Header=BB10_714 Depth=4
	s_or_b32 exec_lo, exec_lo, s60
	v_and_b32_e32 v1, 0xffff0000, v10
	s_mov_b32 s60, exec_lo
                                        ; implicit-def: $vgpr109
	s_delay_alu instid0(VALU_DEP_1) | instskip(NEXT) | instid1(VALU_DEP_1)
	v_mul_f32_e32 v1, v76, v1
	v_and_b32_e32 v8, 0x7f800000, v1
	s_delay_alu instid0(VALU_DEP_1)
	v_cmpx_ne_u32_e32 0x7f800000, v8
	s_xor_b32 s60, exec_lo, s60
; %bb.799:                              ;   in Loop: Header=BB10_714 Depth=4
	v_bfe_u32 v8, v1, 16, 1
	s_delay_alu instid0(VALU_DEP_1)
	v_add3_u32 v109, v1, v8, 0x7fff
                                        ; implicit-def: $vgpr1
; %bb.800:                              ;   in Loop: Header=BB10_714 Depth=4
	s_and_not1_saveexec_b32 s60, s60
; %bb.801:                              ;   in Loop: Header=BB10_714 Depth=4
	v_and_b32_e32 v8, 0xffff, v1
	v_or_b32_e32 v9, 0x10000, v1
	s_delay_alu instid0(VALU_DEP_2) | instskip(NEXT) | instid1(VALU_DEP_2)
	v_cmp_eq_u32_e32 vcc_lo, 0, v8
	v_cndmask_b32_e32 v109, v9, v1, vcc_lo
; %bb.802:                              ;   in Loop: Header=BB10_714 Depth=4
	s_or_b32 exec_lo, exec_lo, s60
	v_lshlrev_b32_e32 v1, 16, v11
	s_mov_b32 s60, exec_lo
                                        ; implicit-def: $vgpr110
	s_delay_alu instid0(VALU_DEP_1) | instskip(NEXT) | instid1(VALU_DEP_1)
	v_mul_f32_e32 v1, v76, v1
	v_and_b32_e32 v8, 0x7f800000, v1
	s_delay_alu instid0(VALU_DEP_1)
	v_cmpx_ne_u32_e32 0x7f800000, v8
	s_xor_b32 s60, exec_lo, s60
; %bb.803:                              ;   in Loop: Header=BB10_714 Depth=4
	v_bfe_u32 v8, v1, 16, 1
	s_delay_alu instid0(VALU_DEP_1)
	v_add3_u32 v110, v1, v8, 0x7fff
                                        ; implicit-def: $vgpr1
; %bb.804:                              ;   in Loop: Header=BB10_714 Depth=4
	s_and_not1_saveexec_b32 s60, s60
; %bb.805:                              ;   in Loop: Header=BB10_714 Depth=4
	v_and_b32_e32 v8, 0xffff, v1
	v_or_b32_e32 v9, 0x10000, v1
	s_delay_alu instid0(VALU_DEP_2) | instskip(NEXT) | instid1(VALU_DEP_2)
	v_cmp_eq_u32_e32 vcc_lo, 0, v8
	v_cndmask_b32_e32 v110, v9, v1, vcc_lo
; %bb.806:                              ;   in Loop: Header=BB10_714 Depth=4
	s_or_b32 exec_lo, exec_lo, s60
	v_and_b32_e32 v1, 0xffff0000, v11
	s_mov_b32 s60, exec_lo
                                        ; implicit-def: $vgpr107
	s_delay_alu instid0(VALU_DEP_1) | instskip(NEXT) | instid1(VALU_DEP_1)
	v_mul_f32_e32 v1, v76, v1
	v_and_b32_e32 v8, 0x7f800000, v1
	s_delay_alu instid0(VALU_DEP_1)
	v_cmpx_ne_u32_e32 0x7f800000, v8
	s_xor_b32 s60, exec_lo, s60
; %bb.807:                              ;   in Loop: Header=BB10_714 Depth=4
	v_bfe_u32 v8, v1, 16, 1
	s_delay_alu instid0(VALU_DEP_1)
	v_add3_u32 v107, v1, v8, 0x7fff
                                        ; implicit-def: $vgpr1
; %bb.808:                              ;   in Loop: Header=BB10_714 Depth=4
	s_and_not1_saveexec_b32 s60, s60
; %bb.809:                              ;   in Loop: Header=BB10_714 Depth=4
	v_and_b32_e32 v8, 0xffff, v1
	v_or_b32_e32 v9, 0x10000, v1
	s_delay_alu instid0(VALU_DEP_2) | instskip(NEXT) | instid1(VALU_DEP_2)
	v_cmp_eq_u32_e32 vcc_lo, 0, v8
	v_cndmask_b32_e32 v107, v9, v1, vcc_lo
; %bb.810:                              ;   in Loop: Header=BB10_714 Depth=4
	s_or_b32 exec_lo, exec_lo, s60
	global_load_b128 v[8:11], v[60:61], off offset:1536 th:TH_LOAD_NT
	s_mov_b32 s60, exec_lo
                                        ; implicit-def: $vgpr108
	s_wait_loadcnt 0x0
	v_lshlrev_b32_e32 v1, 16, v8
	s_delay_alu instid0(VALU_DEP_1) | instskip(NEXT) | instid1(VALU_DEP_1)
	v_mul_f32_e32 v1, v76, v1
	v_and_b32_e32 v12, 0x7f800000, v1
	s_wait_xcnt 0x0
	s_delay_alu instid0(VALU_DEP_1)
	v_cmpx_ne_u32_e32 0x7f800000, v12
	s_xor_b32 s60, exec_lo, s60
; %bb.811:                              ;   in Loop: Header=BB10_714 Depth=4
	v_bfe_u32 v12, v1, 16, 1
	s_delay_alu instid0(VALU_DEP_1)
	v_add3_u32 v108, v1, v12, 0x7fff
                                        ; implicit-def: $vgpr1
; %bb.812:                              ;   in Loop: Header=BB10_714 Depth=4
	s_and_not1_saveexec_b32 s60, s60
; %bb.813:                              ;   in Loop: Header=BB10_714 Depth=4
	v_and_b32_e32 v12, 0xffff, v1
	v_or_b32_e32 v13, 0x10000, v1
	s_delay_alu instid0(VALU_DEP_2) | instskip(NEXT) | instid1(VALU_DEP_2)
	v_cmp_eq_u32_e32 vcc_lo, 0, v12
	v_cndmask_b32_e32 v108, v13, v1, vcc_lo
; %bb.814:                              ;   in Loop: Header=BB10_714 Depth=4
	s_or_b32 exec_lo, exec_lo, s60
	v_and_b32_e32 v1, 0xffff0000, v8
	s_mov_b32 s60, exec_lo
                                        ; implicit-def: $vgpr105
	s_delay_alu instid0(VALU_DEP_1) | instskip(NEXT) | instid1(VALU_DEP_1)
	v_mul_f32_e32 v1, v76, v1
	v_and_b32_e32 v8, 0x7f800000, v1
	s_delay_alu instid0(VALU_DEP_1)
	v_cmpx_ne_u32_e32 0x7f800000, v8
	s_xor_b32 s60, exec_lo, s60
; %bb.815:                              ;   in Loop: Header=BB10_714 Depth=4
	v_bfe_u32 v8, v1, 16, 1
	s_delay_alu instid0(VALU_DEP_1)
	v_add3_u32 v105, v1, v8, 0x7fff
                                        ; implicit-def: $vgpr1
; %bb.816:                              ;   in Loop: Header=BB10_714 Depth=4
	s_and_not1_saveexec_b32 s60, s60
; %bb.817:                              ;   in Loop: Header=BB10_714 Depth=4
	v_and_b32_e32 v8, 0xffff, v1
	v_or_b32_e32 v12, 0x10000, v1
	s_delay_alu instid0(VALU_DEP_2) | instskip(NEXT) | instid1(VALU_DEP_2)
	v_cmp_eq_u32_e32 vcc_lo, 0, v8
	v_cndmask_b32_e32 v105, v12, v1, vcc_lo
; %bb.818:                              ;   in Loop: Header=BB10_714 Depth=4
	s_or_b32 exec_lo, exec_lo, s60
	v_lshlrev_b32_e32 v1, 16, v9
	s_mov_b32 s60, exec_lo
                                        ; implicit-def: $vgpr106
	s_delay_alu instid0(VALU_DEP_1) | instskip(NEXT) | instid1(VALU_DEP_1)
	v_mul_f32_e32 v1, v76, v1
	v_and_b32_e32 v8, 0x7f800000, v1
	s_delay_alu instid0(VALU_DEP_1)
	v_cmpx_ne_u32_e32 0x7f800000, v8
	s_xor_b32 s60, exec_lo, s60
; %bb.819:                              ;   in Loop: Header=BB10_714 Depth=4
	v_bfe_u32 v8, v1, 16, 1
	s_delay_alu instid0(VALU_DEP_1)
	v_add3_u32 v106, v1, v8, 0x7fff
                                        ; implicit-def: $vgpr1
; %bb.820:                              ;   in Loop: Header=BB10_714 Depth=4
	s_and_not1_saveexec_b32 s60, s60
; %bb.821:                              ;   in Loop: Header=BB10_714 Depth=4
	v_and_b32_e32 v8, 0xffff, v1
	v_or_b32_e32 v12, 0x10000, v1
	s_delay_alu instid0(VALU_DEP_2) | instskip(NEXT) | instid1(VALU_DEP_2)
	v_cmp_eq_u32_e32 vcc_lo, 0, v8
	v_cndmask_b32_e32 v106, v12, v1, vcc_lo
; %bb.822:                              ;   in Loop: Header=BB10_714 Depth=4
	s_or_b32 exec_lo, exec_lo, s60
	v_and_b32_e32 v1, 0xffff0000, v9
	s_mov_b32 s60, exec_lo
                                        ; implicit-def: $vgpr95
	s_delay_alu instid0(VALU_DEP_1) | instskip(NEXT) | instid1(VALU_DEP_1)
	v_mul_f32_e32 v1, v76, v1
	v_and_b32_e32 v8, 0x7f800000, v1
	s_delay_alu instid0(VALU_DEP_1)
	v_cmpx_ne_u32_e32 0x7f800000, v8
	s_xor_b32 s60, exec_lo, s60
; %bb.823:                              ;   in Loop: Header=BB10_714 Depth=4
	v_bfe_u32 v8, v1, 16, 1
	s_delay_alu instid0(VALU_DEP_1)
	v_add3_u32 v95, v1, v8, 0x7fff
                                        ; implicit-def: $vgpr1
; %bb.824:                              ;   in Loop: Header=BB10_714 Depth=4
	s_and_not1_saveexec_b32 s60, s60
; %bb.825:                              ;   in Loop: Header=BB10_714 Depth=4
	v_and_b32_e32 v8, 0xffff, v1
	v_or_b32_e32 v9, 0x10000, v1
	s_delay_alu instid0(VALU_DEP_2) | instskip(NEXT) | instid1(VALU_DEP_2)
	v_cmp_eq_u32_e32 vcc_lo, 0, v8
	v_cndmask_b32_e32 v95, v9, v1, vcc_lo
; %bb.826:                              ;   in Loop: Header=BB10_714 Depth=4
	s_or_b32 exec_lo, exec_lo, s60
	v_lshlrev_b32_e32 v1, 16, v10
	s_mov_b32 s60, exec_lo
                                        ; implicit-def: $vgpr104
	s_delay_alu instid0(VALU_DEP_1) | instskip(NEXT) | instid1(VALU_DEP_1)
	v_mul_f32_e32 v1, v76, v1
	v_and_b32_e32 v8, 0x7f800000, v1
	s_delay_alu instid0(VALU_DEP_1)
	v_cmpx_ne_u32_e32 0x7f800000, v8
	s_xor_b32 s60, exec_lo, s60
; %bb.827:                              ;   in Loop: Header=BB10_714 Depth=4
	v_bfe_u32 v8, v1, 16, 1
	s_delay_alu instid0(VALU_DEP_1)
	v_add3_u32 v104, v1, v8, 0x7fff
                                        ; implicit-def: $vgpr1
; %bb.828:                              ;   in Loop: Header=BB10_714 Depth=4
	s_and_not1_saveexec_b32 s60, s60
; %bb.829:                              ;   in Loop: Header=BB10_714 Depth=4
	v_and_b32_e32 v8, 0xffff, v1
	v_or_b32_e32 v9, 0x10000, v1
	s_delay_alu instid0(VALU_DEP_2) | instskip(NEXT) | instid1(VALU_DEP_2)
	v_cmp_eq_u32_e32 vcc_lo, 0, v8
	v_cndmask_b32_e32 v104, v9, v1, vcc_lo
; %bb.830:                              ;   in Loop: Header=BB10_714 Depth=4
	s_or_b32 exec_lo, exec_lo, s60
	v_and_b32_e32 v1, 0xffff0000, v10
	s_mov_b32 s60, exec_lo
                                        ; implicit-def: $vgpr93
	s_delay_alu instid0(VALU_DEP_1) | instskip(NEXT) | instid1(VALU_DEP_1)
	v_mul_f32_e32 v1, v76, v1
	v_and_b32_e32 v8, 0x7f800000, v1
	s_delay_alu instid0(VALU_DEP_1)
	v_cmpx_ne_u32_e32 0x7f800000, v8
	s_xor_b32 s60, exec_lo, s60
; %bb.831:                              ;   in Loop: Header=BB10_714 Depth=4
	v_bfe_u32 v8, v1, 16, 1
	s_delay_alu instid0(VALU_DEP_1)
	v_add3_u32 v93, v1, v8, 0x7fff
                                        ; implicit-def: $vgpr1
; %bb.832:                              ;   in Loop: Header=BB10_714 Depth=4
	s_and_not1_saveexec_b32 s60, s60
; %bb.833:                              ;   in Loop: Header=BB10_714 Depth=4
	v_and_b32_e32 v8, 0xffff, v1
	v_or_b32_e32 v9, 0x10000, v1
	s_delay_alu instid0(VALU_DEP_2) | instskip(NEXT) | instid1(VALU_DEP_2)
	v_cmp_eq_u32_e32 vcc_lo, 0, v8
	v_cndmask_b32_e32 v93, v9, v1, vcc_lo
; %bb.834:                              ;   in Loop: Header=BB10_714 Depth=4
	s_or_b32 exec_lo, exec_lo, s60
	v_lshlrev_b32_e32 v1, 16, v11
	s_mov_b32 s60, exec_lo
                                        ; implicit-def: $vgpr94
	s_delay_alu instid0(VALU_DEP_1) | instskip(NEXT) | instid1(VALU_DEP_1)
	v_mul_f32_e32 v1, v76, v1
	v_and_b32_e32 v8, 0x7f800000, v1
	s_delay_alu instid0(VALU_DEP_1)
	v_cmpx_ne_u32_e32 0x7f800000, v8
	s_xor_b32 s60, exec_lo, s60
; %bb.835:                              ;   in Loop: Header=BB10_714 Depth=4
	v_bfe_u32 v8, v1, 16, 1
	s_delay_alu instid0(VALU_DEP_1)
	v_add3_u32 v94, v1, v8, 0x7fff
                                        ; implicit-def: $vgpr1
; %bb.836:                              ;   in Loop: Header=BB10_714 Depth=4
	s_and_not1_saveexec_b32 s60, s60
; %bb.837:                              ;   in Loop: Header=BB10_714 Depth=4
	v_and_b32_e32 v8, 0xffff, v1
	v_or_b32_e32 v9, 0x10000, v1
	s_delay_alu instid0(VALU_DEP_2) | instskip(NEXT) | instid1(VALU_DEP_2)
	v_cmp_eq_u32_e32 vcc_lo, 0, v8
	v_cndmask_b32_e32 v94, v9, v1, vcc_lo
; %bb.838:                              ;   in Loop: Header=BB10_714 Depth=4
	s_or_b32 exec_lo, exec_lo, s60
	v_and_b32_e32 v1, 0xffff0000, v11
	s_mov_b32 s60, exec_lo
                                        ; implicit-def: $vgpr92
	s_delay_alu instid0(VALU_DEP_1) | instskip(NEXT) | instid1(VALU_DEP_1)
	v_mul_f32_e32 v1, v76, v1
	v_and_b32_e32 v8, 0x7f800000, v1
	s_delay_alu instid0(VALU_DEP_1)
	v_cmpx_ne_u32_e32 0x7f800000, v8
	s_xor_b32 s60, exec_lo, s60
; %bb.839:                              ;   in Loop: Header=BB10_714 Depth=4
	v_bfe_u32 v8, v1, 16, 1
	s_delay_alu instid0(VALU_DEP_1)
	v_add3_u32 v92, v1, v8, 0x7fff
                                        ; implicit-def: $vgpr1
; %bb.840:                              ;   in Loop: Header=BB10_714 Depth=4
	s_and_not1_saveexec_b32 s60, s60
; %bb.841:                              ;   in Loop: Header=BB10_714 Depth=4
	v_and_b32_e32 v8, 0xffff, v1
	v_or_b32_e32 v9, 0x10000, v1
	s_delay_alu instid0(VALU_DEP_2) | instskip(NEXT) | instid1(VALU_DEP_2)
	v_cmp_eq_u32_e32 vcc_lo, 0, v8
	v_cndmask_b32_e32 v92, v9, v1, vcc_lo
; %bb.842:                              ;   in Loop: Header=BB10_714 Depth=4
	s_or_b32 exec_lo, exec_lo, s60
	s_clause 0x3
	global_load_b128 v[20:23], v[62:63], off th:TH_LOAD_NT
	global_load_b128 v[16:19], v[62:63], off offset:512 th:TH_LOAD_NT
	global_load_b128 v[12:15], v[62:63], off offset:1024 th:TH_LOAD_NT
	;; [unrolled: 1-line block ×3, first 2 shown]
	v_and_b32_e32 v1, 0xffff0000, v77
	s_mov_b32 s60, exec_lo
                                        ; implicit-def: $vgpr77
	s_wait_loadcnt 0x3
	v_lshlrev_b32_e32 v31, 16, v20
	s_delay_alu instid0(VALU_DEP_1) | instskip(NEXT) | instid1(VALU_DEP_1)
	v_add_f32_e32 v1, v1, v31
	v_and_b32_e32 v31, 0x7f800000, v1
	s_wait_xcnt 0x0
	s_delay_alu instid0(VALU_DEP_1)
	v_cmpx_ne_u32_e32 0x7f800000, v31
	s_xor_b32 s60, exec_lo, s60
; %bb.843:                              ;   in Loop: Header=BB10_714 Depth=4
	v_bfe_u32 v31, v1, 16, 1
	s_delay_alu instid0(VALU_DEP_1)
	v_add3_u32 v77, v1, v31, 0x7fff
                                        ; implicit-def: $vgpr1
; %bb.844:                              ;   in Loop: Header=BB10_714 Depth=4
	s_and_not1_saveexec_b32 s60, s60
; %bb.845:                              ;   in Loop: Header=BB10_714 Depth=4
	v_and_b32_e32 v31, 0xffff, v1
	v_or_b32_e32 v54, 0x10000, v1
	s_delay_alu instid0(VALU_DEP_2) | instskip(NEXT) | instid1(VALU_DEP_2)
	v_cmp_eq_u32_e32 vcc_lo, 0, v31
	v_cndmask_b32_e32 v77, v54, v1, vcc_lo
; %bb.846:                              ;   in Loop: Header=BB10_714 Depth=4
	s_or_b32 exec_lo, exec_lo, s60
	v_and_b32_e32 v1, 0xffff0000, v20
	v_and_b32_e32 v20, 0xffff0000, v119
	s_delay_alu instid0(VALU_DEP_1) | instskip(NEXT) | instid1(VALU_DEP_1)
	v_add_f32_e32 v1, v20, v1
	v_and_b32_e32 v20, 0x7f800000, v1
	s_delay_alu instid0(VALU_DEP_1) | instskip(SKIP_1) | instid1(SALU_CYCLE_1)
	v_cmp_ne_u32_e32 vcc_lo, 0x7f800000, v20
                                        ; implicit-def: $vgpr20
	s_and_saveexec_b32 s60, vcc_lo
	s_xor_b32 s60, exec_lo, s60
; %bb.847:                              ;   in Loop: Header=BB10_714 Depth=4
	v_bfe_u32 v20, v1, 16, 1
	s_delay_alu instid0(VALU_DEP_1)
	v_add3_u32 v20, v1, v20, 0x7fff
                                        ; implicit-def: $vgpr1
; %bb.848:                              ;   in Loop: Header=BB10_714 Depth=4
	s_and_not1_saveexec_b32 s60, s60
; %bb.849:                              ;   in Loop: Header=BB10_714 Depth=4
	v_and_b32_e32 v20, 0xffff, v1
	v_or_b32_e32 v31, 0x10000, v1
	s_delay_alu instid0(VALU_DEP_2) | instskip(NEXT) | instid1(VALU_DEP_2)
	v_cmp_eq_u32_e32 vcc_lo, 0, v20
	v_cndmask_b32_e32 v20, v31, v1, vcc_lo
; %bb.850:                              ;   in Loop: Header=BB10_714 Depth=4
	s_or_b32 exec_lo, exec_lo, s60
	v_and_b32_e32 v1, 0xffff0000, v79
	v_lshlrev_b32_e32 v31, 16, v21
	s_mov_b32 s60, exec_lo
                                        ; implicit-def: $vgpr119
	s_delay_alu instid0(VALU_DEP_1) | instskip(NEXT) | instid1(VALU_DEP_1)
	v_add_f32_e32 v1, v1, v31
	v_and_b32_e32 v31, 0x7f800000, v1
	s_delay_alu instid0(VALU_DEP_1)
	v_cmpx_ne_u32_e32 0x7f800000, v31
	s_xor_b32 s60, exec_lo, s60
; %bb.851:                              ;   in Loop: Header=BB10_714 Depth=4
	v_bfe_u32 v31, v1, 16, 1
	s_delay_alu instid0(VALU_DEP_1)
	v_add3_u32 v119, v1, v31, 0x7fff
                                        ; implicit-def: $vgpr1
; %bb.852:                              ;   in Loop: Header=BB10_714 Depth=4
	s_and_not1_saveexec_b32 s60, s60
; %bb.853:                              ;   in Loop: Header=BB10_714 Depth=4
	v_and_b32_e32 v31, 0xffff, v1
	v_or_b32_e32 v54, 0x10000, v1
	s_delay_alu instid0(VALU_DEP_2) | instskip(NEXT) | instid1(VALU_DEP_2)
	v_cmp_eq_u32_e32 vcc_lo, 0, v31
	v_cndmask_b32_e32 v119, v54, v1, vcc_lo
; %bb.854:                              ;   in Loop: Header=BB10_714 Depth=4
	s_or_b32 exec_lo, exec_lo, s60
	v_and_b32_e32 v1, 0xffff0000, v21
	v_and_b32_e32 v21, 0xffff0000, v65
	s_delay_alu instid0(VALU_DEP_1) | instskip(NEXT) | instid1(VALU_DEP_1)
	v_add_f32_e32 v1, v21, v1
	v_and_b32_e32 v21, 0x7f800000, v1
	s_delay_alu instid0(VALU_DEP_1) | instskip(SKIP_1) | instid1(SALU_CYCLE_1)
	v_cmp_ne_u32_e32 vcc_lo, 0x7f800000, v21
                                        ; implicit-def: $vgpr21
	s_and_saveexec_b32 s60, vcc_lo
	s_xor_b32 s60, exec_lo, s60
; %bb.855:                              ;   in Loop: Header=BB10_714 Depth=4
	v_bfe_u32 v21, v1, 16, 1
	s_delay_alu instid0(VALU_DEP_1)
	v_add3_u32 v21, v1, v21, 0x7fff
                                        ; implicit-def: $vgpr1
; %bb.856:                              ;   in Loop: Header=BB10_714 Depth=4
	s_and_not1_saveexec_b32 s60, s60
; %bb.857:                              ;   in Loop: Header=BB10_714 Depth=4
	v_and_b32_e32 v21, 0xffff, v1
	v_or_b32_e32 v31, 0x10000, v1
	s_delay_alu instid0(VALU_DEP_2) | instskip(NEXT) | instid1(VALU_DEP_2)
	v_cmp_eq_u32_e32 vcc_lo, 0, v21
	v_cndmask_b32_e32 v21, v31, v1, vcc_lo
; %bb.858:                              ;   in Loop: Header=BB10_714 Depth=4
	s_or_b32 exec_lo, exec_lo, s60
	v_and_b32_e32 v1, 0xffff0000, v118
	v_lshlrev_b32_e32 v31, 16, v22
	s_mov_b32 s60, exec_lo
                                        ; implicit-def: $vgpr65
	s_delay_alu instid0(VALU_DEP_1) | instskip(NEXT) | instid1(VALU_DEP_1)
	v_add_f32_e32 v1, v1, v31
	v_and_b32_e32 v31, 0x7f800000, v1
	s_delay_alu instid0(VALU_DEP_1)
	v_cmpx_ne_u32_e32 0x7f800000, v31
	s_xor_b32 s60, exec_lo, s60
; %bb.859:                              ;   in Loop: Header=BB10_714 Depth=4
	v_bfe_u32 v31, v1, 16, 1
	s_delay_alu instid0(VALU_DEP_1)
	v_add3_u32 v65, v1, v31, 0x7fff
                                        ; implicit-def: $vgpr1
; %bb.860:                              ;   in Loop: Header=BB10_714 Depth=4
	s_and_not1_saveexec_b32 s60, s60
; %bb.861:                              ;   in Loop: Header=BB10_714 Depth=4
	v_and_b32_e32 v31, 0xffff, v1
	v_or_b32_e32 v54, 0x10000, v1
	s_delay_alu instid0(VALU_DEP_2) | instskip(NEXT) | instid1(VALU_DEP_2)
	v_cmp_eq_u32_e32 vcc_lo, 0, v31
	v_cndmask_b32_e32 v65, v54, v1, vcc_lo
; %bb.862:                              ;   in Loop: Header=BB10_714 Depth=4
	s_or_b32 exec_lo, exec_lo, s60
	v_and_b32_e32 v1, 0xffff0000, v22
	v_and_b32_e32 v5, 0xffff0000, v5
	s_delay_alu instid0(VALU_DEP_1) | instskip(NEXT) | instid1(VALU_DEP_1)
	v_add_f32_e32 v1, v5, v1
	v_and_b32_e32 v5, 0x7f800000, v1
	s_delay_alu instid0(VALU_DEP_1) | instskip(SKIP_1) | instid1(SALU_CYCLE_1)
	v_cmp_ne_u32_e32 vcc_lo, 0x7f800000, v5
                                        ; implicit-def: $vgpr5
	s_and_saveexec_b32 s60, vcc_lo
	s_xor_b32 s60, exec_lo, s60
; %bb.863:                              ;   in Loop: Header=BB10_714 Depth=4
	v_bfe_u32 v5, v1, 16, 1
	s_delay_alu instid0(VALU_DEP_1)
	v_add3_u32 v5, v1, v5, 0x7fff
                                        ; implicit-def: $vgpr1
; %bb.864:                              ;   in Loop: Header=BB10_714 Depth=4
	s_and_not1_saveexec_b32 s60, s60
; %bb.865:                              ;   in Loop: Header=BB10_714 Depth=4
	v_and_b32_e32 v5, 0xffff, v1
	v_or_b32_e32 v22, 0x10000, v1
	s_delay_alu instid0(VALU_DEP_2) | instskip(NEXT) | instid1(VALU_DEP_2)
	v_cmp_eq_u32_e32 vcc_lo, 0, v5
	v_cndmask_b32_e32 v5, v22, v1, vcc_lo
; %bb.866:                              ;   in Loop: Header=BB10_714 Depth=4
	s_or_b32 exec_lo, exec_lo, s60
	v_and_b32_e32 v1, 0xffff0000, v64
	v_lshlrev_b32_e32 v22, 16, v23
	s_delay_alu instid0(VALU_DEP_1) | instskip(NEXT) | instid1(VALU_DEP_1)
	v_add_f32_e32 v1, v1, v22
	v_and_b32_e32 v22, 0x7f800000, v1
	s_delay_alu instid0(VALU_DEP_1) | instskip(SKIP_1) | instid1(SALU_CYCLE_1)
	v_cmp_ne_u32_e32 vcc_lo, 0x7f800000, v22
                                        ; implicit-def: $vgpr22
	s_and_saveexec_b32 s60, vcc_lo
	s_xor_b32 s60, exec_lo, s60
; %bb.867:                              ;   in Loop: Header=BB10_714 Depth=4
	v_bfe_u32 v22, v1, 16, 1
	s_delay_alu instid0(VALU_DEP_1)
	v_add3_u32 v22, v1, v22, 0x7fff
                                        ; implicit-def: $vgpr1
; %bb.868:                              ;   in Loop: Header=BB10_714 Depth=4
	s_and_not1_saveexec_b32 s60, s60
; %bb.869:                              ;   in Loop: Header=BB10_714 Depth=4
	v_and_b32_e32 v22, 0xffff, v1
	v_or_b32_e32 v31, 0x10000, v1
	s_delay_alu instid0(VALU_DEP_2) | instskip(NEXT) | instid1(VALU_DEP_2)
	v_cmp_eq_u32_e32 vcc_lo, 0, v22
	v_cndmask_b32_e32 v22, v31, v1, vcc_lo
; %bb.870:                              ;   in Loop: Header=BB10_714 Depth=4
	s_or_b32 exec_lo, exec_lo, s60
	v_and_b32_e32 v1, 0xffff0000, v23
	v_and_b32_e32 v23, 0xffff0000, v78
	s_delay_alu instid0(VALU_DEP_1) | instskip(NEXT) | instid1(VALU_DEP_1)
	v_add_f32_e32 v1, v23, v1
	v_and_b32_e32 v23, 0x7f800000, v1
	s_delay_alu instid0(VALU_DEP_1) | instskip(SKIP_1) | instid1(SALU_CYCLE_1)
	v_cmp_ne_u32_e32 vcc_lo, 0x7f800000, v23
                                        ; implicit-def: $vgpr23
	s_and_saveexec_b32 s60, vcc_lo
	s_xor_b32 s60, exec_lo, s60
; %bb.871:                              ;   in Loop: Header=BB10_714 Depth=4
	v_bfe_u32 v23, v1, 16, 1
	s_delay_alu instid0(VALU_DEP_1)
	v_add3_u32 v23, v1, v23, 0x7fff
                                        ; implicit-def: $vgpr1
; %bb.872:                              ;   in Loop: Header=BB10_714 Depth=4
	s_and_not1_saveexec_b32 s60, s60
; %bb.873:                              ;   in Loop: Header=BB10_714 Depth=4
	v_and_b32_e32 v23, 0xffff, v1
	v_or_b32_e32 v31, 0x10000, v1
	s_delay_alu instid0(VALU_DEP_2) | instskip(NEXT) | instid1(VALU_DEP_2)
	v_cmp_eq_u32_e32 vcc_lo, 0, v23
	v_cndmask_b32_e32 v23, v31, v1, vcc_lo
; %bb.874:                              ;   in Loop: Header=BB10_714 Depth=4
	s_or_b32 exec_lo, exec_lo, s60
	v_and_b32_e32 v1, 0xffff0000, v4
	s_wait_loadcnt 0x2
	v_lshlrev_b32_e32 v4, 16, v16
	s_delay_alu instid0(VALU_DEP_1) | instskip(NEXT) | instid1(VALU_DEP_1)
	v_add_f32_e32 v1, v1, v4
	v_and_b32_e32 v4, 0x7f800000, v1
	s_delay_alu instid0(VALU_DEP_1) | instskip(SKIP_1) | instid1(SALU_CYCLE_1)
	v_cmp_ne_u32_e32 vcc_lo, 0x7f800000, v4
                                        ; implicit-def: $vgpr4
	s_and_saveexec_b32 s60, vcc_lo
	s_xor_b32 s60, exec_lo, s60
; %bb.875:                              ;   in Loop: Header=BB10_714 Depth=4
	v_bfe_u32 v4, v1, 16, 1
	s_delay_alu instid0(VALU_DEP_1)
	v_add3_u32 v4, v1, v4, 0x7fff
                                        ; implicit-def: $vgpr1
; %bb.876:                              ;   in Loop: Header=BB10_714 Depth=4
	s_and_not1_saveexec_b32 s60, s60
; %bb.877:                              ;   in Loop: Header=BB10_714 Depth=4
	v_and_b32_e32 v4, 0xffff, v1
	v_or_b32_e32 v31, 0x10000, v1
	s_delay_alu instid0(VALU_DEP_2) | instskip(NEXT) | instid1(VALU_DEP_2)
	v_cmp_eq_u32_e32 vcc_lo, 0, v4
	v_cndmask_b32_e32 v4, v31, v1, vcc_lo
; %bb.878:                              ;   in Loop: Header=BB10_714 Depth=4
	s_or_b32 exec_lo, exec_lo, s60
	v_and_b32_e32 v1, 0xffff0000, v16
	v_and_b32_e32 v16, 0xffff0000, v66
	s_delay_alu instid0(VALU_DEP_1) | instskip(NEXT) | instid1(VALU_DEP_1)
	v_add_f32_e32 v1, v16, v1
	v_and_b32_e32 v16, 0x7f800000, v1
	s_delay_alu instid0(VALU_DEP_1) | instskip(SKIP_1) | instid1(SALU_CYCLE_1)
	v_cmp_ne_u32_e32 vcc_lo, 0x7f800000, v16
                                        ; implicit-def: $vgpr16
	s_and_saveexec_b32 s60, vcc_lo
	s_xor_b32 s60, exec_lo, s60
; %bb.879:                              ;   in Loop: Header=BB10_714 Depth=4
	v_bfe_u32 v16, v1, 16, 1
	s_delay_alu instid0(VALU_DEP_1)
	v_add3_u32 v16, v1, v16, 0x7fff
                                        ; implicit-def: $vgpr1
; %bb.880:                              ;   in Loop: Header=BB10_714 Depth=4
	s_and_not1_saveexec_b32 s60, s60
; %bb.881:                              ;   in Loop: Header=BB10_714 Depth=4
	v_and_b32_e32 v16, 0xffff, v1
	v_or_b32_e32 v31, 0x10000, v1
	s_delay_alu instid0(VALU_DEP_2) | instskip(NEXT) | instid1(VALU_DEP_2)
	v_cmp_eq_u32_e32 vcc_lo, 0, v16
	v_cndmask_b32_e32 v16, v31, v1, vcc_lo
; %bb.882:                              ;   in Loop: Header=BB10_714 Depth=4
	s_or_b32 exec_lo, exec_lo, s60
	v_and_b32_e32 v1, 0xffff0000, v67
	v_lshlrev_b32_e32 v31, 16, v17
	s_mov_b32 s60, exec_lo
                                        ; implicit-def: $vgpr64
	s_delay_alu instid0(VALU_DEP_1) | instskip(NEXT) | instid1(VALU_DEP_1)
	v_add_f32_e32 v1, v1, v31
	v_and_b32_e32 v31, 0x7f800000, v1
	s_delay_alu instid0(VALU_DEP_1)
	v_cmpx_ne_u32_e32 0x7f800000, v31
	s_xor_b32 s60, exec_lo, s60
; %bb.883:                              ;   in Loop: Header=BB10_714 Depth=4
	v_bfe_u32 v31, v1, 16, 1
	s_delay_alu instid0(VALU_DEP_1)
	v_add3_u32 v64, v1, v31, 0x7fff
                                        ; implicit-def: $vgpr1
; %bb.884:                              ;   in Loop: Header=BB10_714 Depth=4
	s_and_not1_saveexec_b32 s60, s60
; %bb.885:                              ;   in Loop: Header=BB10_714 Depth=4
	v_and_b32_e32 v31, 0xffff, v1
	v_or_b32_e32 v54, 0x10000, v1
	s_delay_alu instid0(VALU_DEP_2) | instskip(NEXT) | instid1(VALU_DEP_2)
	v_cmp_eq_u32_e32 vcc_lo, 0, v31
	v_cndmask_b32_e32 v64, v54, v1, vcc_lo
; %bb.886:                              ;   in Loop: Header=BB10_714 Depth=4
	s_or_b32 exec_lo, exec_lo, s60
	v_and_b32_e32 v1, 0xffff0000, v17
	v_and_b32_e32 v17, 0xffff0000, v24
	s_delay_alu instid0(VALU_DEP_1) | instskip(NEXT) | instid1(VALU_DEP_1)
	v_add_f32_e32 v1, v17, v1
	v_and_b32_e32 v17, 0x7f800000, v1
	s_delay_alu instid0(VALU_DEP_1) | instskip(SKIP_1) | instid1(SALU_CYCLE_1)
	v_cmp_ne_u32_e32 vcc_lo, 0x7f800000, v17
                                        ; implicit-def: $vgpr17
	s_and_saveexec_b32 s60, vcc_lo
	s_xor_b32 s60, exec_lo, s60
; %bb.887:                              ;   in Loop: Header=BB10_714 Depth=4
	v_bfe_u32 v17, v1, 16, 1
	s_delay_alu instid0(VALU_DEP_1)
	v_add3_u32 v17, v1, v17, 0x7fff
                                        ; implicit-def: $vgpr1
; %bb.888:                              ;   in Loop: Header=BB10_714 Depth=4
	s_and_not1_saveexec_b32 s60, s60
; %bb.889:                              ;   in Loop: Header=BB10_714 Depth=4
	v_and_b32_e32 v17, 0xffff, v1
	v_or_b32_e32 v24, 0x10000, v1
	s_delay_alu instid0(VALU_DEP_2) | instskip(NEXT) | instid1(VALU_DEP_2)
	v_cmp_eq_u32_e32 vcc_lo, 0, v17
	v_cndmask_b32_e32 v17, v24, v1, vcc_lo
; %bb.890:                              ;   in Loop: Header=BB10_714 Depth=4
	s_or_b32 exec_lo, exec_lo, s60
	v_and_b32_e32 v1, 0xffff0000, v25
	v_lshlrev_b32_e32 v24, 16, v18
	s_delay_alu instid0(VALU_DEP_1) | instskip(NEXT) | instid1(VALU_DEP_1)
	v_add_f32_e32 v1, v1, v24
	v_and_b32_e32 v24, 0x7f800000, v1
	s_delay_alu instid0(VALU_DEP_1) | instskip(SKIP_1) | instid1(SALU_CYCLE_1)
	v_cmp_ne_u32_e32 vcc_lo, 0x7f800000, v24
                                        ; implicit-def: $vgpr24
	s_and_saveexec_b32 s60, vcc_lo
	s_xor_b32 s60, exec_lo, s60
; %bb.891:                              ;   in Loop: Header=BB10_714 Depth=4
	v_bfe_u32 v24, v1, 16, 1
	s_delay_alu instid0(VALU_DEP_1)
	v_add3_u32 v24, v1, v24, 0x7fff
                                        ; implicit-def: $vgpr1
; %bb.892:                              ;   in Loop: Header=BB10_714 Depth=4
	s_and_not1_saveexec_b32 s60, s60
; %bb.893:                              ;   in Loop: Header=BB10_714 Depth=4
	v_and_b32_e32 v24, 0xffff, v1
	v_or_b32_e32 v25, 0x10000, v1
	s_delay_alu instid0(VALU_DEP_2) | instskip(NEXT) | instid1(VALU_DEP_2)
	v_cmp_eq_u32_e32 vcc_lo, 0, v24
	v_cndmask_b32_e32 v24, v25, v1, vcc_lo
; %bb.894:                              ;   in Loop: Header=BB10_714 Depth=4
	s_or_b32 exec_lo, exec_lo, s60
	v_and_b32_e32 v1, 0xffff0000, v18
	v_and_b32_e32 v18, 0xffff0000, v28
	s_delay_alu instid0(VALU_DEP_1) | instskip(NEXT) | instid1(VALU_DEP_1)
	v_add_f32_e32 v1, v18, v1
	v_and_b32_e32 v18, 0x7f800000, v1
	s_delay_alu instid0(VALU_DEP_1) | instskip(SKIP_1) | instid1(SALU_CYCLE_1)
	v_cmp_ne_u32_e32 vcc_lo, 0x7f800000, v18
                                        ; implicit-def: $vgpr18
	s_and_saveexec_b32 s60, vcc_lo
	s_xor_b32 s60, exec_lo, s60
; %bb.895:                              ;   in Loop: Header=BB10_714 Depth=4
	v_bfe_u32 v18, v1, 16, 1
	s_delay_alu instid0(VALU_DEP_1)
	v_add3_u32 v18, v1, v18, 0x7fff
                                        ; implicit-def: $vgpr1
; %bb.896:                              ;   in Loop: Header=BB10_714 Depth=4
	s_and_not1_saveexec_b32 s60, s60
; %bb.897:                              ;   in Loop: Header=BB10_714 Depth=4
	v_and_b32_e32 v18, 0xffff, v1
	v_or_b32_e32 v25, 0x10000, v1
	s_delay_alu instid0(VALU_DEP_2) | instskip(NEXT) | instid1(VALU_DEP_2)
	v_cmp_eq_u32_e32 vcc_lo, 0, v18
	v_cndmask_b32_e32 v18, v25, v1, vcc_lo
; %bb.898:                              ;   in Loop: Header=BB10_714 Depth=4
	s_or_b32 exec_lo, exec_lo, s60
	v_and_b32_e32 v1, 0xffff0000, v29
	v_lshlrev_b32_e32 v25, 16, v19
	s_delay_alu instid0(VALU_DEP_1) | instskip(NEXT) | instid1(VALU_DEP_1)
	v_add_f32_e32 v1, v1, v25
	v_and_b32_e32 v25, 0x7f800000, v1
	s_delay_alu instid0(VALU_DEP_1) | instskip(SKIP_1) | instid1(SALU_CYCLE_1)
	v_cmp_ne_u32_e32 vcc_lo, 0x7f800000, v25
                                        ; implicit-def: $vgpr25
	s_and_saveexec_b32 s60, vcc_lo
	s_xor_b32 s60, exec_lo, s60
; %bb.899:                              ;   in Loop: Header=BB10_714 Depth=4
	v_bfe_u32 v25, v1, 16, 1
	s_delay_alu instid0(VALU_DEP_1)
	v_add3_u32 v25, v1, v25, 0x7fff
                                        ; implicit-def: $vgpr1
; %bb.900:                              ;   in Loop: Header=BB10_714 Depth=4
	s_and_not1_saveexec_b32 s60, s60
; %bb.901:                              ;   in Loop: Header=BB10_714 Depth=4
	v_and_b32_e32 v25, 0xffff, v1
	v_or_b32_e32 v28, 0x10000, v1
	s_delay_alu instid0(VALU_DEP_2) | instskip(NEXT) | instid1(VALU_DEP_2)
	v_cmp_eq_u32_e32 vcc_lo, 0, v25
	v_cndmask_b32_e32 v25, v28, v1, vcc_lo
; %bb.902:                              ;   in Loop: Header=BB10_714 Depth=4
	s_or_b32 exec_lo, exec_lo, s60
	v_and_b32_e32 v1, 0xffff0000, v19
	v_and_b32_e32 v19, 0xffff0000, v121
	s_delay_alu instid0(VALU_DEP_1) | instskip(NEXT) | instid1(VALU_DEP_1)
	v_add_f32_e32 v1, v19, v1
	v_and_b32_e32 v19, 0x7f800000, v1
	s_delay_alu instid0(VALU_DEP_1) | instskip(SKIP_1) | instid1(SALU_CYCLE_1)
	v_cmp_ne_u32_e32 vcc_lo, 0x7f800000, v19
                                        ; implicit-def: $vgpr19
	s_and_saveexec_b32 s60, vcc_lo
	s_xor_b32 s60, exec_lo, s60
; %bb.903:                              ;   in Loop: Header=BB10_714 Depth=4
	v_bfe_u32 v19, v1, 16, 1
	s_delay_alu instid0(VALU_DEP_1)
	v_add3_u32 v19, v1, v19, 0x7fff
                                        ; implicit-def: $vgpr1
; %bb.904:                              ;   in Loop: Header=BB10_714 Depth=4
	s_and_not1_saveexec_b32 s60, s60
; %bb.905:                              ;   in Loop: Header=BB10_714 Depth=4
	v_and_b32_e32 v19, 0xffff, v1
	v_or_b32_e32 v28, 0x10000, v1
	s_delay_alu instid0(VALU_DEP_2) | instskip(NEXT) | instid1(VALU_DEP_2)
	v_cmp_eq_u32_e32 vcc_lo, 0, v19
	v_cndmask_b32_e32 v19, v28, v1, vcc_lo
; %bb.906:                              ;   in Loop: Header=BB10_714 Depth=4
	s_or_b32 exec_lo, exec_lo, s60
	v_and_b32_e32 v1, 0xffff0000, v122
	s_wait_loadcnt 0x1
	v_lshlrev_b32_e32 v28, 16, v12
	s_delay_alu instid0(VALU_DEP_1) | instskip(NEXT) | instid1(VALU_DEP_1)
	v_add_f32_e32 v1, v1, v28
	v_and_b32_e32 v28, 0x7f800000, v1
	s_delay_alu instid0(VALU_DEP_1) | instskip(SKIP_1) | instid1(SALU_CYCLE_1)
	v_cmp_ne_u32_e32 vcc_lo, 0x7f800000, v28
                                        ; implicit-def: $vgpr28
	s_and_saveexec_b32 s60, vcc_lo
	s_xor_b32 s60, exec_lo, s60
; %bb.907:                              ;   in Loop: Header=BB10_714 Depth=4
	v_bfe_u32 v28, v1, 16, 1
	s_delay_alu instid0(VALU_DEP_1)
	v_add3_u32 v28, v1, v28, 0x7fff
                                        ; implicit-def: $vgpr1
; %bb.908:                              ;   in Loop: Header=BB10_714 Depth=4
	s_and_not1_saveexec_b32 s60, s60
; %bb.909:                              ;   in Loop: Header=BB10_714 Depth=4
	v_and_b32_e32 v28, 0xffff, v1
	v_or_b32_e32 v29, 0x10000, v1
	s_delay_alu instid0(VALU_DEP_2) | instskip(NEXT) | instid1(VALU_DEP_2)
	v_cmp_eq_u32_e32 vcc_lo, 0, v28
	v_cndmask_b32_e32 v28, v29, v1, vcc_lo
; %bb.910:                              ;   in Loop: Header=BB10_714 Depth=4
	s_or_b32 exec_lo, exec_lo, s60
	v_and_b32_e32 v1, 0xffff0000, v12
	v_and_b32_e32 v12, 0xffff0000, v111
	s_delay_alu instid0(VALU_DEP_1) | instskip(NEXT) | instid1(VALU_DEP_1)
	v_add_f32_e32 v1, v12, v1
	v_and_b32_e32 v12, 0x7f800000, v1
	s_delay_alu instid0(VALU_DEP_1) | instskip(SKIP_1) | instid1(SALU_CYCLE_1)
	v_cmp_ne_u32_e32 vcc_lo, 0x7f800000, v12
                                        ; implicit-def: $vgpr12
	s_and_saveexec_b32 s60, vcc_lo
	s_xor_b32 s60, exec_lo, s60
; %bb.911:                              ;   in Loop: Header=BB10_714 Depth=4
	v_bfe_u32 v12, v1, 16, 1
	s_delay_alu instid0(VALU_DEP_1)
	v_add3_u32 v12, v1, v12, 0x7fff
                                        ; implicit-def: $vgpr1
; %bb.912:                              ;   in Loop: Header=BB10_714 Depth=4
	s_and_not1_saveexec_b32 s60, s60
; %bb.913:                              ;   in Loop: Header=BB10_714 Depth=4
	v_and_b32_e32 v12, 0xffff, v1
	v_or_b32_e32 v29, 0x10000, v1
	s_delay_alu instid0(VALU_DEP_2) | instskip(NEXT) | instid1(VALU_DEP_2)
	v_cmp_eq_u32_e32 vcc_lo, 0, v12
	v_cndmask_b32_e32 v12, v29, v1, vcc_lo
; %bb.914:                              ;   in Loop: Header=BB10_714 Depth=4
	s_or_b32 exec_lo, exec_lo, s60
	v_and_b32_e32 v1, 0xffff0000, v120
	v_lshlrev_b32_e32 v29, 16, v13
	s_delay_alu instid0(VALU_DEP_1) | instskip(NEXT) | instid1(VALU_DEP_1)
	v_add_f32_e32 v29, v1, v29
	v_and_b32_e32 v1, 0x7f800000, v29
	s_delay_alu instid0(VALU_DEP_1) | instskip(SKIP_1) | instid1(SALU_CYCLE_1)
	v_cmp_ne_u32_e32 vcc_lo, 0x7f800000, v1
                                        ; implicit-def: $vgpr1
	s_and_saveexec_b32 s60, vcc_lo
	s_xor_b32 s60, exec_lo, s60
; %bb.915:                              ;   in Loop: Header=BB10_714 Depth=4
	v_bfe_u32 v1, v29, 16, 1
	s_delay_alu instid0(VALU_DEP_1)
	v_add3_u32 v1, v29, v1, 0x7fff
                                        ; implicit-def: $vgpr29
; %bb.916:                              ;   in Loop: Header=BB10_714 Depth=4
	s_and_not1_saveexec_b32 s60, s60
; %bb.917:                              ;   in Loop: Header=BB10_714 Depth=4
	v_and_b32_e32 v1, 0xffff, v29
	v_or_b32_e32 v31, 0x10000, v29
	s_delay_alu instid0(VALU_DEP_2) | instskip(NEXT) | instid1(VALU_DEP_2)
	v_cmp_eq_u32_e32 vcc_lo, 0, v1
	v_cndmask_b32_e32 v1, v31, v29, vcc_lo
; %bb.918:                              ;   in Loop: Header=BB10_714 Depth=4
	s_or_b32 exec_lo, exec_lo, s60
	v_and_b32_e32 v13, 0xffff0000, v13
	v_and_b32_e32 v26, 0xffff0000, v26
	s_delay_alu instid0(VALU_DEP_1) | instskip(NEXT) | instid1(VALU_DEP_1)
	v_add_f32_e32 v26, v26, v13
	v_and_b32_e32 v13, 0x7f800000, v26
	s_delay_alu instid0(VALU_DEP_1) | instskip(SKIP_1) | instid1(SALU_CYCLE_1)
	v_cmp_ne_u32_e32 vcc_lo, 0x7f800000, v13
                                        ; implicit-def: $vgpr13
	s_and_saveexec_b32 s60, vcc_lo
	s_xor_b32 s60, exec_lo, s60
; %bb.919:                              ;   in Loop: Header=BB10_714 Depth=4
	v_bfe_u32 v13, v26, 16, 1
	s_delay_alu instid0(VALU_DEP_1)
	v_add3_u32 v13, v26, v13, 0x7fff
                                        ; implicit-def: $vgpr26
; %bb.920:                              ;   in Loop: Header=BB10_714 Depth=4
	s_and_not1_saveexec_b32 s60, s60
; %bb.921:                              ;   in Loop: Header=BB10_714 Depth=4
	v_and_b32_e32 v13, 0xffff, v26
	v_or_b32_e32 v29, 0x10000, v26
	s_delay_alu instid0(VALU_DEP_2) | instskip(NEXT) | instid1(VALU_DEP_2)
	v_cmp_eq_u32_e32 vcc_lo, 0, v13
	v_cndmask_b32_e32 v13, v29, v26, vcc_lo
; %bb.922:                              ;   in Loop: Header=BB10_714 Depth=4
	s_or_b32 exec_lo, exec_lo, s60
	v_and_b32_e32 v26, 0xffff0000, v27
	v_lshlrev_b32_e32 v27, 16, v14
	s_delay_alu instid0(VALU_DEP_1) | instskip(NEXT) | instid1(VALU_DEP_1)
	v_add_f32_e32 v27, v26, v27
	v_and_b32_e32 v26, 0x7f800000, v27
	s_delay_alu instid0(VALU_DEP_1) | instskip(SKIP_1) | instid1(SALU_CYCLE_1)
	v_cmp_ne_u32_e32 vcc_lo, 0x7f800000, v26
                                        ; implicit-def: $vgpr26
	s_and_saveexec_b32 s60, vcc_lo
	s_xor_b32 s60, exec_lo, s60
; %bb.923:                              ;   in Loop: Header=BB10_714 Depth=4
	v_bfe_u32 v26, v27, 16, 1
	s_delay_alu instid0(VALU_DEP_1)
	v_add3_u32 v26, v27, v26, 0x7fff
                                        ; implicit-def: $vgpr27
; %bb.924:                              ;   in Loop: Header=BB10_714 Depth=4
	s_and_not1_saveexec_b32 s60, s60
; %bb.925:                              ;   in Loop: Header=BB10_714 Depth=4
	v_and_b32_e32 v26, 0xffff, v27
	v_or_b32_e32 v29, 0x10000, v27
	s_delay_alu instid0(VALU_DEP_2) | instskip(NEXT) | instid1(VALU_DEP_2)
	v_cmp_eq_u32_e32 vcc_lo, 0, v26
	v_cndmask_b32_e32 v26, v29, v27, vcc_lo
; %bb.926:                              ;   in Loop: Header=BB10_714 Depth=4
	s_or_b32 exec_lo, exec_lo, s60
	v_and_b32_e32 v14, 0xffff0000, v14
	v_and_b32_e32 v27, 0xffff0000, v109
	s_delay_alu instid0(VALU_DEP_1) | instskip(NEXT) | instid1(VALU_DEP_1)
	v_add_f32_e32 v27, v27, v14
	v_and_b32_e32 v14, 0x7f800000, v27
	s_delay_alu instid0(VALU_DEP_1) | instskip(SKIP_1) | instid1(SALU_CYCLE_1)
	v_cmp_ne_u32_e32 vcc_lo, 0x7f800000, v14
                                        ; implicit-def: $vgpr14
	s_and_saveexec_b32 s60, vcc_lo
	s_xor_b32 s60, exec_lo, s60
; %bb.927:                              ;   in Loop: Header=BB10_714 Depth=4
	v_bfe_u32 v14, v27, 16, 1
	s_delay_alu instid0(VALU_DEP_1)
	v_add3_u32 v14, v27, v14, 0x7fff
                                        ; implicit-def: $vgpr27
; %bb.928:                              ;   in Loop: Header=BB10_714 Depth=4
	s_and_not1_saveexec_b32 s60, s60
; %bb.929:                              ;   in Loop: Header=BB10_714 Depth=4
	v_and_b32_e32 v14, 0xffff, v27
	v_or_b32_e32 v29, 0x10000, v27
	s_delay_alu instid0(VALU_DEP_2) | instskip(NEXT) | instid1(VALU_DEP_2)
	v_cmp_eq_u32_e32 vcc_lo, 0, v14
	v_cndmask_b32_e32 v14, v29, v27, vcc_lo
; %bb.930:                              ;   in Loop: Header=BB10_714 Depth=4
	s_or_b32 exec_lo, exec_lo, s60
	v_and_b32_e32 v27, 0xffff0000, v110
	v_lshlrev_b32_e32 v29, 16, v15
	s_delay_alu instid0(VALU_DEP_1) | instskip(NEXT) | instid1(VALU_DEP_1)
	v_add_f32_e32 v29, v27, v29
	v_and_b32_e32 v27, 0x7f800000, v29
	s_delay_alu instid0(VALU_DEP_1) | instskip(SKIP_1) | instid1(SALU_CYCLE_1)
	v_cmp_ne_u32_e32 vcc_lo, 0x7f800000, v27
                                        ; implicit-def: $vgpr27
	s_and_saveexec_b32 s60, vcc_lo
	s_xor_b32 s60, exec_lo, s60
; %bb.931:                              ;   in Loop: Header=BB10_714 Depth=4
	v_bfe_u32 v27, v29, 16, 1
	s_delay_alu instid0(VALU_DEP_1)
	v_add3_u32 v27, v29, v27, 0x7fff
                                        ; implicit-def: $vgpr29
; %bb.932:                              ;   in Loop: Header=BB10_714 Depth=4
	s_and_not1_saveexec_b32 s60, s60
; %bb.933:                              ;   in Loop: Header=BB10_714 Depth=4
	v_and_b32_e32 v27, 0xffff, v29
	v_or_b32_e32 v31, 0x10000, v29
	s_delay_alu instid0(VALU_DEP_2) | instskip(NEXT) | instid1(VALU_DEP_2)
	v_cmp_eq_u32_e32 vcc_lo, 0, v27
	v_cndmask_b32_e32 v27, v31, v29, vcc_lo
; %bb.934:                              ;   in Loop: Header=BB10_714 Depth=4
	s_or_b32 exec_lo, exec_lo, s60
	v_and_b32_e32 v15, 0xffff0000, v15
	v_and_b32_e32 v29, 0xffff0000, v107
	s_delay_alu instid0(VALU_DEP_1) | instskip(NEXT) | instid1(VALU_DEP_1)
	v_add_f32_e32 v29, v29, v15
	v_and_b32_e32 v15, 0x7f800000, v29
	s_delay_alu instid0(VALU_DEP_1) | instskip(SKIP_1) | instid1(SALU_CYCLE_1)
	v_cmp_ne_u32_e32 vcc_lo, 0x7f800000, v15
                                        ; implicit-def: $vgpr15
	s_and_saveexec_b32 s60, vcc_lo
	s_xor_b32 s60, exec_lo, s60
; %bb.935:                              ;   in Loop: Header=BB10_714 Depth=4
	v_bfe_u32 v15, v29, 16, 1
	s_delay_alu instid0(VALU_DEP_1)
	v_add3_u32 v15, v29, v15, 0x7fff
                                        ; implicit-def: $vgpr29
; %bb.936:                              ;   in Loop: Header=BB10_714 Depth=4
	s_and_not1_saveexec_b32 s60, s60
; %bb.937:                              ;   in Loop: Header=BB10_714 Depth=4
	v_and_b32_e32 v15, 0xffff, v29
	v_or_b32_e32 v31, 0x10000, v29
	s_delay_alu instid0(VALU_DEP_2) | instskip(NEXT) | instid1(VALU_DEP_2)
	v_cmp_eq_u32_e32 vcc_lo, 0, v15
	v_cndmask_b32_e32 v15, v31, v29, vcc_lo
; %bb.938:                              ;   in Loop: Header=BB10_714 Depth=4
	s_or_b32 exec_lo, exec_lo, s60
	v_and_b32_e32 v29, 0xffff0000, v108
	s_wait_loadcnt 0x0
	v_lshlrev_b32_e32 v31, 16, v8
	s_delay_alu instid0(VALU_DEP_1) | instskip(NEXT) | instid1(VALU_DEP_1)
	v_add_f32_e32 v31, v29, v31
	v_and_b32_e32 v29, 0x7f800000, v31
	s_delay_alu instid0(VALU_DEP_1) | instskip(SKIP_1) | instid1(SALU_CYCLE_1)
	v_cmp_ne_u32_e32 vcc_lo, 0x7f800000, v29
                                        ; implicit-def: $vgpr29
	s_and_saveexec_b32 s60, vcc_lo
	s_xor_b32 s60, exec_lo, s60
; %bb.939:                              ;   in Loop: Header=BB10_714 Depth=4
	v_bfe_u32 v29, v31, 16, 1
	s_delay_alu instid0(VALU_DEP_1)
	v_add3_u32 v29, v31, v29, 0x7fff
                                        ; implicit-def: $vgpr31
; %bb.940:                              ;   in Loop: Header=BB10_714 Depth=4
	s_and_not1_saveexec_b32 s60, s60
; %bb.941:                              ;   in Loop: Header=BB10_714 Depth=4
	v_and_b32_e32 v29, 0xffff, v31
	v_or_b32_e32 v54, 0x10000, v31
	s_delay_alu instid0(VALU_DEP_2) | instskip(NEXT) | instid1(VALU_DEP_2)
	v_cmp_eq_u32_e32 vcc_lo, 0, v29
	v_cndmask_b32_e32 v29, v54, v31, vcc_lo
; %bb.942:                              ;   in Loop: Header=BB10_714 Depth=4
	s_or_b32 exec_lo, exec_lo, s60
	v_and_b32_e32 v8, 0xffff0000, v8
	v_and_b32_e32 v31, 0xffff0000, v105
	s_delay_alu instid0(VALU_DEP_1) | instskip(NEXT) | instid1(VALU_DEP_1)
	v_add_f32_e32 v31, v31, v8
	v_and_b32_e32 v8, 0x7f800000, v31
	s_delay_alu instid0(VALU_DEP_1) | instskip(SKIP_1) | instid1(SALU_CYCLE_1)
	v_cmp_ne_u32_e32 vcc_lo, 0x7f800000, v8
                                        ; implicit-def: $vgpr8
	s_and_saveexec_b32 s60, vcc_lo
	s_xor_b32 s60, exec_lo, s60
; %bb.943:                              ;   in Loop: Header=BB10_714 Depth=4
	v_bfe_u32 v8, v31, 16, 1
	s_delay_alu instid0(VALU_DEP_1)
	v_add3_u32 v8, v31, v8, 0x7fff
                                        ; implicit-def: $vgpr31
; %bb.944:                              ;   in Loop: Header=BB10_714 Depth=4
	s_and_not1_saveexec_b32 s60, s60
; %bb.945:                              ;   in Loop: Header=BB10_714 Depth=4
	v_and_b32_e32 v8, 0xffff, v31
	v_or_b32_e32 v54, 0x10000, v31
	s_delay_alu instid0(VALU_DEP_2) | instskip(NEXT) | instid1(VALU_DEP_2)
	v_cmp_eq_u32_e32 vcc_lo, 0, v8
	v_cndmask_b32_e32 v8, v54, v31, vcc_lo
; %bb.946:                              ;   in Loop: Header=BB10_714 Depth=4
	s_or_b32 exec_lo, exec_lo, s60
	v_and_b32_e32 v31, 0xffff0000, v106
	v_lshlrev_b32_e32 v54, 16, v9
	s_delay_alu instid0(VALU_DEP_1) | instskip(NEXT) | instid1(VALU_DEP_1)
	v_add_f32_e32 v54, v31, v54
	v_and_b32_e32 v31, 0x7f800000, v54
	s_delay_alu instid0(VALU_DEP_1) | instskip(SKIP_1) | instid1(SALU_CYCLE_1)
	v_cmp_ne_u32_e32 vcc_lo, 0x7f800000, v31
                                        ; implicit-def: $vgpr31
	s_and_saveexec_b32 s60, vcc_lo
	s_xor_b32 s60, exec_lo, s60
; %bb.947:                              ;   in Loop: Header=BB10_714 Depth=4
	v_bfe_u32 v31, v54, 16, 1
	s_delay_alu instid0(VALU_DEP_1)
	v_add3_u32 v31, v54, v31, 0x7fff
                                        ; implicit-def: $vgpr54
; %bb.948:                              ;   in Loop: Header=BB10_714 Depth=4
	s_and_not1_saveexec_b32 s60, s60
; %bb.949:                              ;   in Loop: Header=BB10_714 Depth=4
	v_and_b32_e32 v31, 0xffff, v54
	v_or_b32_e32 v55, 0x10000, v54
	s_delay_alu instid0(VALU_DEP_2) | instskip(NEXT) | instid1(VALU_DEP_2)
	v_cmp_eq_u32_e32 vcc_lo, 0, v31
	v_cndmask_b32_e32 v31, v55, v54, vcc_lo
; %bb.950:                              ;   in Loop: Header=BB10_714 Depth=4
	s_or_b32 exec_lo, exec_lo, s60
	v_and_b32_e32 v9, 0xffff0000, v9
	v_and_b32_e32 v54, 0xffff0000, v95
	s_delay_alu instid0(VALU_DEP_1) | instskip(NEXT) | instid1(VALU_DEP_1)
	v_add_f32_e32 v54, v54, v9
	v_and_b32_e32 v9, 0x7f800000, v54
	s_delay_alu instid0(VALU_DEP_1) | instskip(SKIP_1) | instid1(SALU_CYCLE_1)
	v_cmp_ne_u32_e32 vcc_lo, 0x7f800000, v9
                                        ; implicit-def: $vgpr9
	s_and_saveexec_b32 s60, vcc_lo
	s_xor_b32 s60, exec_lo, s60
; %bb.951:                              ;   in Loop: Header=BB10_714 Depth=4
	v_bfe_u32 v9, v54, 16, 1
	s_delay_alu instid0(VALU_DEP_1)
	v_add3_u32 v9, v54, v9, 0x7fff
                                        ; implicit-def: $vgpr54
; %bb.952:                              ;   in Loop: Header=BB10_714 Depth=4
	s_and_not1_saveexec_b32 s60, s60
; %bb.953:                              ;   in Loop: Header=BB10_714 Depth=4
	v_and_b32_e32 v9, 0xffff, v54
	v_or_b32_e32 v55, 0x10000, v54
	s_delay_alu instid0(VALU_DEP_2) | instskip(NEXT) | instid1(VALU_DEP_2)
	v_cmp_eq_u32_e32 vcc_lo, 0, v9
	v_cndmask_b32_e32 v9, v55, v54, vcc_lo
; %bb.954:                              ;   in Loop: Header=BB10_714 Depth=4
	s_or_b32 exec_lo, exec_lo, s60
	v_and_b32_e32 v54, 0xffff0000, v104
	v_lshlrev_b32_e32 v55, 16, v10
	s_delay_alu instid0(VALU_DEP_1) | instskip(NEXT) | instid1(VALU_DEP_1)
	v_add_f32_e32 v55, v54, v55
	v_and_b32_e32 v54, 0x7f800000, v55
	s_delay_alu instid0(VALU_DEP_1) | instskip(SKIP_1) | instid1(SALU_CYCLE_1)
	v_cmp_ne_u32_e32 vcc_lo, 0x7f800000, v54
                                        ; implicit-def: $vgpr54
	s_and_saveexec_b32 s60, vcc_lo
	s_xor_b32 s60, exec_lo, s60
; %bb.955:                              ;   in Loop: Header=BB10_714 Depth=4
	v_bfe_u32 v54, v55, 16, 1
	s_delay_alu instid0(VALU_DEP_1)
	v_add3_u32 v54, v55, v54, 0x7fff
                                        ; implicit-def: $vgpr55
; %bb.956:                              ;   in Loop: Header=BB10_714 Depth=4
	s_and_not1_saveexec_b32 s60, s60
; %bb.957:                              ;   in Loop: Header=BB10_714 Depth=4
	v_and_b32_e32 v54, 0xffff, v55
	v_or_b32_e32 v66, 0x10000, v55
	s_delay_alu instid0(VALU_DEP_2) | instskip(NEXT) | instid1(VALU_DEP_2)
	v_cmp_eq_u32_e32 vcc_lo, 0, v54
	v_cndmask_b32_e32 v54, v66, v55, vcc_lo
; %bb.958:                              ;   in Loop: Header=BB10_714 Depth=4
	s_or_b32 exec_lo, exec_lo, s60
	v_and_b32_e32 v10, 0xffff0000, v10
	v_and_b32_e32 v55, 0xffff0000, v93
	s_delay_alu instid0(VALU_DEP_1) | instskip(NEXT) | instid1(VALU_DEP_1)
	v_add_f32_e32 v55, v55, v10
	v_and_b32_e32 v10, 0x7f800000, v55
	s_delay_alu instid0(VALU_DEP_1) | instskip(SKIP_1) | instid1(SALU_CYCLE_1)
	v_cmp_ne_u32_e32 vcc_lo, 0x7f800000, v10
                                        ; implicit-def: $vgpr10
	s_and_saveexec_b32 s60, vcc_lo
	s_xor_b32 s60, exec_lo, s60
; %bb.959:                              ;   in Loop: Header=BB10_714 Depth=4
	v_bfe_u32 v10, v55, 16, 1
	s_delay_alu instid0(VALU_DEP_1)
	v_add3_u32 v10, v55, v10, 0x7fff
                                        ; implicit-def: $vgpr55
; %bb.960:                              ;   in Loop: Header=BB10_714 Depth=4
	s_and_not1_saveexec_b32 s60, s60
; %bb.961:                              ;   in Loop: Header=BB10_714 Depth=4
	v_and_b32_e32 v10, 0xffff, v55
	v_or_b32_e32 v66, 0x10000, v55
	s_delay_alu instid0(VALU_DEP_2) | instskip(NEXT) | instid1(VALU_DEP_2)
	v_cmp_eq_u32_e32 vcc_lo, 0, v10
	v_cndmask_b32_e32 v10, v66, v55, vcc_lo
; %bb.962:                              ;   in Loop: Header=BB10_714 Depth=4
	s_or_b32 exec_lo, exec_lo, s60
	v_and_b32_e32 v55, 0xffff0000, v94
	v_lshlrev_b32_e32 v66, 16, v11
	s_delay_alu instid0(VALU_DEP_1) | instskip(NEXT) | instid1(VALU_DEP_1)
	v_add_f32_e32 v66, v55, v66
	v_and_b32_e32 v55, 0x7f800000, v66
	s_delay_alu instid0(VALU_DEP_1) | instskip(SKIP_1) | instid1(SALU_CYCLE_1)
	v_cmp_ne_u32_e32 vcc_lo, 0x7f800000, v55
                                        ; implicit-def: $vgpr55
	s_and_saveexec_b32 s60, vcc_lo
	s_xor_b32 s60, exec_lo, s60
; %bb.963:                              ;   in Loop: Header=BB10_714 Depth=4
	v_bfe_u32 v55, v66, 16, 1
	s_delay_alu instid0(VALU_DEP_1)
	v_add3_u32 v55, v66, v55, 0x7fff
                                        ; implicit-def: $vgpr66
; %bb.964:                              ;   in Loop: Header=BB10_714 Depth=4
	s_and_not1_saveexec_b32 s60, s60
; %bb.965:                              ;   in Loop: Header=BB10_714 Depth=4
	v_and_b32_e32 v55, 0xffff, v66
	v_or_b32_e32 v67, 0x10000, v66
	s_delay_alu instid0(VALU_DEP_2) | instskip(NEXT) | instid1(VALU_DEP_2)
	v_cmp_eq_u32_e32 vcc_lo, 0, v55
	v_cndmask_b32_e32 v55, v67, v66, vcc_lo
; %bb.966:                              ;   in Loop: Header=BB10_714 Depth=4
	s_or_b32 exec_lo, exec_lo, s60
	v_and_b32_e32 v11, 0xffff0000, v11
	v_and_b32_e32 v66, 0xffff0000, v92
	s_delay_alu instid0(VALU_DEP_1) | instskip(NEXT) | instid1(VALU_DEP_1)
	v_add_f32_e32 v66, v66, v11
	v_and_b32_e32 v11, 0x7f800000, v66
	s_delay_alu instid0(VALU_DEP_1) | instskip(SKIP_1) | instid1(SALU_CYCLE_1)
	v_cmp_ne_u32_e32 vcc_lo, 0x7f800000, v11
                                        ; implicit-def: $vgpr11
	s_and_saveexec_b32 s60, vcc_lo
	s_xor_b32 s60, exec_lo, s60
; %bb.967:                              ;   in Loop: Header=BB10_714 Depth=4
	v_bfe_u32 v11, v66, 16, 1
	s_delay_alu instid0(VALU_DEP_1)
	v_add3_u32 v11, v66, v11, 0x7fff
                                        ; implicit-def: $vgpr66
; %bb.968:                              ;   in Loop: Header=BB10_714 Depth=4
	s_and_not1_saveexec_b32 s60, s60
	s_cbranch_execz .LBB10_713
; %bb.969:                              ;   in Loop: Header=BB10_714 Depth=4
	v_and_b32_e32 v11, 0xffff, v66
	v_or_b32_e32 v67, 0x10000, v66
	s_delay_alu instid0(VALU_DEP_2) | instskip(NEXT) | instid1(VALU_DEP_2)
	v_cmp_eq_u32_e32 vcc_lo, 0, v11
	v_cndmask_b32_e32 v11, v67, v66, vcc_lo
	s_branch .LBB10_713
.LBB10_970:                             ;   in Loop: Header=BB10_632 Depth=3
	s_or_b32 exec_lo, exec_lo, s41
.LBB10_971:                             ;   in Loop: Header=BB10_632 Depth=3
	s_delay_alu instid0(SALU_CYCLE_1) | instskip(SKIP_3) | instid1(VALU_DEP_1)
	s_or_b32 exec_lo, exec_lo, s13
	v_dual_lshlrev_b32 v4, 11, v75 :: v_dual_mov_b32 v14, 0
	s_mov_b32 s60, 0
	s_mov_b32 s41, exec_lo
                                        ; implicit-def: $vgpr15
	v_cmpx_ne_u32_e64 v43, v4
	s_cbranch_execz .LBB10_1041
; %bb.972:                              ;   in Loop: Header=BB10_632 Depth=3
	v_dual_lshlrev_b32 v1, 5, v45 :: v_dual_bitop2_b32 v5, 31, v0 bitop3:0x40
	s_mov_b32 s60, exec_lo
	s_delay_alu instid0(VALU_DEP_1) | instskip(NEXT) | instid1(VALU_DEP_1)
	v_dual_sub_nc_u32 v8, v43, v4 :: v_dual_sub_nc_u32 v1, v5, v1
	v_dual_ashrrev_i32 v9, 31, v8 :: v_dual_ashrrev_i32 v5, 31, v1
	s_delay_alu instid0(VALU_DEP_1) | instskip(NEXT) | instid1(VALU_DEP_1)
	v_lshrrev_b32_e32 v5, 27, v5
	v_add_nc_u32_e32 v10, v1, v5
	s_delay_alu instid0(VALU_DEP_3) | instskip(NEXT) | instid1(VALU_DEP_1)
	v_lshrrev_b32_e32 v5, 23, v9
	v_add_nc_u32_e32 v11, v8, v5
	s_delay_alu instid0(VALU_DEP_3) | instskip(NEXT) | instid1(VALU_DEP_2)
	v_and_b32_e32 v9, 0xffffffe0, v10
	v_and_b32_e32 v18, 0xfffffe00, v11
	s_delay_alu instid0(VALU_DEP_2) | instskip(NEXT) | instid1(VALU_DEP_2)
	v_dual_sub_nc_u32 v5, v1, v9 :: v_dual_ashrrev_i32 v9, 5, v10
	v_dual_ashrrev_i32 v10, 9, v11 :: v_dual_sub_nc_u32 v19, v8, v18
	s_delay_alu instid0(VALU_DEP_2) | instskip(NEXT) | instid1(VALU_DEP_2)
	v_lshlrev_b32_e32 v1, 4, v5
	v_cmp_lt_i32_e32 vcc_lo, 15, v19
	s_delay_alu instid0(VALU_DEP_2) | instskip(NEXT) | instid1(VALU_DEP_4)
	v_lshl_add_u32 v1, v9, 9, v1
	v_add_co_ci_u32_e64 v10, null, 0, v10, vcc_lo
	s_delay_alu instid0(VALU_DEP_2) | instskip(NEXT) | instid1(VALU_DEP_2)
	v_sub_nc_u32_e32 v21, v8, v1
	v_sub_nc_u32_e32 v20, v10, v9
	s_delay_alu instid0(VALU_DEP_2)
	v_cmpx_lt_i32_e32 15, v21
	s_cbranch_execz .LBB10_1040
; %bb.973:                              ;   in Loop: Header=BB10_632 Depth=3
	s_trap 2
	ds_load_b64 v[8:9], v0
	ds_load_b32 v22, v0
	v_add_nc_u32_e32 v10, v1, v4
	s_mov_b32 s61, 0
	s_wait_dscnt 0x0
	v_lshlrev_b32_e32 v22, 16, v22
	s_delay_alu instid0(VALU_DEP_2) | instskip(NEXT) | instid1(VALU_DEP_1)
	v_ashrrev_i32_e32 v11, 31, v10
	v_add_nc_u64_e32 v[12:13], v[10:11], v[56:57]
	v_add_nc_u64_e32 v[14:15], v[8:9], v[10:11]
	v_add_nc_u64_e32 v[16:17], v[10:11], v[58:59]
	s_branch .LBB10_975
.LBB10_974:                             ;   in Loop: Header=BB10_975 Depth=4
	s_or_b32 exec_lo, exec_lo, s62
	v_dual_lshrrev_b32 v11, 16, v28 :: v_dual_lshrrev_b32 v23, 16, v23
	v_dual_lshrrev_b32 v25, 16, v26 :: v_dual_lshrrev_b32 v24, 16, v24
	v_dual_sub_nc_u32 v21, v21, v70 :: v_dual_sub_nc_u32 v20, v20, v52
	s_delay_alu instid0(VALU_DEP_3) | instskip(NEXT) | instid1(VALU_DEP_4)
	v_and_or_b32 v9, 0xffff0000, v9, v11
	v_and_or_b32 v8, 0xffff0000, v8, v23
	s_delay_alu instid0(VALU_DEP_4)
	v_and_or_b32 v10, 0xffff0000, v10, v25
	v_and_or_b32 v11, 0xffff0000, v1, v24
	v_add_nc_u64_e32 v[12:13], v[12:13], v[70:71]
	v_add_nc_u64_e32 v[14:15], v[14:15], v[70:71]
	v_cmp_gt_i32_e64 s13, 16, v21
	global_store_b128 v[16:17], v[8:11], off th:TH_STORE_NT
	s_wait_xcnt 0x0
	v_add_nc_u64_e32 v[16:17], v[16:17], v[70:71]
	s_or_b32 s61, s13, s61
	s_delay_alu instid0(SALU_CYCLE_1)
	s_and_not1_b32 exec_lo, exec_lo, s61
	s_cbranch_execz .LBB10_1039
.LBB10_975:                             ;   Parent Loop BB10_47 Depth=1
                                        ;     Parent Loop BB10_629 Depth=2
                                        ;       Parent Loop BB10_632 Depth=3
                                        ; =>      This Inner Loop Header: Depth=4
	global_load_b128 v[8:11], v[12:13], off th:TH_LOAD_NT
	s_wait_loadcnt 0x0
	v_lshlrev_b32_e32 v1, 16, v8
	s_delay_alu instid0(VALU_DEP_1) | instskip(NEXT) | instid1(VALU_DEP_1)
	v_mul_f32_e32 v1, v22, v1
	v_and_b32_e32 v23, 0x7f800000, v1
	s_delay_alu instid0(VALU_DEP_1) | instskip(SKIP_2) | instid1(SALU_CYCLE_1)
	v_cmp_ne_u32_e64 s13, 0x7f800000, v23
                                        ; implicit-def: $vgpr23
	s_wait_xcnt 0x0
	s_and_saveexec_b32 s62, s13
	s_xor_b32 s13, exec_lo, s62
; %bb.976:                              ;   in Loop: Header=BB10_975 Depth=4
	v_bfe_u32 v23, v1, 16, 1
	s_delay_alu instid0(VALU_DEP_1)
	v_add3_u32 v23, v1, v23, 0x7fff
                                        ; implicit-def: $vgpr1
; %bb.977:                              ;   in Loop: Header=BB10_975 Depth=4
	s_and_not1_saveexec_b32 s62, s13
; %bb.978:                              ;   in Loop: Header=BB10_975 Depth=4
	v_and_b32_e32 v23, 0xffff, v1
	v_or_b32_e32 v24, 0x10000, v1
	s_delay_alu instid0(VALU_DEP_2) | instskip(NEXT) | instid1(VALU_DEP_1)
	v_cmp_eq_u32_e64 s13, 0, v23
	v_cndmask_b32_e64 v23, v24, v1, s13
; %bb.979:                              ;   in Loop: Header=BB10_975 Depth=4
	s_or_b32 exec_lo, exec_lo, s62
	v_and_b32_e32 v1, 0xffff0000, v8
                                        ; implicit-def: $vgpr29
	s_delay_alu instid0(VALU_DEP_1) | instskip(NEXT) | instid1(VALU_DEP_1)
	v_mul_f32_e32 v1, v22, v1
	v_and_b32_e32 v8, 0x7f800000, v1
	s_delay_alu instid0(VALU_DEP_1) | instskip(SKIP_1) | instid1(SALU_CYCLE_1)
	v_cmp_ne_u32_e64 s13, 0x7f800000, v8
	s_and_saveexec_b32 s62, s13
	s_xor_b32 s13, exec_lo, s62
; %bb.980:                              ;   in Loop: Header=BB10_975 Depth=4
	v_bfe_u32 v8, v1, 16, 1
	s_delay_alu instid0(VALU_DEP_1)
	v_add3_u32 v29, v1, v8, 0x7fff
                                        ; implicit-def: $vgpr1
; %bb.981:                              ;   in Loop: Header=BB10_975 Depth=4
	s_and_not1_saveexec_b32 s62, s13
; %bb.982:                              ;   in Loop: Header=BB10_975 Depth=4
	v_and_b32_e32 v8, 0xffff, v1
	v_or_b32_e32 v24, 0x10000, v1
	s_delay_alu instid0(VALU_DEP_2) | instskip(NEXT) | instid1(VALU_DEP_1)
	v_cmp_eq_u32_e64 s13, 0, v8
	v_cndmask_b32_e64 v29, v24, v1, s13
; %bb.983:                              ;   in Loop: Header=BB10_975 Depth=4
	s_or_b32 exec_lo, exec_lo, s62
	v_lshlrev_b32_e32 v1, 16, v9
                                        ; implicit-def: $vgpr28
	s_delay_alu instid0(VALU_DEP_1) | instskip(NEXT) | instid1(VALU_DEP_1)
	v_mul_f32_e32 v1, v22, v1
	v_and_b32_e32 v8, 0x7f800000, v1
	s_delay_alu instid0(VALU_DEP_1) | instskip(SKIP_1) | instid1(SALU_CYCLE_1)
	v_cmp_ne_u32_e64 s13, 0x7f800000, v8
	s_and_saveexec_b32 s62, s13
	s_xor_b32 s13, exec_lo, s62
; %bb.984:                              ;   in Loop: Header=BB10_975 Depth=4
	v_bfe_u32 v8, v1, 16, 1
	s_delay_alu instid0(VALU_DEP_1)
	v_add3_u32 v28, v1, v8, 0x7fff
                                        ; implicit-def: $vgpr1
; %bb.985:                              ;   in Loop: Header=BB10_975 Depth=4
	s_and_not1_saveexec_b32 s62, s13
; %bb.986:                              ;   in Loop: Header=BB10_975 Depth=4
	v_and_b32_e32 v8, 0xffff, v1
	v_or_b32_e32 v24, 0x10000, v1
	s_delay_alu instid0(VALU_DEP_2) | instskip(NEXT) | instid1(VALU_DEP_1)
	v_cmp_eq_u32_e64 s13, 0, v8
	v_cndmask_b32_e64 v28, v24, v1, s13
; %bb.987:                              ;   in Loop: Header=BB10_975 Depth=4
	s_or_b32 exec_lo, exec_lo, s62
	v_and_b32_e32 v1, 0xffff0000, v9
                                        ; implicit-def: $vgpr27
	s_delay_alu instid0(VALU_DEP_1) | instskip(NEXT) | instid1(VALU_DEP_1)
	v_mul_f32_e32 v1, v22, v1
	v_and_b32_e32 v8, 0x7f800000, v1
	s_delay_alu instid0(VALU_DEP_1) | instskip(SKIP_1) | instid1(SALU_CYCLE_1)
	v_cmp_ne_u32_e64 s13, 0x7f800000, v8
	s_and_saveexec_b32 s62, s13
	s_xor_b32 s13, exec_lo, s62
; %bb.988:                              ;   in Loop: Header=BB10_975 Depth=4
	v_bfe_u32 v8, v1, 16, 1
	s_delay_alu instid0(VALU_DEP_1)
	v_add3_u32 v27, v1, v8, 0x7fff
                                        ; implicit-def: $vgpr1
; %bb.989:                              ;   in Loop: Header=BB10_975 Depth=4
	s_and_not1_saveexec_b32 s62, s13
; %bb.990:                              ;   in Loop: Header=BB10_975 Depth=4
	v_and_b32_e32 v8, 0xffff, v1
	v_or_b32_e32 v9, 0x10000, v1
	s_delay_alu instid0(VALU_DEP_2) | instskip(NEXT) | instid1(VALU_DEP_1)
	v_cmp_eq_u32_e64 s13, 0, v8
	v_cndmask_b32_e64 v27, v9, v1, s13
; %bb.991:                              ;   in Loop: Header=BB10_975 Depth=4
	s_or_b32 exec_lo, exec_lo, s62
	v_lshlrev_b32_e32 v1, 16, v10
                                        ; implicit-def: $vgpr26
	s_delay_alu instid0(VALU_DEP_1) | instskip(NEXT) | instid1(VALU_DEP_1)
	v_mul_f32_e32 v1, v22, v1
	v_and_b32_e32 v8, 0x7f800000, v1
	s_delay_alu instid0(VALU_DEP_1) | instskip(SKIP_1) | instid1(SALU_CYCLE_1)
	v_cmp_ne_u32_e64 s13, 0x7f800000, v8
	s_and_saveexec_b32 s62, s13
	s_xor_b32 s13, exec_lo, s62
; %bb.992:                              ;   in Loop: Header=BB10_975 Depth=4
	v_bfe_u32 v8, v1, 16, 1
	s_delay_alu instid0(VALU_DEP_1)
	v_add3_u32 v26, v1, v8, 0x7fff
                                        ; implicit-def: $vgpr1
; %bb.993:                              ;   in Loop: Header=BB10_975 Depth=4
	s_and_not1_saveexec_b32 s62, s13
; %bb.994:                              ;   in Loop: Header=BB10_975 Depth=4
	v_and_b32_e32 v8, 0xffff, v1
	v_or_b32_e32 v9, 0x10000, v1
	s_delay_alu instid0(VALU_DEP_2) | instskip(NEXT) | instid1(VALU_DEP_1)
	v_cmp_eq_u32_e64 s13, 0, v8
	v_cndmask_b32_e64 v26, v9, v1, s13
; %bb.995:                              ;   in Loop: Header=BB10_975 Depth=4
	s_or_b32 exec_lo, exec_lo, s62
	v_and_b32_e32 v1, 0xffff0000, v10
                                        ; implicit-def: $vgpr25
	s_delay_alu instid0(VALU_DEP_1) | instskip(NEXT) | instid1(VALU_DEP_1)
	v_mul_f32_e32 v1, v22, v1
	v_and_b32_e32 v8, 0x7f800000, v1
	s_delay_alu instid0(VALU_DEP_1) | instskip(SKIP_1) | instid1(SALU_CYCLE_1)
	v_cmp_ne_u32_e64 s13, 0x7f800000, v8
	s_and_saveexec_b32 s62, s13
	s_xor_b32 s13, exec_lo, s62
; %bb.996:                              ;   in Loop: Header=BB10_975 Depth=4
	v_bfe_u32 v8, v1, 16, 1
	s_delay_alu instid0(VALU_DEP_1)
	v_add3_u32 v25, v1, v8, 0x7fff
                                        ; implicit-def: $vgpr1
; %bb.997:                              ;   in Loop: Header=BB10_975 Depth=4
	s_and_not1_saveexec_b32 s62, s13
; %bb.998:                              ;   in Loop: Header=BB10_975 Depth=4
	v_and_b32_e32 v8, 0xffff, v1
	v_or_b32_e32 v9, 0x10000, v1
	s_delay_alu instid0(VALU_DEP_2) | instskip(NEXT) | instid1(VALU_DEP_1)
	v_cmp_eq_u32_e64 s13, 0, v8
	v_cndmask_b32_e64 v25, v9, v1, s13
; %bb.999:                              ;   in Loop: Header=BB10_975 Depth=4
	s_or_b32 exec_lo, exec_lo, s62
	v_lshlrev_b32_e32 v1, 16, v11
                                        ; implicit-def: $vgpr24
	s_delay_alu instid0(VALU_DEP_1) | instskip(NEXT) | instid1(VALU_DEP_1)
	v_mul_f32_e32 v1, v22, v1
	v_and_b32_e32 v8, 0x7f800000, v1
	s_delay_alu instid0(VALU_DEP_1) | instskip(SKIP_1) | instid1(SALU_CYCLE_1)
	v_cmp_ne_u32_e64 s13, 0x7f800000, v8
	s_and_saveexec_b32 s62, s13
	s_xor_b32 s13, exec_lo, s62
; %bb.1000:                             ;   in Loop: Header=BB10_975 Depth=4
	v_bfe_u32 v8, v1, 16, 1
	s_delay_alu instid0(VALU_DEP_1)
	v_add3_u32 v24, v1, v8, 0x7fff
                                        ; implicit-def: $vgpr1
; %bb.1001:                             ;   in Loop: Header=BB10_975 Depth=4
	s_and_not1_saveexec_b32 s62, s13
; %bb.1002:                             ;   in Loop: Header=BB10_975 Depth=4
	v_and_b32_e32 v8, 0xffff, v1
	v_or_b32_e32 v9, 0x10000, v1
	s_delay_alu instid0(VALU_DEP_2) | instskip(NEXT) | instid1(VALU_DEP_1)
	v_cmp_eq_u32_e64 s13, 0, v8
	v_cndmask_b32_e64 v24, v9, v1, s13
; %bb.1003:                             ;   in Loop: Header=BB10_975 Depth=4
	s_or_b32 exec_lo, exec_lo, s62
	v_and_b32_e32 v1, 0xffff0000, v11
	s_delay_alu instid0(VALU_DEP_1) | instskip(NEXT) | instid1(VALU_DEP_1)
	v_mul_f32_e32 v8, v22, v1
	v_and_b32_e32 v1, 0x7f800000, v8
	s_delay_alu instid0(VALU_DEP_1) | instskip(SKIP_1) | instid1(SALU_CYCLE_1)
	v_cmp_ne_u32_e64 s13, 0x7f800000, v1
                                        ; implicit-def: $vgpr1
	s_and_saveexec_b32 s62, s13
	s_xor_b32 s13, exec_lo, s62
; %bb.1004:                             ;   in Loop: Header=BB10_975 Depth=4
	v_bfe_u32 v1, v8, 16, 1
	s_delay_alu instid0(VALU_DEP_1)
	v_add3_u32 v1, v8, v1, 0x7fff
                                        ; implicit-def: $vgpr8
; %bb.1005:                             ;   in Loop: Header=BB10_975 Depth=4
	s_and_not1_saveexec_b32 s62, s13
; %bb.1006:                             ;   in Loop: Header=BB10_975 Depth=4
	v_and_b32_e32 v1, 0xffff, v8
	v_or_b32_e32 v9, 0x10000, v8
	s_delay_alu instid0(VALU_DEP_2) | instskip(NEXT) | instid1(VALU_DEP_1)
	v_cmp_eq_u32_e64 s13, 0, v1
	v_cndmask_b32_e64 v1, v9, v8, s13
; %bb.1007:                             ;   in Loop: Header=BB10_975 Depth=4
	s_or_b32 exec_lo, exec_lo, s62
	global_load_b128 v[8:11], v[14:15], off th:TH_LOAD_NT
	v_and_b32_e32 v23, 0xffff0000, v23
	s_wait_loadcnt 0x0
	v_lshlrev_b32_e32 v31, 16, v8
	s_delay_alu instid0(VALU_DEP_1) | instskip(NEXT) | instid1(VALU_DEP_1)
	v_add_f32_e32 v31, v23, v31
	v_and_b32_e32 v23, 0x7f800000, v31
	s_delay_alu instid0(VALU_DEP_1) | instskip(SKIP_2) | instid1(SALU_CYCLE_1)
	v_cmp_ne_u32_e64 s13, 0x7f800000, v23
                                        ; implicit-def: $vgpr23
	s_wait_xcnt 0x0
	s_and_saveexec_b32 s62, s13
	s_xor_b32 s13, exec_lo, s62
; %bb.1008:                             ;   in Loop: Header=BB10_975 Depth=4
	v_bfe_u32 v23, v31, 16, 1
	s_delay_alu instid0(VALU_DEP_1)
	v_add3_u32 v23, v31, v23, 0x7fff
                                        ; implicit-def: $vgpr31
; %bb.1009:                             ;   in Loop: Header=BB10_975 Depth=4
	s_and_not1_saveexec_b32 s62, s13
; %bb.1010:                             ;   in Loop: Header=BB10_975 Depth=4
	v_and_b32_e32 v23, 0xffff, v31
	v_or_b32_e32 v54, 0x10000, v31
	s_delay_alu instid0(VALU_DEP_2) | instskip(NEXT) | instid1(VALU_DEP_1)
	v_cmp_eq_u32_e64 s13, 0, v23
	v_cndmask_b32_e64 v23, v54, v31, s13
; %bb.1011:                             ;   in Loop: Header=BB10_975 Depth=4
	s_or_b32 exec_lo, exec_lo, s62
	v_and_b32_e32 v29, 0xffff0000, v29
	v_and_b32_e32 v8, 0xffff0000, v8
	s_delay_alu instid0(VALU_DEP_1) | instskip(NEXT) | instid1(VALU_DEP_1)
	v_add_f32_e32 v29, v29, v8
	v_and_b32_e32 v8, 0x7f800000, v29
	s_delay_alu instid0(VALU_DEP_1) | instskip(SKIP_1) | instid1(SALU_CYCLE_1)
	v_cmp_ne_u32_e64 s13, 0x7f800000, v8
                                        ; implicit-def: $vgpr8
	s_and_saveexec_b32 s62, s13
	s_xor_b32 s13, exec_lo, s62
; %bb.1012:                             ;   in Loop: Header=BB10_975 Depth=4
	v_bfe_u32 v8, v29, 16, 1
	s_delay_alu instid0(VALU_DEP_1)
	v_add3_u32 v8, v29, v8, 0x7fff
                                        ; implicit-def: $vgpr29
; %bb.1013:                             ;   in Loop: Header=BB10_975 Depth=4
	s_and_not1_saveexec_b32 s62, s13
; %bb.1014:                             ;   in Loop: Header=BB10_975 Depth=4
	v_and_b32_e32 v8, 0xffff, v29
	v_or_b32_e32 v31, 0x10000, v29
	s_delay_alu instid0(VALU_DEP_2) | instskip(NEXT) | instid1(VALU_DEP_1)
	v_cmp_eq_u32_e64 s13, 0, v8
	v_cndmask_b32_e64 v8, v31, v29, s13
; %bb.1015:                             ;   in Loop: Header=BB10_975 Depth=4
	s_or_b32 exec_lo, exec_lo, s62
	v_and_b32_e32 v28, 0xffff0000, v28
	v_lshlrev_b32_e32 v29, 16, v9
	s_delay_alu instid0(VALU_DEP_1) | instskip(NEXT) | instid1(VALU_DEP_1)
	v_add_f32_e32 v29, v28, v29
	v_and_b32_e32 v28, 0x7f800000, v29
	s_delay_alu instid0(VALU_DEP_1) | instskip(SKIP_1) | instid1(SALU_CYCLE_1)
	v_cmp_ne_u32_e64 s13, 0x7f800000, v28
                                        ; implicit-def: $vgpr28
	s_and_saveexec_b32 s62, s13
	s_xor_b32 s13, exec_lo, s62
; %bb.1016:                             ;   in Loop: Header=BB10_975 Depth=4
	v_bfe_u32 v28, v29, 16, 1
	s_delay_alu instid0(VALU_DEP_1)
	v_add3_u32 v28, v29, v28, 0x7fff
                                        ; implicit-def: $vgpr29
; %bb.1017:                             ;   in Loop: Header=BB10_975 Depth=4
	s_and_not1_saveexec_b32 s62, s13
; %bb.1018:                             ;   in Loop: Header=BB10_975 Depth=4
	v_and_b32_e32 v28, 0xffff, v29
	v_or_b32_e32 v31, 0x10000, v29
	s_delay_alu instid0(VALU_DEP_2) | instskip(NEXT) | instid1(VALU_DEP_1)
	v_cmp_eq_u32_e64 s13, 0, v28
	v_cndmask_b32_e64 v28, v31, v29, s13
; %bb.1019:                             ;   in Loop: Header=BB10_975 Depth=4
	s_or_b32 exec_lo, exec_lo, s62
	v_and_b32_e32 v27, 0xffff0000, v27
	v_and_b32_e32 v9, 0xffff0000, v9
	s_delay_alu instid0(VALU_DEP_1) | instskip(NEXT) | instid1(VALU_DEP_1)
	v_add_f32_e32 v27, v27, v9
	v_and_b32_e32 v9, 0x7f800000, v27
	s_delay_alu instid0(VALU_DEP_1) | instskip(SKIP_1) | instid1(SALU_CYCLE_1)
	v_cmp_ne_u32_e64 s13, 0x7f800000, v9
                                        ; implicit-def: $vgpr9
	s_and_saveexec_b32 s62, s13
	s_xor_b32 s13, exec_lo, s62
; %bb.1020:                             ;   in Loop: Header=BB10_975 Depth=4
	v_bfe_u32 v9, v27, 16, 1
	s_delay_alu instid0(VALU_DEP_1)
	v_add3_u32 v9, v27, v9, 0x7fff
                                        ; implicit-def: $vgpr27
; %bb.1021:                             ;   in Loop: Header=BB10_975 Depth=4
	s_and_not1_saveexec_b32 s62, s13
; %bb.1022:                             ;   in Loop: Header=BB10_975 Depth=4
	v_and_b32_e32 v9, 0xffff, v27
	v_or_b32_e32 v29, 0x10000, v27
	s_delay_alu instid0(VALU_DEP_2) | instskip(NEXT) | instid1(VALU_DEP_1)
	v_cmp_eq_u32_e64 s13, 0, v9
	v_cndmask_b32_e64 v9, v29, v27, s13
; %bb.1023:                             ;   in Loop: Header=BB10_975 Depth=4
	s_or_b32 exec_lo, exec_lo, s62
	v_and_b32_e32 v26, 0xffff0000, v26
	v_lshlrev_b32_e32 v27, 16, v10
	s_delay_alu instid0(VALU_DEP_1) | instskip(NEXT) | instid1(VALU_DEP_1)
	v_add_f32_e32 v27, v26, v27
	v_and_b32_e32 v26, 0x7f800000, v27
	s_delay_alu instid0(VALU_DEP_1) | instskip(SKIP_1) | instid1(SALU_CYCLE_1)
	v_cmp_ne_u32_e64 s13, 0x7f800000, v26
                                        ; implicit-def: $vgpr26
	s_and_saveexec_b32 s62, s13
	s_xor_b32 s13, exec_lo, s62
; %bb.1024:                             ;   in Loop: Header=BB10_975 Depth=4
	v_bfe_u32 v26, v27, 16, 1
	s_delay_alu instid0(VALU_DEP_1)
	v_add3_u32 v26, v27, v26, 0x7fff
                                        ; implicit-def: $vgpr27
; %bb.1025:                             ;   in Loop: Header=BB10_975 Depth=4
	s_and_not1_saveexec_b32 s62, s13
; %bb.1026:                             ;   in Loop: Header=BB10_975 Depth=4
	v_and_b32_e32 v26, 0xffff, v27
	v_or_b32_e32 v29, 0x10000, v27
	s_delay_alu instid0(VALU_DEP_2) | instskip(NEXT) | instid1(VALU_DEP_1)
	v_cmp_eq_u32_e64 s13, 0, v26
	v_cndmask_b32_e64 v26, v29, v27, s13
; %bb.1027:                             ;   in Loop: Header=BB10_975 Depth=4
	s_or_b32 exec_lo, exec_lo, s62
	v_and_b32_e32 v25, 0xffff0000, v25
	v_and_b32_e32 v10, 0xffff0000, v10
	s_delay_alu instid0(VALU_DEP_1) | instskip(NEXT) | instid1(VALU_DEP_1)
	v_add_f32_e32 v25, v25, v10
	v_and_b32_e32 v10, 0x7f800000, v25
	s_delay_alu instid0(VALU_DEP_1) | instskip(SKIP_1) | instid1(SALU_CYCLE_1)
	v_cmp_ne_u32_e64 s13, 0x7f800000, v10
                                        ; implicit-def: $vgpr10
	s_and_saveexec_b32 s62, s13
	s_xor_b32 s13, exec_lo, s62
; %bb.1028:                             ;   in Loop: Header=BB10_975 Depth=4
	v_bfe_u32 v10, v25, 16, 1
	s_delay_alu instid0(VALU_DEP_1)
	v_add3_u32 v10, v25, v10, 0x7fff
                                        ; implicit-def: $vgpr25
; %bb.1029:                             ;   in Loop: Header=BB10_975 Depth=4
	s_and_not1_saveexec_b32 s62, s13
; %bb.1030:                             ;   in Loop: Header=BB10_975 Depth=4
	v_and_b32_e32 v10, 0xffff, v25
	v_or_b32_e32 v27, 0x10000, v25
	s_delay_alu instid0(VALU_DEP_2) | instskip(NEXT) | instid1(VALU_DEP_1)
	v_cmp_eq_u32_e64 s13, 0, v10
	v_cndmask_b32_e64 v10, v27, v25, s13
; %bb.1031:                             ;   in Loop: Header=BB10_975 Depth=4
	s_or_b32 exec_lo, exec_lo, s62
	v_and_b32_e32 v24, 0xffff0000, v24
	v_lshlrev_b32_e32 v25, 16, v11
	s_delay_alu instid0(VALU_DEP_1) | instskip(NEXT) | instid1(VALU_DEP_1)
	v_add_f32_e32 v25, v24, v25
	v_and_b32_e32 v24, 0x7f800000, v25
	s_delay_alu instid0(VALU_DEP_1) | instskip(SKIP_1) | instid1(SALU_CYCLE_1)
	v_cmp_ne_u32_e64 s13, 0x7f800000, v24
                                        ; implicit-def: $vgpr24
	s_and_saveexec_b32 s62, s13
	s_xor_b32 s13, exec_lo, s62
; %bb.1032:                             ;   in Loop: Header=BB10_975 Depth=4
	v_bfe_u32 v24, v25, 16, 1
	s_delay_alu instid0(VALU_DEP_1)
	v_add3_u32 v24, v25, v24, 0x7fff
                                        ; implicit-def: $vgpr25
; %bb.1033:                             ;   in Loop: Header=BB10_975 Depth=4
	s_and_not1_saveexec_b32 s62, s13
; %bb.1034:                             ;   in Loop: Header=BB10_975 Depth=4
	v_and_b32_e32 v24, 0xffff, v25
	v_or_b32_e32 v27, 0x10000, v25
	s_delay_alu instid0(VALU_DEP_2) | instskip(NEXT) | instid1(VALU_DEP_1)
	v_cmp_eq_u32_e64 s13, 0, v24
	v_cndmask_b32_e64 v24, v27, v25, s13
; %bb.1035:                             ;   in Loop: Header=BB10_975 Depth=4
	s_or_b32 exec_lo, exec_lo, s62
	v_and_b32_e32 v1, 0xffff0000, v1
	v_and_b32_e32 v11, 0xffff0000, v11
	s_delay_alu instid0(VALU_DEP_1) | instskip(NEXT) | instid1(VALU_DEP_1)
	v_add_f32_e32 v11, v1, v11
	v_and_b32_e32 v1, 0x7f800000, v11
	s_delay_alu instid0(VALU_DEP_1) | instskip(SKIP_1) | instid1(SALU_CYCLE_1)
	v_cmp_ne_u32_e64 s13, 0x7f800000, v1
                                        ; implicit-def: $vgpr1
	s_and_saveexec_b32 s62, s13
	s_xor_b32 s13, exec_lo, s62
; %bb.1036:                             ;   in Loop: Header=BB10_975 Depth=4
	v_bfe_u32 v1, v11, 16, 1
	s_delay_alu instid0(VALU_DEP_1)
	v_add3_u32 v1, v11, v1, 0x7fff
                                        ; implicit-def: $vgpr11
; %bb.1037:                             ;   in Loop: Header=BB10_975 Depth=4
	s_and_not1_saveexec_b32 s62, s13
	s_cbranch_execz .LBB10_974
; %bb.1038:                             ;   in Loop: Header=BB10_975 Depth=4
	v_and_b32_e32 v1, 0xffff, v11
	v_or_b32_e32 v25, 0x10000, v11
	s_delay_alu instid0(VALU_DEP_2) | instskip(NEXT) | instid1(VALU_DEP_1)
	v_cmp_eq_u32_e64 s13, 0, v1
	v_cndmask_b32_e64 v1, v25, v11, s13
	s_branch .LBB10_974
.LBB10_1039:                            ;   in Loop: Header=BB10_632 Depth=3
	s_or_b32 exec_lo, exec_lo, s61
.LBB10_1040:                            ;   in Loop: Header=BB10_632 Depth=3
	s_delay_alu instid0(SALU_CYCLE_1) | instskip(NEXT) | instid1(VALU_DEP_2)
	s_or_b32 exec_lo, exec_lo, s60
	v_cmp_lt_i32_e64 s13, 0, v20
	s_delay_alu instid0(VALU_DEP_1) | instskip(NEXT) | instid1(VALU_DEP_1)
	v_dual_cndmask_b32 v9, 0, v52, s13 :: v_dual_bitop2_b32 v1, 14, v43 bitop3:0x40
	v_dual_cndmask_b32 v43, v19, v1 :: v_dual_sub_nc_u32 v8, v19, v1
	s_delay_alu instid0(VALU_DEP_1) | instskip(NEXT) | instid1(VALU_DEP_3)
	v_cndmask_b32_e32 v1, 0, v8, vcc_lo
	v_sub_nc_u32_e32 v8, v9, v20
	s_delay_alu instid0(VALU_DEP_3) | instskip(NEXT) | instid1(VALU_DEP_3)
	v_cmp_ne_u32_e32 vcc_lo, 0, v43
	v_add3_u32 v14, v18, v4, v1
	s_delay_alu instid0(VALU_DEP_3)
	v_lshl_add_u32 v15, v8, 5, v5
	s_and_b32 s60, vcc_lo, exec_lo
.LBB10_1041:                            ;   in Loop: Header=BB10_632 Depth=3
	s_or_b32 exec_lo, exec_lo, s41
	s_and_saveexec_b32 s13, s60
	s_cbranch_execz .LBB10_1186
.LBB10_1042:                            ;   in Loop: Header=BB10_632 Depth=3
	v_ashrrev_i32_e32 v4, 31, v43
	v_ashrrev_i32_e32 v1, 31, v15
	s_mov_b32 s41, exec_lo
	s_delay_alu instid0(VALU_DEP_1) | instskip(NEXT) | instid1(VALU_DEP_1)
	v_dual_lshrrev_b32 v4, 22, v4 :: v_dual_lshrrev_b32 v1, 27, v1
	v_add_nc_u32_e32 v4, v43, v4
	s_delay_alu instid0(VALU_DEP_1) | instskip(NEXT) | instid1(VALU_DEP_1)
	v_dual_add_nc_u32 v1, v15, v1 :: v_dual_ashrrev_i32 v18, 10, v4
	v_ashrrev_i32_e32 v16, 5, v1
	s_delay_alu instid0(VALU_DEP_1) | instskip(NEXT) | instid1(VALU_DEP_1)
	v_sub_nc_u32_e32 v17, v18, v16
	v_cmpx_lt_i32_e32 0, v17
	s_cbranch_execz .LBB10_1174
; %bb.1043:                             ;   in Loop: Header=BB10_632 Depth=3
	v_and_b32_e32 v1, 0x7fffffe0, v1
	s_trap 2
	ds_load_b64 v[4:5], v0
	ds_load_b32 v19, v0
	v_add_nc_u64_e32 v[20:21], 0x3c0, v[58:59]
	v_dual_sub_nc_u32 v1, v15, v1 :: v_dual_lshlrev_b32 v8, 10, v16
	s_mov_b32 s60, 0
	s_delay_alu instid0(VALU_DEP_1) | instskip(NEXT) | instid1(VALU_DEP_1)
	v_lshlrev_b32_e32 v1, 1, v1
	v_add3_u32 v12, v1, v14, v8
	s_wait_dscnt 0x0
	s_delay_alu instid0(VALU_DEP_1) | instskip(NEXT) | instid1(VALU_DEP_1)
	v_dual_ashrrev_i32 v13, 31, v12 :: v_dual_lshlrev_b32 v19, 16, v19
	v_add_nc_u64_e32 v[8:9], v[12:13], v[56:57]
	v_add_nc_u64_e32 v[10:11], v[4:5], v[12:13]
	;; [unrolled: 1-line block ×3, first 2 shown]
	s_branch .LBB10_1045
.LBB10_1044:                            ;   in Loop: Header=BB10_1045 Depth=4
	s_or_b32 exec_lo, exec_lo, s61
	v_sub_nc_u32_e32 v17, v17, v52
	s_clause 0xf
	flat_store_d16_hi_b16 v[12:13], v4 offset:-960 th:TH_STORE_NT
	flat_store_d16_hi_b16 v[12:13], v5 offset:-896 th:TH_STORE_NT
	;; [unrolled: 1-line block ×15, first 2 shown]
	flat_store_d16_hi_b16 v[12:13], v31 th:TH_STORE_NT
	v_add_nc_u64_e32 v[8:9], v[8:9], v[80:81]
	v_add_nc_u64_e32 v[10:11], v[10:11], v[80:81]
	v_cmp_gt_i32_e32 vcc_lo, 1, v17
	s_wait_xcnt 0x0
	v_add_nc_u64_e32 v[12:13], v[12:13], v[80:81]
	s_or_b32 s60, vcc_lo, s60
	s_delay_alu instid0(SALU_CYCLE_1)
	s_and_not1_b32 exec_lo, exec_lo, s60
	s_cbranch_execz .LBB10_1173
.LBB10_1045:                            ;   Parent Loop BB10_47 Depth=1
                                        ;     Parent Loop BB10_629 Depth=2
                                        ;       Parent Loop BB10_632 Depth=3
                                        ; =>      This Inner Loop Header: Depth=4
	flat_load_u16 v1, v[8:9] th:TH_LOAD_NT
	s_wait_loadcnt_dscnt 0x0
	v_lshlrev_b32_e32 v1, 16, v1
	s_delay_alu instid0(VALU_DEP_1) | instskip(NEXT) | instid1(VALU_DEP_1)
	v_mul_f32_e32 v1, v19, v1
	v_and_b32_e32 v4, 0x7f800000, v1
	s_delay_alu instid0(VALU_DEP_1) | instskip(SKIP_2) | instid1(SALU_CYCLE_1)
	v_cmp_ne_u32_e32 vcc_lo, 0x7f800000, v4
                                        ; implicit-def: $vgpr4
	s_wait_xcnt 0x0
	s_and_saveexec_b32 s61, vcc_lo
	s_xor_b32 s61, exec_lo, s61
; %bb.1046:                             ;   in Loop: Header=BB10_1045 Depth=4
	v_bfe_u32 v4, v1, 16, 1
	s_delay_alu instid0(VALU_DEP_1)
	v_add3_u32 v4, v1, v4, 0x7fff
                                        ; implicit-def: $vgpr1
; %bb.1047:                             ;   in Loop: Header=BB10_1045 Depth=4
	s_and_not1_saveexec_b32 s61, s61
; %bb.1048:                             ;   in Loop: Header=BB10_1045 Depth=4
	v_and_b32_e32 v4, 0xffff, v1
	v_or_b32_e32 v5, 0x10000, v1
	s_delay_alu instid0(VALU_DEP_2) | instskip(NEXT) | instid1(VALU_DEP_2)
	v_cmp_eq_u32_e32 vcc_lo, 0, v4
	v_cndmask_b32_e32 v4, v5, v1, vcc_lo
; %bb.1049:                             ;   in Loop: Header=BB10_1045 Depth=4
	s_or_b32 exec_lo, exec_lo, s61
	flat_load_u16 v1, v[8:9] offset:64 th:TH_LOAD_NT
	s_wait_loadcnt_dscnt 0x0
	v_lshlrev_b32_e32 v1, 16, v1
	s_delay_alu instid0(VALU_DEP_1) | instskip(NEXT) | instid1(VALU_DEP_1)
	v_mul_f32_e32 v1, v19, v1
	v_and_b32_e32 v5, 0x7f800000, v1
	s_delay_alu instid0(VALU_DEP_1) | instskip(SKIP_2) | instid1(SALU_CYCLE_1)
	v_cmp_ne_u32_e32 vcc_lo, 0x7f800000, v5
                                        ; implicit-def: $vgpr5
	s_wait_xcnt 0x0
	s_and_saveexec_b32 s61, vcc_lo
	s_xor_b32 s61, exec_lo, s61
; %bb.1050:                             ;   in Loop: Header=BB10_1045 Depth=4
	v_bfe_u32 v5, v1, 16, 1
	s_delay_alu instid0(VALU_DEP_1)
	v_add3_u32 v5, v1, v5, 0x7fff
                                        ; implicit-def: $vgpr1
; %bb.1051:                             ;   in Loop: Header=BB10_1045 Depth=4
	s_and_not1_saveexec_b32 s61, s61
; %bb.1052:                             ;   in Loop: Header=BB10_1045 Depth=4
	v_and_b32_e32 v5, 0xffff, v1
	v_or_b32_e32 v20, 0x10000, v1
	s_delay_alu instid0(VALU_DEP_2) | instskip(NEXT) | instid1(VALU_DEP_2)
	v_cmp_eq_u32_e32 vcc_lo, 0, v5
	v_cndmask_b32_e32 v5, v20, v1, vcc_lo
; %bb.1053:                             ;   in Loop: Header=BB10_1045 Depth=4
	s_or_b32 exec_lo, exec_lo, s61
	flat_load_u16 v1, v[8:9] offset:128 th:TH_LOAD_NT
	s_wait_loadcnt_dscnt 0x0
	v_lshlrev_b32_e32 v1, 16, v1
	s_delay_alu instid0(VALU_DEP_1) | instskip(NEXT) | instid1(VALU_DEP_1)
	v_mul_f32_e32 v1, v19, v1
	v_and_b32_e32 v20, 0x7f800000, v1
	s_delay_alu instid0(VALU_DEP_1) | instskip(SKIP_2) | instid1(SALU_CYCLE_1)
	v_cmp_ne_u32_e32 vcc_lo, 0x7f800000, v20
                                        ; implicit-def: $vgpr20
	s_wait_xcnt 0x0
	s_and_saveexec_b32 s61, vcc_lo
	s_xor_b32 s61, exec_lo, s61
; %bb.1054:                             ;   in Loop: Header=BB10_1045 Depth=4
	v_bfe_u32 v20, v1, 16, 1
	s_delay_alu instid0(VALU_DEP_1)
	v_add3_u32 v20, v1, v20, 0x7fff
                                        ; implicit-def: $vgpr1
; %bb.1055:                             ;   in Loop: Header=BB10_1045 Depth=4
	s_and_not1_saveexec_b32 s61, s61
; %bb.1056:                             ;   in Loop: Header=BB10_1045 Depth=4
	v_and_b32_e32 v20, 0xffff, v1
	v_or_b32_e32 v21, 0x10000, v1
	s_delay_alu instid0(VALU_DEP_2) | instskip(NEXT) | instid1(VALU_DEP_2)
	v_cmp_eq_u32_e32 vcc_lo, 0, v20
	v_cndmask_b32_e32 v20, v21, v1, vcc_lo
; %bb.1057:                             ;   in Loop: Header=BB10_1045 Depth=4
	s_or_b32 exec_lo, exec_lo, s61
	flat_load_u16 v1, v[8:9] offset:192 th:TH_LOAD_NT
	s_wait_loadcnt_dscnt 0x0
	v_lshlrev_b32_e32 v1, 16, v1
	s_delay_alu instid0(VALU_DEP_1) | instskip(NEXT) | instid1(VALU_DEP_1)
	v_mul_f32_e32 v1, v19, v1
	v_and_b32_e32 v21, 0x7f800000, v1
	s_delay_alu instid0(VALU_DEP_1) | instskip(SKIP_2) | instid1(SALU_CYCLE_1)
	v_cmp_ne_u32_e32 vcc_lo, 0x7f800000, v21
                                        ; implicit-def: $vgpr21
	s_wait_xcnt 0x0
	s_and_saveexec_b32 s61, vcc_lo
	s_xor_b32 s61, exec_lo, s61
; %bb.1058:                             ;   in Loop: Header=BB10_1045 Depth=4
	v_bfe_u32 v21, v1, 16, 1
	s_delay_alu instid0(VALU_DEP_1)
	v_add3_u32 v21, v1, v21, 0x7fff
                                        ; implicit-def: $vgpr1
; %bb.1059:                             ;   in Loop: Header=BB10_1045 Depth=4
	s_and_not1_saveexec_b32 s61, s61
; %bb.1060:                             ;   in Loop: Header=BB10_1045 Depth=4
	v_and_b32_e32 v21, 0xffff, v1
	v_or_b32_e32 v22, 0x10000, v1
	s_delay_alu instid0(VALU_DEP_2) | instskip(NEXT) | instid1(VALU_DEP_2)
	v_cmp_eq_u32_e32 vcc_lo, 0, v21
	v_cndmask_b32_e32 v21, v22, v1, vcc_lo
; %bb.1061:                             ;   in Loop: Header=BB10_1045 Depth=4
	s_or_b32 exec_lo, exec_lo, s61
	flat_load_u16 v1, v[8:9] offset:256 th:TH_LOAD_NT
	s_wait_loadcnt_dscnt 0x0
	v_lshlrev_b32_e32 v1, 16, v1
	s_delay_alu instid0(VALU_DEP_1) | instskip(NEXT) | instid1(VALU_DEP_1)
	v_mul_f32_e32 v1, v19, v1
	v_and_b32_e32 v22, 0x7f800000, v1
	s_delay_alu instid0(VALU_DEP_1) | instskip(SKIP_2) | instid1(SALU_CYCLE_1)
	v_cmp_ne_u32_e32 vcc_lo, 0x7f800000, v22
                                        ; implicit-def: $vgpr22
	s_wait_xcnt 0x0
	s_and_saveexec_b32 s61, vcc_lo
	s_xor_b32 s61, exec_lo, s61
; %bb.1062:                             ;   in Loop: Header=BB10_1045 Depth=4
	v_bfe_u32 v22, v1, 16, 1
	s_delay_alu instid0(VALU_DEP_1)
	v_add3_u32 v22, v1, v22, 0x7fff
                                        ; implicit-def: $vgpr1
; %bb.1063:                             ;   in Loop: Header=BB10_1045 Depth=4
	s_and_not1_saveexec_b32 s61, s61
; %bb.1064:                             ;   in Loop: Header=BB10_1045 Depth=4
	v_and_b32_e32 v22, 0xffff, v1
	v_or_b32_e32 v23, 0x10000, v1
	s_delay_alu instid0(VALU_DEP_2) | instskip(NEXT) | instid1(VALU_DEP_2)
	v_cmp_eq_u32_e32 vcc_lo, 0, v22
	v_cndmask_b32_e32 v22, v23, v1, vcc_lo
; %bb.1065:                             ;   in Loop: Header=BB10_1045 Depth=4
	s_or_b32 exec_lo, exec_lo, s61
	flat_load_u16 v1, v[8:9] offset:320 th:TH_LOAD_NT
	s_wait_loadcnt_dscnt 0x0
	v_lshlrev_b32_e32 v1, 16, v1
	s_delay_alu instid0(VALU_DEP_1) | instskip(NEXT) | instid1(VALU_DEP_1)
	v_mul_f32_e32 v1, v19, v1
	v_and_b32_e32 v23, 0x7f800000, v1
	s_delay_alu instid0(VALU_DEP_1) | instskip(SKIP_2) | instid1(SALU_CYCLE_1)
	v_cmp_ne_u32_e32 vcc_lo, 0x7f800000, v23
                                        ; implicit-def: $vgpr23
	s_wait_xcnt 0x0
	s_and_saveexec_b32 s61, vcc_lo
	s_xor_b32 s61, exec_lo, s61
; %bb.1066:                             ;   in Loop: Header=BB10_1045 Depth=4
	v_bfe_u32 v23, v1, 16, 1
	s_delay_alu instid0(VALU_DEP_1)
	v_add3_u32 v23, v1, v23, 0x7fff
                                        ; implicit-def: $vgpr1
; %bb.1067:                             ;   in Loop: Header=BB10_1045 Depth=4
	s_and_not1_saveexec_b32 s61, s61
; %bb.1068:                             ;   in Loop: Header=BB10_1045 Depth=4
	v_and_b32_e32 v23, 0xffff, v1
	v_or_b32_e32 v24, 0x10000, v1
	s_delay_alu instid0(VALU_DEP_2) | instskip(NEXT) | instid1(VALU_DEP_2)
	v_cmp_eq_u32_e32 vcc_lo, 0, v23
	v_cndmask_b32_e32 v23, v24, v1, vcc_lo
; %bb.1069:                             ;   in Loop: Header=BB10_1045 Depth=4
	s_or_b32 exec_lo, exec_lo, s61
	flat_load_u16 v1, v[8:9] offset:384 th:TH_LOAD_NT
	s_wait_loadcnt_dscnt 0x0
	v_lshlrev_b32_e32 v1, 16, v1
	s_delay_alu instid0(VALU_DEP_1) | instskip(NEXT) | instid1(VALU_DEP_1)
	v_mul_f32_e32 v1, v19, v1
	v_and_b32_e32 v24, 0x7f800000, v1
	s_delay_alu instid0(VALU_DEP_1) | instskip(SKIP_2) | instid1(SALU_CYCLE_1)
	v_cmp_ne_u32_e32 vcc_lo, 0x7f800000, v24
                                        ; implicit-def: $vgpr24
	s_wait_xcnt 0x0
	s_and_saveexec_b32 s61, vcc_lo
	s_xor_b32 s61, exec_lo, s61
; %bb.1070:                             ;   in Loop: Header=BB10_1045 Depth=4
	v_bfe_u32 v24, v1, 16, 1
	s_delay_alu instid0(VALU_DEP_1)
	v_add3_u32 v24, v1, v24, 0x7fff
                                        ; implicit-def: $vgpr1
; %bb.1071:                             ;   in Loop: Header=BB10_1045 Depth=4
	s_and_not1_saveexec_b32 s61, s61
; %bb.1072:                             ;   in Loop: Header=BB10_1045 Depth=4
	v_and_b32_e32 v24, 0xffff, v1
	v_or_b32_e32 v25, 0x10000, v1
	s_delay_alu instid0(VALU_DEP_2) | instskip(NEXT) | instid1(VALU_DEP_2)
	v_cmp_eq_u32_e32 vcc_lo, 0, v24
	v_cndmask_b32_e32 v24, v25, v1, vcc_lo
; %bb.1073:                             ;   in Loop: Header=BB10_1045 Depth=4
	s_or_b32 exec_lo, exec_lo, s61
	flat_load_u16 v1, v[8:9] offset:448 th:TH_LOAD_NT
	s_wait_loadcnt_dscnt 0x0
	v_lshlrev_b32_e32 v1, 16, v1
	s_delay_alu instid0(VALU_DEP_1) | instskip(NEXT) | instid1(VALU_DEP_1)
	v_mul_f32_e32 v1, v19, v1
	v_and_b32_e32 v25, 0x7f800000, v1
	s_delay_alu instid0(VALU_DEP_1) | instskip(SKIP_2) | instid1(SALU_CYCLE_1)
	v_cmp_ne_u32_e32 vcc_lo, 0x7f800000, v25
                                        ; implicit-def: $vgpr25
	s_wait_xcnt 0x0
	s_and_saveexec_b32 s61, vcc_lo
	s_xor_b32 s61, exec_lo, s61
; %bb.1074:                             ;   in Loop: Header=BB10_1045 Depth=4
	v_bfe_u32 v25, v1, 16, 1
	s_delay_alu instid0(VALU_DEP_1)
	v_add3_u32 v25, v1, v25, 0x7fff
                                        ; implicit-def: $vgpr1
; %bb.1075:                             ;   in Loop: Header=BB10_1045 Depth=4
	s_and_not1_saveexec_b32 s61, s61
; %bb.1076:                             ;   in Loop: Header=BB10_1045 Depth=4
	v_and_b32_e32 v25, 0xffff, v1
	v_or_b32_e32 v26, 0x10000, v1
	s_delay_alu instid0(VALU_DEP_2) | instskip(NEXT) | instid1(VALU_DEP_2)
	v_cmp_eq_u32_e32 vcc_lo, 0, v25
	v_cndmask_b32_e32 v25, v26, v1, vcc_lo
; %bb.1077:                             ;   in Loop: Header=BB10_1045 Depth=4
	s_or_b32 exec_lo, exec_lo, s61
	flat_load_u16 v1, v[8:9] offset:512 th:TH_LOAD_NT
	s_wait_loadcnt_dscnt 0x0
	v_lshlrev_b32_e32 v1, 16, v1
	s_delay_alu instid0(VALU_DEP_1) | instskip(NEXT) | instid1(VALU_DEP_1)
	v_mul_f32_e32 v1, v19, v1
	v_and_b32_e32 v26, 0x7f800000, v1
	s_delay_alu instid0(VALU_DEP_1) | instskip(SKIP_2) | instid1(SALU_CYCLE_1)
	v_cmp_ne_u32_e32 vcc_lo, 0x7f800000, v26
                                        ; implicit-def: $vgpr26
	s_wait_xcnt 0x0
	s_and_saveexec_b32 s61, vcc_lo
	s_xor_b32 s61, exec_lo, s61
; %bb.1078:                             ;   in Loop: Header=BB10_1045 Depth=4
	v_bfe_u32 v26, v1, 16, 1
	s_delay_alu instid0(VALU_DEP_1)
	v_add3_u32 v26, v1, v26, 0x7fff
                                        ; implicit-def: $vgpr1
; %bb.1079:                             ;   in Loop: Header=BB10_1045 Depth=4
	s_and_not1_saveexec_b32 s61, s61
; %bb.1080:                             ;   in Loop: Header=BB10_1045 Depth=4
	v_and_b32_e32 v26, 0xffff, v1
	v_or_b32_e32 v27, 0x10000, v1
	s_delay_alu instid0(VALU_DEP_2) | instskip(NEXT) | instid1(VALU_DEP_2)
	v_cmp_eq_u32_e32 vcc_lo, 0, v26
	v_cndmask_b32_e32 v26, v27, v1, vcc_lo
; %bb.1081:                             ;   in Loop: Header=BB10_1045 Depth=4
	s_or_b32 exec_lo, exec_lo, s61
	flat_load_u16 v1, v[8:9] offset:576 th:TH_LOAD_NT
	s_wait_loadcnt_dscnt 0x0
	v_lshlrev_b32_e32 v1, 16, v1
	s_delay_alu instid0(VALU_DEP_1) | instskip(NEXT) | instid1(VALU_DEP_1)
	v_mul_f32_e32 v1, v19, v1
	v_and_b32_e32 v27, 0x7f800000, v1
	s_delay_alu instid0(VALU_DEP_1) | instskip(SKIP_2) | instid1(SALU_CYCLE_1)
	v_cmp_ne_u32_e32 vcc_lo, 0x7f800000, v27
                                        ; implicit-def: $vgpr27
	s_wait_xcnt 0x0
	s_and_saveexec_b32 s61, vcc_lo
	s_xor_b32 s61, exec_lo, s61
; %bb.1082:                             ;   in Loop: Header=BB10_1045 Depth=4
	v_bfe_u32 v27, v1, 16, 1
	s_delay_alu instid0(VALU_DEP_1)
	v_add3_u32 v27, v1, v27, 0x7fff
                                        ; implicit-def: $vgpr1
; %bb.1083:                             ;   in Loop: Header=BB10_1045 Depth=4
	s_and_not1_saveexec_b32 s61, s61
; %bb.1084:                             ;   in Loop: Header=BB10_1045 Depth=4
	v_and_b32_e32 v27, 0xffff, v1
	v_or_b32_e32 v28, 0x10000, v1
	s_delay_alu instid0(VALU_DEP_2) | instskip(NEXT) | instid1(VALU_DEP_2)
	v_cmp_eq_u32_e32 vcc_lo, 0, v27
	v_cndmask_b32_e32 v27, v28, v1, vcc_lo
; %bb.1085:                             ;   in Loop: Header=BB10_1045 Depth=4
	s_or_b32 exec_lo, exec_lo, s61
	flat_load_u16 v1, v[8:9] offset:640 th:TH_LOAD_NT
	s_wait_loadcnt_dscnt 0x0
	v_lshlrev_b32_e32 v1, 16, v1
	s_delay_alu instid0(VALU_DEP_1) | instskip(NEXT) | instid1(VALU_DEP_1)
	v_mul_f32_e32 v1, v19, v1
	v_and_b32_e32 v28, 0x7f800000, v1
	s_delay_alu instid0(VALU_DEP_1) | instskip(SKIP_2) | instid1(SALU_CYCLE_1)
	v_cmp_ne_u32_e32 vcc_lo, 0x7f800000, v28
                                        ; implicit-def: $vgpr28
	s_wait_xcnt 0x0
	s_and_saveexec_b32 s61, vcc_lo
	s_xor_b32 s61, exec_lo, s61
; %bb.1086:                             ;   in Loop: Header=BB10_1045 Depth=4
	v_bfe_u32 v28, v1, 16, 1
	s_delay_alu instid0(VALU_DEP_1)
	v_add3_u32 v28, v1, v28, 0x7fff
                                        ; implicit-def: $vgpr1
; %bb.1087:                             ;   in Loop: Header=BB10_1045 Depth=4
	s_and_not1_saveexec_b32 s61, s61
; %bb.1088:                             ;   in Loop: Header=BB10_1045 Depth=4
	v_and_b32_e32 v28, 0xffff, v1
	v_or_b32_e32 v29, 0x10000, v1
	s_delay_alu instid0(VALU_DEP_2) | instskip(NEXT) | instid1(VALU_DEP_2)
	v_cmp_eq_u32_e32 vcc_lo, 0, v28
	v_cndmask_b32_e32 v28, v29, v1, vcc_lo
; %bb.1089:                             ;   in Loop: Header=BB10_1045 Depth=4
	s_or_b32 exec_lo, exec_lo, s61
	flat_load_u16 v1, v[8:9] offset:704 th:TH_LOAD_NT
	s_wait_loadcnt_dscnt 0x0
	v_lshlrev_b32_e32 v1, 16, v1
	s_delay_alu instid0(VALU_DEP_1) | instskip(NEXT) | instid1(VALU_DEP_1)
	v_mul_f32_e32 v1, v19, v1
	v_and_b32_e32 v29, 0x7f800000, v1
	s_delay_alu instid0(VALU_DEP_1) | instskip(SKIP_2) | instid1(SALU_CYCLE_1)
	v_cmp_ne_u32_e32 vcc_lo, 0x7f800000, v29
                                        ; implicit-def: $vgpr29
	s_wait_xcnt 0x0
	s_and_saveexec_b32 s61, vcc_lo
	s_xor_b32 s61, exec_lo, s61
; %bb.1090:                             ;   in Loop: Header=BB10_1045 Depth=4
	v_bfe_u32 v29, v1, 16, 1
	s_delay_alu instid0(VALU_DEP_1)
	v_add3_u32 v29, v1, v29, 0x7fff
                                        ; implicit-def: $vgpr1
; %bb.1091:                             ;   in Loop: Header=BB10_1045 Depth=4
	s_and_not1_saveexec_b32 s61, s61
; %bb.1092:                             ;   in Loop: Header=BB10_1045 Depth=4
	v_and_b32_e32 v29, 0xffff, v1
	v_or_b32_e32 v31, 0x10000, v1
	s_delay_alu instid0(VALU_DEP_2) | instskip(NEXT) | instid1(VALU_DEP_2)
	v_cmp_eq_u32_e32 vcc_lo, 0, v29
	v_cndmask_b32_e32 v29, v31, v1, vcc_lo
; %bb.1093:                             ;   in Loop: Header=BB10_1045 Depth=4
	s_or_b32 exec_lo, exec_lo, s61
	flat_load_u16 v1, v[8:9] offset:768 th:TH_LOAD_NT
	s_mov_b32 s61, exec_lo
                                        ; implicit-def: $vgpr64
	s_wait_loadcnt_dscnt 0x0
	v_lshlrev_b32_e32 v1, 16, v1
	s_delay_alu instid0(VALU_DEP_1) | instskip(NEXT) | instid1(VALU_DEP_1)
	v_mul_f32_e32 v1, v19, v1
	v_and_b32_e32 v31, 0x7f800000, v1
	s_wait_xcnt 0x0
	s_delay_alu instid0(VALU_DEP_1)
	v_cmpx_ne_u32_e32 0x7f800000, v31
	s_xor_b32 s61, exec_lo, s61
; %bb.1094:                             ;   in Loop: Header=BB10_1045 Depth=4
	v_bfe_u32 v31, v1, 16, 1
	s_delay_alu instid0(VALU_DEP_1)
	v_add3_u32 v64, v1, v31, 0x7fff
                                        ; implicit-def: $vgpr1
; %bb.1095:                             ;   in Loop: Header=BB10_1045 Depth=4
	s_and_not1_saveexec_b32 s61, s61
; %bb.1096:                             ;   in Loop: Header=BB10_1045 Depth=4
	v_and_b32_e32 v31, 0xffff, v1
	v_or_b32_e32 v54, 0x10000, v1
	s_delay_alu instid0(VALU_DEP_2) | instskip(NEXT) | instid1(VALU_DEP_2)
	v_cmp_eq_u32_e32 vcc_lo, 0, v31
	v_cndmask_b32_e32 v64, v54, v1, vcc_lo
; %bb.1097:                             ;   in Loop: Header=BB10_1045 Depth=4
	s_or_b32 exec_lo, exec_lo, s61
	flat_load_u16 v1, v[8:9] offset:832 th:TH_LOAD_NT
	s_mov_b32 s61, exec_lo
                                        ; implicit-def: $vgpr65
	s_wait_loadcnt_dscnt 0x0
	v_lshlrev_b32_e32 v1, 16, v1
	s_delay_alu instid0(VALU_DEP_1) | instskip(NEXT) | instid1(VALU_DEP_1)
	v_mul_f32_e32 v1, v19, v1
	v_and_b32_e32 v31, 0x7f800000, v1
	s_wait_xcnt 0x0
	s_delay_alu instid0(VALU_DEP_1)
	v_cmpx_ne_u32_e32 0x7f800000, v31
	s_xor_b32 s61, exec_lo, s61
; %bb.1098:                             ;   in Loop: Header=BB10_1045 Depth=4
	v_bfe_u32 v31, v1, 16, 1
	s_delay_alu instid0(VALU_DEP_1)
	v_add3_u32 v65, v1, v31, 0x7fff
                                        ; implicit-def: $vgpr1
; %bb.1099:                             ;   in Loop: Header=BB10_1045 Depth=4
	s_and_not1_saveexec_b32 s61, s61
; %bb.1100:                             ;   in Loop: Header=BB10_1045 Depth=4
	v_and_b32_e32 v31, 0xffff, v1
	v_or_b32_e32 v54, 0x10000, v1
	s_delay_alu instid0(VALU_DEP_2) | instskip(NEXT) | instid1(VALU_DEP_2)
	v_cmp_eq_u32_e32 vcc_lo, 0, v31
	v_cndmask_b32_e32 v65, v54, v1, vcc_lo
; %bb.1101:                             ;   in Loop: Header=BB10_1045 Depth=4
	s_or_b32 exec_lo, exec_lo, s61
	flat_load_u16 v1, v[8:9] offset:896 th:TH_LOAD_NT
	s_mov_b32 s61, exec_lo
                                        ; implicit-def: $vgpr66
	s_wait_loadcnt_dscnt 0x0
	v_lshlrev_b32_e32 v1, 16, v1
	s_delay_alu instid0(VALU_DEP_1) | instskip(NEXT) | instid1(VALU_DEP_1)
	v_mul_f32_e32 v1, v19, v1
	v_and_b32_e32 v31, 0x7f800000, v1
	s_wait_xcnt 0x0
	s_delay_alu instid0(VALU_DEP_1)
	v_cmpx_ne_u32_e32 0x7f800000, v31
	s_xor_b32 s61, exec_lo, s61
; %bb.1102:                             ;   in Loop: Header=BB10_1045 Depth=4
	v_bfe_u32 v31, v1, 16, 1
	s_delay_alu instid0(VALU_DEP_1)
	v_add3_u32 v66, v1, v31, 0x7fff
                                        ; implicit-def: $vgpr1
; %bb.1103:                             ;   in Loop: Header=BB10_1045 Depth=4
	s_and_not1_saveexec_b32 s61, s61
; %bb.1104:                             ;   in Loop: Header=BB10_1045 Depth=4
	v_and_b32_e32 v31, 0xffff, v1
	v_or_b32_e32 v54, 0x10000, v1
	s_delay_alu instid0(VALU_DEP_2) | instskip(NEXT) | instid1(VALU_DEP_2)
	v_cmp_eq_u32_e32 vcc_lo, 0, v31
	v_cndmask_b32_e32 v66, v54, v1, vcc_lo
; %bb.1105:                             ;   in Loop: Header=BB10_1045 Depth=4
	s_or_b32 exec_lo, exec_lo, s61
	flat_load_u16 v1, v[8:9] offset:960 th:TH_LOAD_NT
	s_mov_b32 s61, exec_lo
                                        ; implicit-def: $vgpr67
	s_wait_loadcnt_dscnt 0x0
	v_lshlrev_b32_e32 v1, 16, v1
	s_delay_alu instid0(VALU_DEP_1) | instskip(NEXT) | instid1(VALU_DEP_1)
	v_mul_f32_e32 v1, v19, v1
	v_and_b32_e32 v31, 0x7f800000, v1
	s_wait_xcnt 0x0
	s_delay_alu instid0(VALU_DEP_1)
	v_cmpx_ne_u32_e32 0x7f800000, v31
	s_xor_b32 s61, exec_lo, s61
; %bb.1106:                             ;   in Loop: Header=BB10_1045 Depth=4
	v_bfe_u32 v31, v1, 16, 1
	s_delay_alu instid0(VALU_DEP_1)
	v_add3_u32 v67, v1, v31, 0x7fff
                                        ; implicit-def: $vgpr1
; %bb.1107:                             ;   in Loop: Header=BB10_1045 Depth=4
	s_and_not1_saveexec_b32 s61, s61
; %bb.1108:                             ;   in Loop: Header=BB10_1045 Depth=4
	v_and_b32_e32 v31, 0xffff, v1
	v_or_b32_e32 v54, 0x10000, v1
	s_delay_alu instid0(VALU_DEP_2) | instskip(NEXT) | instid1(VALU_DEP_2)
	v_cmp_eq_u32_e32 vcc_lo, 0, v31
	v_cndmask_b32_e32 v67, v54, v1, vcc_lo
; %bb.1109:                             ;   in Loop: Header=BB10_1045 Depth=4
	s_or_b32 exec_lo, exec_lo, s61
	s_clause 0xf
	flat_load_u16 v85, v[10:11] offset:128 th:TH_LOAD_NT
	flat_load_u16 v84, v[10:11] offset:192 th:TH_LOAD_NT
	;; [unrolled: 1-line block ×6, first 2 shown]
	flat_load_u16 v112, v[10:11] th:TH_LOAD_NT
	flat_load_u16 v61, v[10:11] offset:64 th:TH_LOAD_NT
	flat_load_u16 v114, v[10:11] offset:512 th:TH_LOAD_NT
	;; [unrolled: 1-line block ×9, first 2 shown]
	v_and_b32_e32 v4, 0xffff0000, v4
	s_wait_loadcnt_dscnt 0x909
	v_lshlrev_b32_e32 v112, 16, v112
	s_delay_alu instid0(VALU_DEP_1) | instskip(NEXT) | instid1(VALU_DEP_1)
	v_add_f32_e32 v62, v4, v112
	v_and_b32_e32 v4, 0x7f800000, v62
	s_delay_alu instid0(VALU_DEP_1) | instskip(SKIP_2) | instid1(SALU_CYCLE_1)
	v_cmp_ne_u32_e32 vcc_lo, 0x7f800000, v4
                                        ; implicit-def: $vgpr4
	s_wait_xcnt 0x0
	s_and_saveexec_b32 s61, vcc_lo
	s_xor_b32 s61, exec_lo, s61
; %bb.1110:                             ;   in Loop: Header=BB10_1045 Depth=4
	v_bfe_u32 v4, v62, 16, 1
	s_delay_alu instid0(VALU_DEP_1)
	v_add3_u32 v4, v62, v4, 0x7fff
                                        ; implicit-def: $vgpr62
; %bb.1111:                             ;   in Loop: Header=BB10_1045 Depth=4
	s_and_not1_saveexec_b32 s61, s61
; %bb.1112:                             ;   in Loop: Header=BB10_1045 Depth=4
	v_and_b32_e32 v4, 0xffff, v62
	v_or_b32_e32 v112, 0x10000, v62
	s_delay_alu instid0(VALU_DEP_2) | instskip(NEXT) | instid1(VALU_DEP_2)
	v_cmp_eq_u32_e32 vcc_lo, 0, v4
	v_cndmask_b32_e32 v4, v112, v62, vcc_lo
; %bb.1113:                             ;   in Loop: Header=BB10_1045 Depth=4
	s_or_b32 exec_lo, exec_lo, s61
	v_and_b32_e32 v5, 0xffff0000, v5
	s_wait_loadcnt_dscnt 0x808
	v_lshlrev_b32_e32 v112, 16, v61
	s_delay_alu instid0(VALU_DEP_1) | instskip(NEXT) | instid1(VALU_DEP_1)
	v_add_f32_e32 v61, v5, v112
	v_and_b32_e32 v5, 0x7f800000, v61
	s_delay_alu instid0(VALU_DEP_1) | instskip(SKIP_1) | instid1(SALU_CYCLE_1)
	v_cmp_ne_u32_e32 vcc_lo, 0x7f800000, v5
                                        ; implicit-def: $vgpr5
	s_and_saveexec_b32 s61, vcc_lo
	s_xor_b32 s61, exec_lo, s61
; %bb.1114:                             ;   in Loop: Header=BB10_1045 Depth=4
	v_bfe_u32 v5, v61, 16, 1
	s_delay_alu instid0(VALU_DEP_1)
	v_add3_u32 v5, v61, v5, 0x7fff
                                        ; implicit-def: $vgpr61
; %bb.1115:                             ;   in Loop: Header=BB10_1045 Depth=4
	s_and_not1_saveexec_b32 s61, s61
; %bb.1116:                             ;   in Loop: Header=BB10_1045 Depth=4
	v_and_b32_e32 v5, 0xffff, v61
	v_or_b32_e32 v112, 0x10000, v61
	s_delay_alu instid0(VALU_DEP_2) | instskip(NEXT) | instid1(VALU_DEP_2)
	v_cmp_eq_u32_e32 vcc_lo, 0, v5
	v_cndmask_b32_e32 v5, v112, v61, vcc_lo
; %bb.1117:                             ;   in Loop: Header=BB10_1045 Depth=4
	s_or_b32 exec_lo, exec_lo, s61
	v_and_b32_e32 v20, 0xffff0000, v20
	v_lshlrev_b32_e32 v85, 16, v85
	s_delay_alu instid0(VALU_DEP_1) | instskip(NEXT) | instid1(VALU_DEP_1)
	v_add_f32_e32 v85, v20, v85
	v_and_b32_e32 v20, 0x7f800000, v85
	s_delay_alu instid0(VALU_DEP_1) | instskip(SKIP_1) | instid1(SALU_CYCLE_1)
	v_cmp_ne_u32_e32 vcc_lo, 0x7f800000, v20
                                        ; implicit-def: $vgpr20
	s_and_saveexec_b32 s61, vcc_lo
	s_xor_b32 s61, exec_lo, s61
; %bb.1118:                             ;   in Loop: Header=BB10_1045 Depth=4
	v_bfe_u32 v20, v85, 16, 1
	s_delay_alu instid0(VALU_DEP_1)
	v_add3_u32 v20, v85, v20, 0x7fff
                                        ; implicit-def: $vgpr85
; %bb.1119:                             ;   in Loop: Header=BB10_1045 Depth=4
	s_and_not1_saveexec_b32 s61, s61
; %bb.1120:                             ;   in Loop: Header=BB10_1045 Depth=4
	v_and_b32_e32 v20, 0xffff, v85
	v_or_b32_e32 v112, 0x10000, v85
	s_delay_alu instid0(VALU_DEP_2) | instskip(NEXT) | instid1(VALU_DEP_2)
	v_cmp_eq_u32_e32 vcc_lo, 0, v20
	v_cndmask_b32_e32 v20, v112, v85, vcc_lo
; %bb.1121:                             ;   in Loop: Header=BB10_1045 Depth=4
	s_or_b32 exec_lo, exec_lo, s61
	v_and_b32_e32 v21, 0xffff0000, v21
	v_lshlrev_b32_e32 v84, 16, v84
	s_delay_alu instid0(VALU_DEP_1) | instskip(NEXT) | instid1(VALU_DEP_1)
	v_add_f32_e32 v84, v21, v84
	v_and_b32_e32 v21, 0x7f800000, v84
	s_delay_alu instid0(VALU_DEP_1) | instskip(SKIP_1) | instid1(SALU_CYCLE_1)
	v_cmp_ne_u32_e32 vcc_lo, 0x7f800000, v21
                                        ; implicit-def: $vgpr21
	s_and_saveexec_b32 s61, vcc_lo
	s_xor_b32 s61, exec_lo, s61
; %bb.1122:                             ;   in Loop: Header=BB10_1045 Depth=4
	v_bfe_u32 v21, v84, 16, 1
	s_delay_alu instid0(VALU_DEP_1)
	v_add3_u32 v21, v84, v21, 0x7fff
                                        ; implicit-def: $vgpr84
; %bb.1123:                             ;   in Loop: Header=BB10_1045 Depth=4
	s_and_not1_saveexec_b32 s61, s61
; %bb.1124:                             ;   in Loop: Header=BB10_1045 Depth=4
	v_and_b32_e32 v21, 0xffff, v84
	v_or_b32_e32 v85, 0x10000, v84
	s_delay_alu instid0(VALU_DEP_2) | instskip(NEXT) | instid1(VALU_DEP_2)
	v_cmp_eq_u32_e32 vcc_lo, 0, v21
	v_cndmask_b32_e32 v21, v85, v84, vcc_lo
; %bb.1125:                             ;   in Loop: Header=BB10_1045 Depth=4
	s_or_b32 exec_lo, exec_lo, s61
	v_and_b32_e32 v22, 0xffff0000, v22
	v_lshlrev_b32_e32 v84, 16, v60
	s_delay_alu instid0(VALU_DEP_1) | instskip(NEXT) | instid1(VALU_DEP_1)
	v_add_f32_e32 v84, v22, v84
	v_and_b32_e32 v22, 0x7f800000, v84
	s_delay_alu instid0(VALU_DEP_1) | instskip(SKIP_1) | instid1(SALU_CYCLE_1)
	v_cmp_ne_u32_e32 vcc_lo, 0x7f800000, v22
                                        ; implicit-def: $vgpr22
	s_and_saveexec_b32 s61, vcc_lo
	s_xor_b32 s61, exec_lo, s61
; %bb.1126:                             ;   in Loop: Header=BB10_1045 Depth=4
	v_bfe_u32 v22, v84, 16, 1
	s_delay_alu instid0(VALU_DEP_1)
	v_add3_u32 v22, v84, v22, 0x7fff
                                        ; implicit-def: $vgpr84
; %bb.1127:                             ;   in Loop: Header=BB10_1045 Depth=4
	s_and_not1_saveexec_b32 s61, s61
; %bb.1128:                             ;   in Loop: Header=BB10_1045 Depth=4
	v_and_b32_e32 v22, 0xffff, v84
	v_or_b32_e32 v85, 0x10000, v84
	s_delay_alu instid0(VALU_DEP_2) | instskip(NEXT) | instid1(VALU_DEP_2)
	v_cmp_eq_u32_e32 vcc_lo, 0, v22
	v_cndmask_b32_e32 v22, v85, v84, vcc_lo
; %bb.1129:                             ;   in Loop: Header=BB10_1045 Depth=4
	s_or_b32 exec_lo, exec_lo, s61
	v_and_b32_e32 v23, 0xffff0000, v23
	v_lshlrev_b32_e32 v84, 16, v41
	s_delay_alu instid0(VALU_DEP_1) | instskip(NEXT) | instid1(VALU_DEP_1)
	v_add_f32_e32 v84, v23, v84
	v_and_b32_e32 v23, 0x7f800000, v84
	s_delay_alu instid0(VALU_DEP_1) | instskip(SKIP_1) | instid1(SALU_CYCLE_1)
	v_cmp_ne_u32_e32 vcc_lo, 0x7f800000, v23
                                        ; implicit-def: $vgpr23
	s_and_saveexec_b32 s61, vcc_lo
	s_xor_b32 s61, exec_lo, s61
; %bb.1130:                             ;   in Loop: Header=BB10_1045 Depth=4
	v_bfe_u32 v23, v84, 16, 1
	s_delay_alu instid0(VALU_DEP_1)
	v_add3_u32 v23, v84, v23, 0x7fff
                                        ; implicit-def: $vgpr84
; %bb.1131:                             ;   in Loop: Header=BB10_1045 Depth=4
	s_and_not1_saveexec_b32 s61, s61
; %bb.1132:                             ;   in Loop: Header=BB10_1045 Depth=4
	v_and_b32_e32 v23, 0xffff, v84
	v_or_b32_e32 v85, 0x10000, v84
	s_delay_alu instid0(VALU_DEP_2) | instskip(NEXT) | instid1(VALU_DEP_2)
	v_cmp_eq_u32_e32 vcc_lo, 0, v23
	v_cndmask_b32_e32 v23, v85, v84, vcc_lo
; %bb.1133:                             ;   in Loop: Header=BB10_1045 Depth=4
	s_or_b32 exec_lo, exec_lo, s61
	v_and_b32_e32 v24, 0xffff0000, v24
	v_lshlrev_b32_e32 v84, 16, v40
	s_delay_alu instid0(VALU_DEP_1) | instskip(NEXT) | instid1(VALU_DEP_1)
	v_add_f32_e32 v84, v24, v84
	v_and_b32_e32 v24, 0x7f800000, v84
	s_delay_alu instid0(VALU_DEP_1) | instskip(SKIP_1) | instid1(SALU_CYCLE_1)
	v_cmp_ne_u32_e32 vcc_lo, 0x7f800000, v24
                                        ; implicit-def: $vgpr24
	s_and_saveexec_b32 s61, vcc_lo
	s_xor_b32 s61, exec_lo, s61
; %bb.1134:                             ;   in Loop: Header=BB10_1045 Depth=4
	v_bfe_u32 v24, v84, 16, 1
	s_delay_alu instid0(VALU_DEP_1)
	v_add3_u32 v24, v84, v24, 0x7fff
                                        ; implicit-def: $vgpr84
; %bb.1135:                             ;   in Loop: Header=BB10_1045 Depth=4
	s_and_not1_saveexec_b32 s61, s61
; %bb.1136:                             ;   in Loop: Header=BB10_1045 Depth=4
	v_and_b32_e32 v24, 0xffff, v84
	v_or_b32_e32 v85, 0x10000, v84
	s_delay_alu instid0(VALU_DEP_2) | instskip(NEXT) | instid1(VALU_DEP_2)
	v_cmp_eq_u32_e32 vcc_lo, 0, v24
	v_cndmask_b32_e32 v24, v85, v84, vcc_lo
; %bb.1137:                             ;   in Loop: Header=BB10_1045 Depth=4
	s_or_b32 exec_lo, exec_lo, s61
	v_and_b32_e32 v25, 0xffff0000, v25
	v_lshlrev_b32_e32 v84, 16, v115
	s_delay_alu instid0(VALU_DEP_1) | instskip(NEXT) | instid1(VALU_DEP_1)
	v_add_f32_e32 v84, v25, v84
	v_and_b32_e32 v25, 0x7f800000, v84
	s_delay_alu instid0(VALU_DEP_1) | instskip(SKIP_1) | instid1(SALU_CYCLE_1)
	v_cmp_ne_u32_e32 vcc_lo, 0x7f800000, v25
                                        ; implicit-def: $vgpr25
	s_and_saveexec_b32 s61, vcc_lo
	s_xor_b32 s61, exec_lo, s61
; %bb.1138:                             ;   in Loop: Header=BB10_1045 Depth=4
	v_bfe_u32 v25, v84, 16, 1
	s_delay_alu instid0(VALU_DEP_1)
	v_add3_u32 v25, v84, v25, 0x7fff
                                        ; implicit-def: $vgpr84
; %bb.1139:                             ;   in Loop: Header=BB10_1045 Depth=4
	s_and_not1_saveexec_b32 s61, s61
; %bb.1140:                             ;   in Loop: Header=BB10_1045 Depth=4
	v_and_b32_e32 v25, 0xffff, v84
	v_or_b32_e32 v85, 0x10000, v84
	s_delay_alu instid0(VALU_DEP_2) | instskip(NEXT) | instid1(VALU_DEP_2)
	v_cmp_eq_u32_e32 vcc_lo, 0, v25
	v_cndmask_b32_e32 v25, v85, v84, vcc_lo
; %bb.1141:                             ;   in Loop: Header=BB10_1045 Depth=4
	s_or_b32 exec_lo, exec_lo, s61
	v_and_b32_e32 v26, 0xffff0000, v26
	s_wait_loadcnt_dscnt 0x707
	v_lshlrev_b32_e32 v84, 16, v114
	s_delay_alu instid0(VALU_DEP_1) | instskip(NEXT) | instid1(VALU_DEP_1)
	v_add_f32_e32 v84, v26, v84
	v_and_b32_e32 v26, 0x7f800000, v84
	s_delay_alu instid0(VALU_DEP_1) | instskip(SKIP_1) | instid1(SALU_CYCLE_1)
	v_cmp_ne_u32_e32 vcc_lo, 0x7f800000, v26
                                        ; implicit-def: $vgpr26
	s_and_saveexec_b32 s61, vcc_lo
	s_xor_b32 s61, exec_lo, s61
; %bb.1142:                             ;   in Loop: Header=BB10_1045 Depth=4
	v_bfe_u32 v26, v84, 16, 1
	s_delay_alu instid0(VALU_DEP_1)
	v_add3_u32 v26, v84, v26, 0x7fff
                                        ; implicit-def: $vgpr84
; %bb.1143:                             ;   in Loop: Header=BB10_1045 Depth=4
	s_and_not1_saveexec_b32 s61, s61
; %bb.1144:                             ;   in Loop: Header=BB10_1045 Depth=4
	v_and_b32_e32 v26, 0xffff, v84
	v_or_b32_e32 v85, 0x10000, v84
	s_delay_alu instid0(VALU_DEP_2) | instskip(NEXT) | instid1(VALU_DEP_2)
	v_cmp_eq_u32_e32 vcc_lo, 0, v26
	v_cndmask_b32_e32 v26, v85, v84, vcc_lo
; %bb.1145:                             ;   in Loop: Header=BB10_1045 Depth=4
	s_or_b32 exec_lo, exec_lo, s61
	v_and_b32_e32 v27, 0xffff0000, v27
	s_wait_loadcnt_dscnt 0x606
	v_lshlrev_b32_e32 v55, 16, v55
	s_delay_alu instid0(VALU_DEP_1) | instskip(NEXT) | instid1(VALU_DEP_1)
	v_add_f32_e32 v55, v27, v55
	v_and_b32_e32 v27, 0x7f800000, v55
	s_delay_alu instid0(VALU_DEP_1) | instskip(SKIP_1) | instid1(SALU_CYCLE_1)
	v_cmp_ne_u32_e32 vcc_lo, 0x7f800000, v27
                                        ; implicit-def: $vgpr27
	s_and_saveexec_b32 s61, vcc_lo
	s_xor_b32 s61, exec_lo, s61
; %bb.1146:                             ;   in Loop: Header=BB10_1045 Depth=4
	v_bfe_u32 v27, v55, 16, 1
	s_delay_alu instid0(VALU_DEP_1)
	v_add3_u32 v27, v55, v27, 0x7fff
                                        ; implicit-def: $vgpr55
; %bb.1147:                             ;   in Loop: Header=BB10_1045 Depth=4
	s_and_not1_saveexec_b32 s61, s61
; %bb.1148:                             ;   in Loop: Header=BB10_1045 Depth=4
	v_and_b32_e32 v27, 0xffff, v55
	v_or_b32_e32 v84, 0x10000, v55
	s_delay_alu instid0(VALU_DEP_2) | instskip(NEXT) | instid1(VALU_DEP_2)
	v_cmp_eq_u32_e32 vcc_lo, 0, v27
	v_cndmask_b32_e32 v27, v84, v55, vcc_lo
; %bb.1149:                             ;   in Loop: Header=BB10_1045 Depth=4
	s_or_b32 exec_lo, exec_lo, s61
	v_and_b32_e32 v28, 0xffff0000, v28
	s_wait_loadcnt_dscnt 0x505
	v_lshlrev_b32_e32 v54, 16, v54
	s_delay_alu instid0(VALU_DEP_1) | instskip(NEXT) | instid1(VALU_DEP_1)
	v_add_f32_e32 v54, v28, v54
	v_and_b32_e32 v28, 0x7f800000, v54
	s_delay_alu instid0(VALU_DEP_1) | instskip(SKIP_1) | instid1(SALU_CYCLE_1)
	v_cmp_ne_u32_e32 vcc_lo, 0x7f800000, v28
                                        ; implicit-def: $vgpr28
	s_and_saveexec_b32 s61, vcc_lo
	s_xor_b32 s61, exec_lo, s61
; %bb.1150:                             ;   in Loop: Header=BB10_1045 Depth=4
	v_bfe_u32 v28, v54, 16, 1
	s_delay_alu instid0(VALU_DEP_1)
	v_add3_u32 v28, v54, v28, 0x7fff
                                        ; implicit-def: $vgpr54
; %bb.1151:                             ;   in Loop: Header=BB10_1045 Depth=4
	s_and_not1_saveexec_b32 s61, s61
; %bb.1152:                             ;   in Loop: Header=BB10_1045 Depth=4
	v_and_b32_e32 v28, 0xffff, v54
	v_or_b32_e32 v55, 0x10000, v54
	s_delay_alu instid0(VALU_DEP_2) | instskip(NEXT) | instid1(VALU_DEP_2)
	v_cmp_eq_u32_e32 vcc_lo, 0, v28
	v_cndmask_b32_e32 v28, v55, v54, vcc_lo
; %bb.1153:                             ;   in Loop: Header=BB10_1045 Depth=4
	s_or_b32 exec_lo, exec_lo, s61
	v_and_b32_e32 v29, 0xffff0000, v29
	s_wait_loadcnt_dscnt 0x404
	v_lshlrev_b32_e32 v54, 16, v45
	s_delay_alu instid0(VALU_DEP_1) | instskip(NEXT) | instid1(VALU_DEP_1)
	v_add_f32_e32 v54, v29, v54
	v_and_b32_e32 v29, 0x7f800000, v54
	s_delay_alu instid0(VALU_DEP_1) | instskip(SKIP_1) | instid1(SALU_CYCLE_1)
	v_cmp_ne_u32_e32 vcc_lo, 0x7f800000, v29
                                        ; implicit-def: $vgpr29
	s_and_saveexec_b32 s61, vcc_lo
	s_xor_b32 s61, exec_lo, s61
; %bb.1154:                             ;   in Loop: Header=BB10_1045 Depth=4
	v_bfe_u32 v29, v54, 16, 1
	s_delay_alu instid0(VALU_DEP_1)
	v_add3_u32 v29, v54, v29, 0x7fff
                                        ; implicit-def: $vgpr54
; %bb.1155:                             ;   in Loop: Header=BB10_1045 Depth=4
	s_and_not1_saveexec_b32 s61, s61
; %bb.1156:                             ;   in Loop: Header=BB10_1045 Depth=4
	v_and_b32_e32 v29, 0xffff, v54
	v_or_b32_e32 v55, 0x10000, v54
	s_delay_alu instid0(VALU_DEP_2) | instskip(NEXT) | instid1(VALU_DEP_2)
	v_cmp_eq_u32_e32 vcc_lo, 0, v29
	v_cndmask_b32_e32 v29, v55, v54, vcc_lo
; %bb.1157:                             ;   in Loop: Header=BB10_1045 Depth=4
	s_or_b32 exec_lo, exec_lo, s61
	v_and_b32_e32 v54, 0xffff0000, v64
	s_wait_loadcnt_dscnt 0x303
	v_lshlrev_b32_e32 v55, 16, v119
	s_delay_alu instid0(VALU_DEP_1) | instskip(NEXT) | instid1(VALU_DEP_1)
	v_add_f32_e32 v55, v54, v55
	v_and_b32_e32 v54, 0x7f800000, v55
	s_delay_alu instid0(VALU_DEP_1) | instskip(SKIP_1) | instid1(SALU_CYCLE_1)
	v_cmp_ne_u32_e32 vcc_lo, 0x7f800000, v54
                                        ; implicit-def: $vgpr54
	s_and_saveexec_b32 s61, vcc_lo
	s_xor_b32 s61, exec_lo, s61
; %bb.1158:                             ;   in Loop: Header=BB10_1045 Depth=4
	v_bfe_u32 v54, v55, 16, 1
	s_delay_alu instid0(VALU_DEP_1)
	v_add3_u32 v54, v55, v54, 0x7fff
                                        ; implicit-def: $vgpr55
; %bb.1159:                             ;   in Loop: Header=BB10_1045 Depth=4
	s_and_not1_saveexec_b32 s61, s61
; %bb.1160:                             ;   in Loop: Header=BB10_1045 Depth=4
	v_and_b32_e32 v54, 0xffff, v55
	v_or_b32_e32 v64, 0x10000, v55
	s_delay_alu instid0(VALU_DEP_2) | instskip(NEXT) | instid1(VALU_DEP_2)
	v_cmp_eq_u32_e32 vcc_lo, 0, v54
	v_cndmask_b32_e32 v54, v64, v55, vcc_lo
; %bb.1161:                             ;   in Loop: Header=BB10_1045 Depth=4
	s_or_b32 exec_lo, exec_lo, s61
	v_and_b32_e32 v55, 0xffff0000, v65
	s_wait_loadcnt_dscnt 0x202
	v_lshlrev_b32_e32 v64, 16, v118
	s_delay_alu instid0(VALU_DEP_1) | instskip(NEXT) | instid1(VALU_DEP_1)
	v_add_f32_e32 v64, v55, v64
	v_and_b32_e32 v55, 0x7f800000, v64
	s_delay_alu instid0(VALU_DEP_1) | instskip(SKIP_1) | instid1(SALU_CYCLE_1)
	v_cmp_ne_u32_e32 vcc_lo, 0x7f800000, v55
                                        ; implicit-def: $vgpr55
	s_and_saveexec_b32 s61, vcc_lo
	s_xor_b32 s61, exec_lo, s61
; %bb.1162:                             ;   in Loop: Header=BB10_1045 Depth=4
	v_bfe_u32 v55, v64, 16, 1
	s_delay_alu instid0(VALU_DEP_1)
	v_add3_u32 v55, v64, v55, 0x7fff
                                        ; implicit-def: $vgpr64
; %bb.1163:                             ;   in Loop: Header=BB10_1045 Depth=4
	s_and_not1_saveexec_b32 s61, s61
; %bb.1164:                             ;   in Loop: Header=BB10_1045 Depth=4
	v_and_b32_e32 v55, 0xffff, v64
	v_or_b32_e32 v65, 0x10000, v64
	s_delay_alu instid0(VALU_DEP_2) | instskip(NEXT) | instid1(VALU_DEP_2)
	v_cmp_eq_u32_e32 vcc_lo, 0, v55
	v_cndmask_b32_e32 v55, v65, v64, vcc_lo
; %bb.1165:                             ;   in Loop: Header=BB10_1045 Depth=4
	s_or_b32 exec_lo, exec_lo, s61
	v_and_b32_e32 v64, 0xffff0000, v66
	s_wait_loadcnt_dscnt 0x101
	v_lshlrev_b32_e32 v1, 16, v1
	s_delay_alu instid0(VALU_DEP_1) | instskip(NEXT) | instid1(VALU_DEP_1)
	v_add_f32_e32 v64, v64, v1
	v_and_b32_e32 v1, 0x7f800000, v64
	s_delay_alu instid0(VALU_DEP_1) | instskip(SKIP_1) | instid1(SALU_CYCLE_1)
	v_cmp_ne_u32_e32 vcc_lo, 0x7f800000, v1
                                        ; implicit-def: $vgpr1
	s_and_saveexec_b32 s61, vcc_lo
	s_xor_b32 s61, exec_lo, s61
; %bb.1166:                             ;   in Loop: Header=BB10_1045 Depth=4
	v_bfe_u32 v1, v64, 16, 1
	s_delay_alu instid0(VALU_DEP_1)
	v_add3_u32 v1, v64, v1, 0x7fff
                                        ; implicit-def: $vgpr64
; %bb.1167:                             ;   in Loop: Header=BB10_1045 Depth=4
	s_and_not1_saveexec_b32 s61, s61
; %bb.1168:                             ;   in Loop: Header=BB10_1045 Depth=4
	v_and_b32_e32 v1, 0xffff, v64
	v_or_b32_e32 v65, 0x10000, v64
	s_delay_alu instid0(VALU_DEP_2) | instskip(NEXT) | instid1(VALU_DEP_2)
	v_cmp_eq_u32_e32 vcc_lo, 0, v1
	v_cndmask_b32_e32 v1, v65, v64, vcc_lo
; %bb.1169:                             ;   in Loop: Header=BB10_1045 Depth=4
	s_or_b32 exec_lo, exec_lo, s61
	v_and_b32_e32 v64, 0xffff0000, v67
	s_wait_loadcnt_dscnt 0x0
	v_lshlrev_b32_e32 v31, 16, v31
	s_delay_alu instid0(VALU_DEP_1) | instskip(NEXT) | instid1(VALU_DEP_1)
	v_add_f32_e32 v64, v64, v31
	v_and_b32_e32 v31, 0x7f800000, v64
	s_delay_alu instid0(VALU_DEP_1) | instskip(SKIP_1) | instid1(SALU_CYCLE_1)
	v_cmp_ne_u32_e32 vcc_lo, 0x7f800000, v31
                                        ; implicit-def: $vgpr31
	s_and_saveexec_b32 s61, vcc_lo
	s_xor_b32 s61, exec_lo, s61
; %bb.1170:                             ;   in Loop: Header=BB10_1045 Depth=4
	v_bfe_u32 v31, v64, 16, 1
	s_delay_alu instid0(VALU_DEP_1)
	v_add3_u32 v31, v64, v31, 0x7fff
                                        ; implicit-def: $vgpr64
; %bb.1171:                             ;   in Loop: Header=BB10_1045 Depth=4
	s_and_not1_saveexec_b32 s61, s61
	s_cbranch_execz .LBB10_1044
; %bb.1172:                             ;   in Loop: Header=BB10_1045 Depth=4
	v_and_b32_e32 v31, 0xffff, v64
	v_or_b32_e32 v65, 0x10000, v64
	s_delay_alu instid0(VALU_DEP_2) | instskip(NEXT) | instid1(VALU_DEP_2)
	v_cmp_eq_u32_e32 vcc_lo, 0, v31
	v_cndmask_b32_e32 v31, v65, v64, vcc_lo
	s_branch .LBB10_1044
.LBB10_1173:                            ;   in Loop: Header=BB10_632 Depth=3
	s_or_b32 exec_lo, exec_lo, s60
.LBB10_1174:                            ;   in Loop: Header=BB10_632 Depth=3
	s_delay_alu instid0(SALU_CYCLE_1) | instskip(SKIP_1) | instid1(VALU_DEP_1)
	s_or_b32 exec_lo, exec_lo, s41
	v_lshlrev_b32_e32 v1, 10, v18
	v_cmp_ne_u32_e32 vcc_lo, v43, v1
	s_and_b32 exec_lo, exec_lo, vcc_lo
	s_cbranch_execz .LBB10_1186
; %bb.1175:                             ;   in Loop: Header=BB10_632 Depth=3
	v_dual_lshlrev_b32 v4, 5, v16 :: v_dual_lshlrev_b32 v5, 5, v17
	s_delay_alu instid0(VALU_DEP_1) | instskip(NEXT) | instid1(VALU_DEP_1)
	v_sub_nc_u32_e32 v4, v15, v4
	v_sub_nc_u32_e32 v4, v4, v5
	s_delay_alu instid0(VALU_DEP_1) | instskip(NEXT) | instid1(VALU_DEP_1)
	v_ashrrev_i32_e32 v5, 31, v4
	v_lshrrev_b32_e32 v5, 27, v5
	s_delay_alu instid0(VALU_DEP_1) | instskip(NEXT) | instid1(VALU_DEP_1)
	v_add_nc_u32_e32 v5, v4, v5
	v_and_b32_e32 v8, 0x7fffffe0, v5
	s_delay_alu instid0(VALU_DEP_1) | instskip(NEXT) | instid1(VALU_DEP_1)
	v_dual_lshlrev_b32 v5, 1, v5 :: v_dual_sub_nc_u32 v4, v4, v8
	v_and_b32_e32 v5, 0xffffffc0, v5
	s_delay_alu instid0(VALU_DEP_2) | instskip(NEXT) | instid1(VALU_DEP_1)
	v_lshlrev_b32_e32 v4, 1, v4
	v_add3_u32 v4, v5, v4, v1
	s_delay_alu instid0(VALU_DEP_1) | instskip(NEXT) | instid1(VALU_DEP_1)
	v_sub_nc_u32_e32 v1, v43, v4
	v_cmp_lt_i32_e32 vcc_lo, 1, v1
	s_and_b32 exec_lo, exec_lo, vcc_lo
	s_cbranch_execz .LBB10_1186
; %bb.1176:                             ;   in Loop: Header=BB10_632 Depth=3
	s_trap 2
	ds_load_b64 v[10:11], v0
	ds_load_b32 v15, v0
	v_add_nc_u32_e32 v4, v4, v14
	s_mov_b32 s41, 0
	s_delay_alu instid0(VALU_DEP_1) | instskip(NEXT) | instid1(VALU_DEP_1)
	v_ashrrev_i32_e32 v5, 31, v4
	v_add_nc_u64_e32 v[8:9], v[4:5], v[56:57]
	v_add_nc_u64_e32 v[12:13], v[4:5], v[58:59]
	s_wait_dscnt 0x1
	v_add_nc_u64_e32 v[10:11], v[10:11], v[4:5]
	s_wait_dscnt 0x0
	v_lshlrev_b32_e32 v4, 16, v15
	s_branch .LBB10_1178
.LBB10_1177:                            ;   in Loop: Header=BB10_1178 Depth=4
	s_or_b32 exec_lo, exec_lo, s60
	v_sub_nc_u32_e32 v1, v1, v82
	flat_store_d16_hi_b16 v[12:13], v5 th:TH_STORE_NT
	v_add_nc_u64_e32 v[8:9], v[8:9], v[82:83]
	v_add_nc_u64_e32 v[10:11], v[10:11], v[82:83]
	s_wait_xcnt 0x0
	v_add_nc_u64_e32 v[12:13], v[12:13], v[82:83]
	v_cmp_gt_i32_e32 vcc_lo, 2, v1
	s_or_b32 s41, vcc_lo, s41
	s_delay_alu instid0(SALU_CYCLE_1)
	s_and_not1_b32 exec_lo, exec_lo, s41
	s_cbranch_execz .LBB10_1186
.LBB10_1178:                            ;   Parent Loop BB10_47 Depth=1
                                        ;     Parent Loop BB10_629 Depth=2
                                        ;       Parent Loop BB10_632 Depth=3
                                        ; =>      This Inner Loop Header: Depth=4
	flat_load_u16 v5, v[8:9] th:TH_LOAD_NT
	s_wait_loadcnt_dscnt 0x0
	v_lshlrev_b32_e32 v5, 16, v5
	s_delay_alu instid0(VALU_DEP_1) | instskip(NEXT) | instid1(VALU_DEP_1)
	v_mul_f32_e32 v5, v4, v5
	v_and_b32_e32 v14, 0x7f800000, v5
	s_delay_alu instid0(VALU_DEP_1) | instskip(SKIP_2) | instid1(SALU_CYCLE_1)
	v_cmp_ne_u32_e32 vcc_lo, 0x7f800000, v14
                                        ; implicit-def: $vgpr14
	s_wait_xcnt 0x0
	s_and_saveexec_b32 s60, vcc_lo
	s_xor_b32 s60, exec_lo, s60
; %bb.1179:                             ;   in Loop: Header=BB10_1178 Depth=4
	v_bfe_u32 v14, v5, 16, 1
	s_delay_alu instid0(VALU_DEP_1)
	v_add3_u32 v14, v5, v14, 0x7fff
                                        ; implicit-def: $vgpr5
; %bb.1180:                             ;   in Loop: Header=BB10_1178 Depth=4
	s_and_not1_saveexec_b32 s60, s60
; %bb.1181:                             ;   in Loop: Header=BB10_1178 Depth=4
	v_and_b32_e32 v14, 0xffff, v5
	v_or_b32_e32 v15, 0x10000, v5
	s_delay_alu instid0(VALU_DEP_2) | instskip(NEXT) | instid1(VALU_DEP_2)
	v_cmp_eq_u32_e32 vcc_lo, 0, v14
	v_cndmask_b32_e32 v14, v15, v5, vcc_lo
; %bb.1182:                             ;   in Loop: Header=BB10_1178 Depth=4
	s_or_b32 exec_lo, exec_lo, s60
	flat_load_u16 v5, v[10:11] th:TH_LOAD_NT
	v_and_b32_e32 v14, 0xffff0000, v14
	s_wait_loadcnt_dscnt 0x0
	v_lshlrev_b32_e32 v5, 16, v5
	s_delay_alu instid0(VALU_DEP_1) | instskip(NEXT) | instid1(VALU_DEP_1)
	v_add_f32_e32 v14, v14, v5
	v_and_b32_e32 v5, 0x7f800000, v14
	s_delay_alu instid0(VALU_DEP_1) | instskip(SKIP_2) | instid1(SALU_CYCLE_1)
	v_cmp_ne_u32_e32 vcc_lo, 0x7f800000, v5
                                        ; implicit-def: $vgpr5
	s_wait_xcnt 0x0
	s_and_saveexec_b32 s60, vcc_lo
	s_xor_b32 s60, exec_lo, s60
; %bb.1183:                             ;   in Loop: Header=BB10_1178 Depth=4
	v_bfe_u32 v5, v14, 16, 1
	s_delay_alu instid0(VALU_DEP_1)
	v_add3_u32 v5, v14, v5, 0x7fff
                                        ; implicit-def: $vgpr14
; %bb.1184:                             ;   in Loop: Header=BB10_1178 Depth=4
	s_and_not1_saveexec_b32 s60, s60
	s_cbranch_execz .LBB10_1177
; %bb.1185:                             ;   in Loop: Header=BB10_1178 Depth=4
	v_and_b32_e32 v5, 0xffff, v14
	v_or_b32_e32 v15, 0x10000, v14
	s_delay_alu instid0(VALU_DEP_2) | instskip(NEXT) | instid1(VALU_DEP_2)
	v_cmp_eq_u32_e32 vcc_lo, 0, v5
	v_cndmask_b32_e32 v5, v15, v14, vcc_lo
	s_branch .LBB10_1177
.LBB10_1186:                            ;   in Loop: Header=BB10_632 Depth=3
	s_or_b32 exec_lo, exec_lo, s13
	v_cmp_lt_i32_e64 s13, 0, v2
	s_and_saveexec_b32 s41, s2
	s_cbranch_execz .LBB10_707
.LBB10_1187:                            ;   in Loop: Header=BB10_632 Depth=3
	s_and_saveexec_b32 s60, s3
	s_delay_alu instid0(SALU_CYCLE_1)
	s_xor_b32 s60, exec_lo, s60
	s_cbranch_execz .LBB10_1202
; %bb.1188:                             ;   in Loop: Header=BB10_632 Depth=3
	s_and_saveexec_b32 s61, s6
	s_cbranch_execz .LBB10_1201
; %bb.1189:                             ;   in Loop: Header=BB10_632 Depth=3
	s_mov_b32 s63, exec_lo
	s_mov_b32 s62, exec_lo
	v_mbcnt_lo_u32_b32 v1, s63, 0
	global_wb scope:SCOPE_DEV
	s_wait_storecnt 0x0
	s_wait_loadcnt_dscnt 0x0
	global_inv scope:SCOPE_DEV
	v_cmpx_eq_u32_e32 0, v1
	s_cbranch_execz .LBB10_1191
; %bb.1190:                             ;   in Loop: Header=BB10_632 Depth=3
	s_bcnt1_i32_b32 s63, s63
	s_delay_alu instid0(SALU_CYCLE_1)
	v_mov_b32_e32 v2, s63
	s_wait_loadcnt 0x0
	ds_add_u64 v0, v[2:3]
	s_trap 2
.LBB10_1191:                            ;   in Loop: Header=BB10_632 Depth=3
	s_or_b32 exec_lo, exec_lo, s62
	s_trap 2
	ds_load_b64 v[4:5], v0
	s_wait_dscnt 0x0
	v_add_nc_u64_e32 v[48:49], v[48:49], v[52:53]
	s_mov_b32 s62, exec_lo
	s_delay_alu instid0(VALU_DEP_1)
	v_cmpx_lt_u64_e64 v[4:5], v[48:49]
	s_cbranch_execz .LBB10_1200
; %bb.1192:                             ;   in Loop: Header=BB10_632 Depth=3
	s_mov_b32 s63, 0
	s_mov_b32 s74, 0
                                        ; implicit-def: $sgpr72
                                        ; implicit-def: $sgpr73
	s_branch .LBB10_1194
.LBB10_1193:                            ;   in Loop: Header=BB10_1194 Depth=4
	s_or_b32 exec_lo, exec_lo, s76
	s_delay_alu instid0(SALU_CYCLE_1) | instskip(NEXT) | instid1(SALU_CYCLE_1)
	s_and_b32 s75, exec_lo, s77
	s_or_b32 s63, s75, s63
	s_and_not1_b32 s72, s72, exec_lo
	s_and_b32 s75, s73, exec_lo
	s_delay_alu instid0(SALU_CYCLE_1)
	s_or_b32 s72, s72, s75
	s_and_not1_b32 exec_lo, exec_lo, s63
	s_cbranch_execz .LBB10_1198
.LBB10_1194:                            ;   Parent Loop BB10_47 Depth=1
                                        ;     Parent Loop BB10_629 Depth=2
                                        ;       Parent Loop BB10_632 Depth=3
                                        ; =>      This Inner Loop Header: Depth=4
	s_add_co_i32 s74, s74, 1
	s_delay_alu instid0(SALU_CYCLE_1) | instskip(SKIP_1) | instid1(SALU_CYCLE_1)
	s_cmp_lg_u32 s74, 0x2710
	s_cselect_b32 s75, -1, 0
	s_and_b32 vcc_lo, exec_lo, s75
	s_cbranch_vccz .LBB10_1196
; %bb.1195:                             ;   in Loop: Header=BB10_1194 Depth=4
	s_mov_b32 s77, -1
	s_or_b32 s73, s73, exec_lo
	s_and_saveexec_b32 s76, s75
	s_cbranch_execz .LBB10_1193
	s_branch .LBB10_1197
.LBB10_1196:                            ;   in Loop: Header=BB10_1194 Depth=4
	s_trap 2
	ds_load_b64 v[4:5], v0
	s_and_not1_b32 s75, s75, exec_lo
	s_mov_b32 s74, 0
	s_wait_loadcnt_dscnt 0x0
	flat_load_b32 v1, v[4:5] scope:SCOPE_SYS
	s_wait_loadcnt_dscnt 0x0
	global_inv scope:SCOPE_SYS
	v_cmp_eq_u32_e32 vcc_lo, 0, v1
	s_and_b32 s76, vcc_lo, exec_lo
	s_delay_alu instid0(SALU_CYCLE_1)
	s_or_b32 s75, s75, s76
	s_mov_b32 s77, -1
	s_or_b32 s73, s73, exec_lo
	s_wait_xcnt 0x0
	s_and_saveexec_b32 s76, s75
	s_cbranch_execz .LBB10_1193
.LBB10_1197:                            ;   in Loop: Header=BB10_1194 Depth=4
	s_sleep 1
	s_trap 2
	ds_load_b64 v[4:5], v0
	s_wait_dscnt 0x0
	s_and_not1_b32 s73, s73, exec_lo
	v_cmp_ge_u64_e32 vcc_lo, v[4:5], v[48:49]
	s_or_not1_b32 s77, vcc_lo, exec_lo
	s_branch .LBB10_1193
.LBB10_1198:                            ;   in Loop: Header=BB10_632 Depth=3
	s_or_b32 exec_lo, exec_lo, s63
	s_and_saveexec_b32 s63, s72
	s_delay_alu instid0(SALU_CYCLE_1)
	s_xor_b32 s63, exec_lo, s63
	s_cbranch_execz .LBB10_1200
; %bb.1199:                             ;   in Loop: Header=BB10_632 Depth=3
	ds_store_b32 v0, v89
	s_trap 2
.LBB10_1200:                            ;   in Loop: Header=BB10_632 Depth=3
	s_or_b32 exec_lo, exec_lo, s62
	;;#ASMSTART
	s_wakeup
	;;#ASMEND
.LBB10_1201:                            ;   in Loop: Header=BB10_632 Depth=3
	s_or_b32 exec_lo, exec_lo, s61
.LBB10_1202:                            ;   in Loop: Header=BB10_632 Depth=3
	s_and_not1_saveexec_b32 s60, s60
	s_cbranch_execz .LBB10_1204
; %bb.1203:                             ;   in Loop: Header=BB10_632 Depth=3
	global_wb scope:SCOPE_DEV
	s_wait_storecnt 0x0
	s_wait_loadcnt_dscnt 0x0
	global_inv scope:SCOPE_DEV
	s_barrier_signal -1
	s_barrier_wait -1
.LBB10_1204:                            ;   in Loop: Header=BB10_632 Depth=3
	s_or_b32 exec_lo, exec_lo, s60
	s_delay_alu instid0(SALU_CYCLE_1) | instskip(SKIP_1) | instid1(SALU_CYCLE_1)
	s_or_b32 exec_lo, exec_lo, s41
                                        ; implicit-def: $vgpr1
	s_and_saveexec_b32 s41, s12
	s_xor_b32 s41, exec_lo, s41
	s_cbranch_execnz .LBB10_708
.LBB10_1205:                            ;   in Loop: Header=BB10_632 Depth=3
	s_and_not1_saveexec_b32 s13, s41
	s_cbranch_execz .LBB10_1224
.LBB10_1206:                            ;   in Loop: Header=BB10_632 Depth=3
	s_and_saveexec_b32 s41, s3
	s_delay_alu instid0(SALU_CYCLE_1)
	s_xor_b32 s41, exec_lo, s41
	s_cbranch_execz .LBB10_1221
; %bb.1207:                             ;   in Loop: Header=BB10_632 Depth=3
	s_and_saveexec_b32 s60, s6
	s_cbranch_execz .LBB10_1220
; %bb.1208:                             ;   in Loop: Header=BB10_632 Depth=3
	s_mov_b32 s62, exec_lo
	s_mov_b32 s61, exec_lo
	v_mbcnt_lo_u32_b32 v1, s62, 0
	;;#ASMSTART
	s_waitcnt lgkmcnt(0) vmcnt(0)
	;;#ASMEND
	s_delay_alu instid0(VALU_DEP_1)
	v_cmpx_eq_u32_e32 0, v1
	s_cbranch_execz .LBB10_1210
; %bb.1209:                             ;   in Loop: Header=BB10_632 Depth=3
	s_bcnt1_i32_b32 s62, s62
	s_delay_alu instid0(SALU_CYCLE_1)
	v_mov_b32_e32 v2, s62
	s_wait_storecnt 0x0
	s_wait_loadcnt_dscnt 0x0
	ds_add_u64 v0, v[2:3]
	s_trap 2
.LBB10_1210:                            ;   in Loop: Header=BB10_632 Depth=3
	s_or_b32 exec_lo, exec_lo, s61
	s_trap 2
	ds_load_b64 v[4:5], v0
	s_wait_dscnt 0x0
	v_add_nc_u64_e32 v[48:49], v[48:49], v[52:53]
	s_mov_b32 s61, exec_lo
	s_delay_alu instid0(VALU_DEP_1)
	v_cmpx_lt_u64_e64 v[4:5], v[48:49]
	s_cbranch_execz .LBB10_1219
; %bb.1211:                             ;   in Loop: Header=BB10_632 Depth=3
	s_mov_b32 s62, 0
	s_mov_b32 s73, 0
                                        ; implicit-def: $sgpr63
                                        ; implicit-def: $sgpr72
	s_branch .LBB10_1213
.LBB10_1212:                            ;   in Loop: Header=BB10_1213 Depth=4
	s_or_b32 exec_lo, exec_lo, s75
	s_delay_alu instid0(SALU_CYCLE_1) | instskip(NEXT) | instid1(SALU_CYCLE_1)
	s_and_b32 s74, exec_lo, s76
	s_or_b32 s62, s74, s62
	s_and_not1_b32 s63, s63, exec_lo
	s_and_b32 s74, s72, exec_lo
	s_delay_alu instid0(SALU_CYCLE_1)
	s_or_b32 s63, s63, s74
	s_and_not1_b32 exec_lo, exec_lo, s62
	s_cbranch_execz .LBB10_1217
.LBB10_1213:                            ;   Parent Loop BB10_47 Depth=1
                                        ;     Parent Loop BB10_629 Depth=2
                                        ;       Parent Loop BB10_632 Depth=3
                                        ; =>      This Inner Loop Header: Depth=4
	s_add_co_i32 s73, s73, 1
	s_delay_alu instid0(SALU_CYCLE_1) | instskip(SKIP_1) | instid1(SALU_CYCLE_1)
	s_cmp_lg_u32 s73, 0x2710
	s_cselect_b32 s74, -1, 0
	s_and_b32 vcc_lo, exec_lo, s74
	s_cbranch_vccz .LBB10_1215
; %bb.1214:                             ;   in Loop: Header=BB10_1213 Depth=4
	s_mov_b32 s76, -1
	s_or_b32 s72, s72, exec_lo
	s_and_saveexec_b32 s75, s74
	s_cbranch_execz .LBB10_1212
	s_branch .LBB10_1216
.LBB10_1215:                            ;   in Loop: Header=BB10_1213 Depth=4
	s_trap 2
	ds_load_b64 v[4:5], v0
	s_and_not1_b32 s74, s74, exec_lo
	s_mov_b32 s73, 0
	s_wait_storecnt 0x0
	s_wait_loadcnt_dscnt 0x0
	flat_load_b32 v1, v[4:5] scope:SCOPE_SYS
	s_wait_loadcnt_dscnt 0x0
	global_inv scope:SCOPE_SYS
	v_cmp_eq_u32_e32 vcc_lo, 0, v1
	s_and_b32 s75, vcc_lo, exec_lo
	s_delay_alu instid0(SALU_CYCLE_1)
	s_or_b32 s74, s74, s75
	s_mov_b32 s76, -1
	s_or_b32 s72, s72, exec_lo
	s_wait_xcnt 0x0
	s_and_saveexec_b32 s75, s74
	s_cbranch_execz .LBB10_1212
.LBB10_1216:                            ;   in Loop: Header=BB10_1213 Depth=4
	s_sleep 1
	s_trap 2
	ds_load_b64 v[4:5], v0
	s_wait_dscnt 0x0
	s_and_not1_b32 s72, s72, exec_lo
	v_cmp_ge_u64_e32 vcc_lo, v[4:5], v[48:49]
	s_or_not1_b32 s76, vcc_lo, exec_lo
	s_branch .LBB10_1212
.LBB10_1217:                            ;   in Loop: Header=BB10_632 Depth=3
	s_or_b32 exec_lo, exec_lo, s62
	s_and_saveexec_b32 s62, s63
	s_delay_alu instid0(SALU_CYCLE_1)
	s_xor_b32 s62, exec_lo, s62
	s_cbranch_execz .LBB10_1219
; %bb.1218:                             ;   in Loop: Header=BB10_632 Depth=3
	ds_store_b32 v0, v89
	s_trap 2
.LBB10_1219:                            ;   in Loop: Header=BB10_632 Depth=3
	s_or_b32 exec_lo, exec_lo, s61
	;;#ASMSTART
	s_wakeup
	;;#ASMEND
.LBB10_1220:                            ;   in Loop: Header=BB10_632 Depth=3
	s_or_b32 exec_lo, exec_lo, s60
.LBB10_1221:                            ;   in Loop: Header=BB10_632 Depth=3
	s_and_not1_saveexec_b32 s41, s41
	s_cbranch_execz .LBB10_1223
; %bb.1222:                             ;   in Loop: Header=BB10_632 Depth=3
	;;#ASMSTART
	s_waitcnt lgkmcnt(0) vmcnt(0)
	;;#ASMEND
	s_barrier_signal -1
	s_barrier_wait -1
.LBB10_1223:                            ;   in Loop: Header=BB10_632 Depth=3
	s_or_b32 exec_lo, exec_lo, s41
	v_and_b32_e32 v1, 16, v30
.LBB10_1224:                            ;   in Loop: Header=BB10_632 Depth=3
	s_or_b32 exec_lo, exec_lo, s13
	s_delay_alu instid0(VALU_DEP_1) | instskip(SKIP_1) | instid1(SALU_CYCLE_1)
	v_cmp_ne_u32_e32 vcc_lo, 0, v1
	s_xor_b32 s13, s4, -1
	s_and_b32 s41, vcc_lo, s13
	s_delay_alu instid0(SALU_CYCLE_1)
	s_and_saveexec_b32 s13, s41
	s_cbranch_execz .LBB10_1226
; %bb.1225:                             ;   in Loop: Header=BB10_632 Depth=3
	global_wb scope:SCOPE_SYS
	s_wait_storecnt 0x0
	s_wait_loadcnt_dscnt 0x0
	flat_store_b32 v[38:39], v89 scope:SCOPE_SYS
.LBB10_1226:                            ;   in Loop: Header=BB10_632 Depth=3
	s_wait_xcnt 0x0
	s_or_b32 exec_lo, exec_lo, s13
	v_and_b32_e32 v1, 48, v30
	s_mov_b32 s13, exec_lo
	s_delay_alu instid0(VALU_DEP_1)
	v_cmpx_ne_u32_e32 0, v1
	s_cbranch_execz .LBB10_631
; %bb.1227:                             ;   in Loop: Header=BB10_632 Depth=3
	v_add_nc_u64_e32 v[116:117], 2, v[116:117]
	global_wb scope:SCOPE_SYS
	s_wait_storecnt 0x0
	s_wait_loadcnt_dscnt 0x0
	flat_store_b64 v[32:33], v[116:117] scope:SCOPE_SYS
	s_branch .LBB10_631
.LBB10_1228:                            ;   in Loop: Header=BB10_629 Depth=2
	s_or_b32 exec_lo, exec_lo, s18
.LBB10_1229:                            ;   in Loop: Header=BB10_629 Depth=2
	s_delay_alu instid0(SALU_CYCLE_1) | instskip(NEXT) | instid1(SALU_CYCLE_1)
	s_or_b32 exec_lo, exec_lo, s15
	s_mov_b32 s15, exec_lo
	v_cmpx_gt_i32_e32 2, v1
	s_cbranch_execz .LBB10_628
; %bb.1230:                             ;   in Loop: Header=BB10_629 Depth=2
	v_cmp_eq_u32_e64 s27, 0, v1
	s_mov_b32 s18, 0
	s_branch .LBB10_1232
.LBB10_1231:                            ;   in Loop: Header=BB10_1232 Depth=3
	s_wait_xcnt 0x0
	s_or_b32 exec_lo, exec_lo, s13
	v_add_nc_u32_e32 v44, v42, v44
	s_mov_b32 s27, 0
	s_and_not1_b32 exec_lo, exec_lo, s18
	s_cbranch_execz .LBB10_627
.LBB10_1232:                            ;   Parent Loop BB10_47 Depth=1
                                        ;     Parent Loop BB10_629 Depth=2
                                        ; =>    This Loop Header: Depth=3
                                        ;         Child Loop BB10_1238 Depth 4
                                        ;         Child Loop BB10_1266 Depth 4
	;; [unrolled: 1-line block ×3, first 2 shown]
	s_delay_alu instid0(VALU_DEP_1) | instskip(SKIP_1) | instid1(VALU_DEP_1)
	v_dual_sub_nc_u32 v1, v74, v44 :: v_dual_bitop2_b32 v2, 12, v30 bitop3:0x40
	s_mov_b32 s40, exec_lo
	v_min_i32_e32 v42, v42, v1
	s_delay_alu instid0(VALU_DEP_2)
	v_cmpx_ne_u32_e32 0, v2
	s_cbranch_execz .LBB10_1258
; %bb.1233:                             ;   in Loop: Header=BB10_1232 Depth=3
	v_and_b32_e32 v2, 8, v30
	v_add_nc_u64_e32 v[8:9], 2, v[116:117]
	s_mov_b32 s41, exec_lo
	s_wait_loadcnt_dscnt 0x1
	s_delay_alu instid0(VALU_DEP_2) | instskip(NEXT) | instid1(VALU_DEP_1)
	v_add_nc_u64_e32 v[4:5], v[50:51], v[2:3]
	v_cmpx_lt_u64_e64 v[4:5], v[8:9]
	s_cbranch_execz .LBB10_1245
; %bb.1234:                             ;   in Loop: Header=BB10_1232 Depth=3
	v_and_b32_e32 v1, 64, v30
	s_mov_b32 s60, 0
	s_mov_b32 s72, 0
                                        ; implicit-def: $sgpr61
                                        ; implicit-def: $sgpr62
                                        ; implicit-def: $sgpr63
	s_delay_alu instid0(VALU_DEP_1)
	v_cmp_eq_u32_e32 vcc_lo, 0, v1
	s_branch .LBB10_1238
.LBB10_1235:                            ;   in Loop: Header=BB10_1238 Depth=4
	s_wait_loadcnt_dscnt 0x0
	v_add_nc_u64_e32 v[4:5], v[50:51], v[2:3]
	s_or_b32 s75, s75, exec_lo
	s_delay_alu instid0(VALU_DEP_1)
	v_cmp_ge_u64_e64 s13, v[4:5], v[8:9]
	s_or_not1_b32 s74, s13, exec_lo
.LBB10_1236:                            ;   in Loop: Header=BB10_1238 Depth=4
	s_or_b32 exec_lo, exec_lo, s77
	s_delay_alu instid0(SALU_CYCLE_1)
	s_and_not1_b32 s13, s63, exec_lo
	s_and_b32 s63, s75, exec_lo
	s_and_not1_b32 s62, s62, exec_lo
	s_and_b32 s74, s74, exec_lo
	s_or_b32 s63, s13, s63
	s_or_b32 s62, s62, s74
.LBB10_1237:                            ;   in Loop: Header=BB10_1238 Depth=4
	s_or_b32 exec_lo, exec_lo, s73
	s_delay_alu instid0(SALU_CYCLE_1) | instskip(NEXT) | instid1(SALU_CYCLE_1)
	s_and_b32 s13, exec_lo, s62
	s_or_b32 s60, s13, s60
	s_and_not1_b32 s13, s61, exec_lo
	s_and_b32 s61, s63, exec_lo
	s_delay_alu instid0(SALU_CYCLE_1)
	s_or_b32 s61, s13, s61
	s_and_not1_b32 exec_lo, exec_lo, s60
	s_cbranch_execz .LBB10_1242
.LBB10_1238:                            ;   Parent Loop BB10_47 Depth=1
                                        ;     Parent Loop BB10_629 Depth=2
                                        ;       Parent Loop BB10_1232 Depth=3
                                        ; =>      This Inner Loop Header: Depth=4
	s_sleep 1
	s_wait_loadcnt_dscnt 0x0
	flat_load_b64 v[50:51], v[32:33] scope:SCOPE_SYS
	s_or_b32 s63, s63, exec_lo
	s_or_b32 s62, s62, exec_lo
                                        ; implicit-def: $vgpr1
	s_wait_xcnt 0x0
	s_and_saveexec_b32 s73, vcc_lo
	s_cbranch_execz .LBB10_1237
; %bb.1239:                             ;   in Loop: Header=BB10_1238 Depth=4
	s_cmp_lt_i32 s72, 0x270f
	s_mov_b32 s74, -1
	s_cselect_b32 s76, -1, 0
	s_cmp_gt_i32 s72, 0x270e
	s_cbranch_scc0 .LBB10_1241
; %bb.1240:                             ;   in Loop: Header=BB10_1238 Depth=4
	s_trap 2
	ds_load_b64 v[4:5], v0
	s_and_not1_b32 s72, s76, exec_lo
	s_mov_b32 s75, 0
	s_wait_storecnt 0x0
	s_wait_loadcnt_dscnt 0x0
	flat_load_b32 v1, v[4:5] scope:SCOPE_SYS
	s_wait_loadcnt_dscnt 0x0
	global_inv scope:SCOPE_SYS
	v_cmp_eq_u32_e64 s13, 0, v1
	s_and_b32 s13, s13, exec_lo
	s_delay_alu instid0(SALU_CYCLE_1)
	s_or_b32 s76, s72, s13
	s_mov_b32 s72, 0
	s_wait_xcnt 0x0
	s_and_saveexec_b32 s77, s76
	s_cbranch_execz .LBB10_1236
	s_branch .LBB10_1235
.LBB10_1241:                            ;   in Loop: Header=BB10_1238 Depth=4
	s_add_co_i32 s72, s72, 1
	s_mov_b32 s75, -1
                                        ; implicit-def: $vgpr1
	s_and_saveexec_b32 s77, s76
	s_cbranch_execz .LBB10_1236
	s_branch .LBB10_1235
.LBB10_1242:                            ;   in Loop: Header=BB10_1232 Depth=3
	s_or_b32 exec_lo, exec_lo, s60
	s_xor_b32 s13, s61, -1
	s_delay_alu instid0(SALU_CYCLE_1) | instskip(NEXT) | instid1(SALU_CYCLE_1)
	s_and_saveexec_b32 s60, s13
	s_xor_b32 s13, exec_lo, s60
	s_cbranch_execz .LBB10_1244
; %bb.1243:                             ;   in Loop: Header=BB10_1232 Depth=3
	v_or_b32_e32 v30, 64, v30
	s_wait_storecnt 0x0
	s_wait_loadcnt_dscnt 0x0
	ds_store_b32 v0, v1
	s_trap 2
.LBB10_1244:                            ;   in Loop: Header=BB10_1232 Depth=3
	s_or_b32 exec_lo, exec_lo, s13
.LBB10_1245:                            ;   in Loop: Header=BB10_1232 Depth=3
	s_delay_alu instid0(SALU_CYCLE_1) | instskip(SKIP_3) | instid1(VALU_DEP_1)
	s_or_b32 exec_lo, exec_lo, s41
	v_and_b32_e32 v1, 0x108, v30
	s_mov_b32 s13, exec_lo
	;;#ASMSTART
	s_wakeup
	;;#ASMEND
                                        ; implicit-def: $vgpr10_vgpr11
	v_cmpx_ne_u32_e32 0x108, v1
	s_xor_b32 s13, exec_lo, s13
; %bb.1246:                             ;   in Loop: Header=BB10_1232 Depth=3
	v_dual_mov_b32 v11, v3 :: v_dual_bitop2_b32 v10, 7, v116 bitop3:0x40
                                        ; implicit-def: $vgpr116_vgpr117
; %bb.1247:                             ;   in Loop: Header=BB10_1232 Depth=3
	s_and_not1_saveexec_b32 s13, s13
	s_cbranch_execz .LBB10_1249
; %bb.1248:                             ;   in Loop: Header=BB10_1232 Depth=3
	v_dual_ashrrev_i32 v43, 31, v42 :: v_dual_bitop2_b32 v10, 7, v116 bitop3:0x40
	v_mov_b32_e32 v11, v3
	s_delay_alu instid0(VALU_DEP_2) | instskip(NEXT) | instid1(VALU_DEP_3)
	v_mad_nc_u64_u32 v[4:5], v10, 24, v[6:7]
	v_lshlrev_b64_e32 v[12:13], 1, v[42:43]
	flat_store_b64 v[4:5], v[12:13] offset:8
.LBB10_1249:                            ;   in Loop: Header=BB10_1232 Depth=3
	s_wait_xcnt 0x0
	s_or_b32 exec_lo, exec_lo, s13
	v_and_b32_e32 v1, 0x100, v30
	s_mov_b32 s13, -1
	s_mov_b32 s41, exec_lo
                                        ; implicit-def: $vgpr12_vgpr13
	s_delay_alu instid0(VALU_DEP_1)
	v_cmpx_ne_u32_e32 0, v1
	s_cbranch_execz .LBB10_1253
; %bb.1250:                             ;   in Loop: Header=BB10_1232 Depth=3
	v_mad_nc_u64_u32 v[14:15], v10, 24, v[6:7]
	s_mov_b32 s60, exec_lo
                                        ; implicit-def: $vgpr12_vgpr13
	s_delay_alu instid0(VALU_DEP_1)
	v_mad_u32 v15, v11, 24, v15
	flat_load_b32 v1, v[14:15]
	s_wait_loadcnt_dscnt 0x0
	v_cmp_ne_u32_e32 vcc_lo, 1, v1
	s_wait_xcnt 0x0
	v_cmpx_eq_u32_e32 1, v1
	s_cbranch_execz .LBB10_1252
; %bb.1251:                             ;   in Loop: Header=BB10_1232 Depth=3
	flat_load_b32 v4, v[14:15] offset:4 scope:SCOPE_SYS
	s_wait_loadcnt_dscnt 0x0
	v_ashrrev_i32_e32 v5, 31, v4
	s_delay_alu instid0(VALU_DEP_1)
	v_lshrrev_b64 v[12:13], 1, v[4:5]
.LBB10_1252:                            ;   in Loop: Header=BB10_1232 Depth=3
	s_wait_xcnt 0x0
	s_or_b32 exec_lo, exec_lo, s60
	s_delay_alu instid0(SALU_CYCLE_1)
	s_or_not1_b32 s13, vcc_lo, exec_lo
.LBB10_1253:                            ;   in Loop: Header=BB10_1232 Depth=3
	s_or_b32 exec_lo, exec_lo, s41
	s_and_saveexec_b32 s41, s13
; %bb.1254:                             ;   in Loop: Header=BB10_1232 Depth=3
	v_mul_u64_e32 v[12:13], v[10:11], v[34:35]
; %bb.1255:                             ;   in Loop: Header=BB10_1232 Depth=3
	s_or_b32 exec_lo, exec_lo, s41
	v_cmp_eq_u32_e32 vcc_lo, 0, v2
	v_and_b32_e32 v2, 0x2000, v30
	s_delay_alu instid0(VALU_DEP_3) | instskip(SKIP_2) | instid1(VALU_DEP_1)
	v_lshl_add_u64 v[4:5], v[12:13], 1, v[36:37]
	s_mov_b32 s13, exec_lo
	v_cndmask_b32_e32 v1, 0xc8, v90, vcc_lo
	v_add_nc_u32_e32 v1, v0, v1
	ds_store_b64 v1, v[4:5] offset:584
	v_cmpx_ne_u32_e32 0, v2
	s_cbranch_execz .LBB10_1257
; %bb.1256:                             ;   in Loop: Header=BB10_1232 Depth=3
	ds_load_b64 v[4:5], v0 offset:872
	s_wait_dscnt 0x0
	v_add_nc_u64_e32 v[4:5], 1, v[4:5]
	ds_store_b64 v0, v[4:5] offset:872
.LBB10_1257:                            ;   in Loop: Header=BB10_1232 Depth=3
	s_or_b32 exec_lo, exec_lo, s13
	v_mov_b64_e32 v[116:117], v[8:9]
.LBB10_1258:                            ;   in Loop: Header=BB10_1232 Depth=3
	s_or_b32 exec_lo, exec_lo, s40
	s_xor_b32 s13, s27, -1
	s_delay_alu instid0(SALU_CYCLE_1) | instskip(NEXT) | instid1(SALU_CYCLE_1)
	s_and_b32 s13, exec_lo, s13
	s_or_b32 s18, s13, s18
	s_and_saveexec_b32 s13, s2
	s_cbranch_execz .LBB10_1277
; %bb.1259:                             ;   in Loop: Header=BB10_1232 Depth=3
	s_and_saveexec_b32 s27, s3
	s_delay_alu instid0(SALU_CYCLE_1)
	s_xor_b32 s27, exec_lo, s27
	s_cbranch_execz .LBB10_1274
; %bb.1260:                             ;   in Loop: Header=BB10_1232 Depth=3
	s_and_saveexec_b32 s40, s6
	s_cbranch_execz .LBB10_1273
; %bb.1261:                             ;   in Loop: Header=BB10_1232 Depth=3
	s_mov_b32 s60, exec_lo
	s_mov_b32 s41, exec_lo
	v_mbcnt_lo_u32_b32 v1, s60, 0
	global_wb scope:SCOPE_DEV
	s_wait_storecnt 0x0
	s_wait_loadcnt_dscnt 0x0
	global_inv scope:SCOPE_DEV
	v_cmpx_eq_u32_e32 0, v1
	s_cbranch_execz .LBB10_1263
; %bb.1262:                             ;   in Loop: Header=BB10_1232 Depth=3
	s_bcnt1_i32_b32 s60, s60
	s_delay_alu instid0(SALU_CYCLE_1)
	v_mov_b32_e32 v2, s60
	s_wait_loadcnt 0x0
	ds_add_u64 v0, v[2:3]
	s_trap 2
.LBB10_1263:                            ;   in Loop: Header=BB10_1232 Depth=3
	s_or_b32 exec_lo, exec_lo, s41
	s_trap 2
	ds_load_b64 v[4:5], v0
	s_wait_dscnt 0x0
	v_add_nc_u64_e32 v[48:49], v[48:49], v[52:53]
	s_mov_b32 s41, exec_lo
	s_delay_alu instid0(VALU_DEP_1)
	v_cmpx_lt_u64_e64 v[4:5], v[48:49]
	s_cbranch_execz .LBB10_1272
; %bb.1264:                             ;   in Loop: Header=BB10_1232 Depth=3
	s_mov_b32 s60, 0
	s_mov_b32 s63, 0
                                        ; implicit-def: $sgpr61
                                        ; implicit-def: $sgpr62
	s_branch .LBB10_1266
.LBB10_1265:                            ;   in Loop: Header=BB10_1266 Depth=4
	s_or_b32 exec_lo, exec_lo, s73
	s_delay_alu instid0(SALU_CYCLE_1) | instskip(NEXT) | instid1(SALU_CYCLE_1)
	s_and_b32 s72, exec_lo, s74
	s_or_b32 s60, s72, s60
	s_and_not1_b32 s61, s61, exec_lo
	s_and_b32 s72, s62, exec_lo
	s_delay_alu instid0(SALU_CYCLE_1)
	s_or_b32 s61, s61, s72
	s_and_not1_b32 exec_lo, exec_lo, s60
	s_cbranch_execz .LBB10_1270
.LBB10_1266:                            ;   Parent Loop BB10_47 Depth=1
                                        ;     Parent Loop BB10_629 Depth=2
                                        ;       Parent Loop BB10_1232 Depth=3
                                        ; =>      This Inner Loop Header: Depth=4
	s_add_co_i32 s63, s63, 1
	s_delay_alu instid0(SALU_CYCLE_1) | instskip(SKIP_1) | instid1(SALU_CYCLE_1)
	s_cmp_lg_u32 s63, 0x2710
	s_cselect_b32 s72, -1, 0
	s_and_b32 vcc_lo, exec_lo, s72
	s_cbranch_vccz .LBB10_1268
; %bb.1267:                             ;   in Loop: Header=BB10_1266 Depth=4
	s_mov_b32 s74, -1
	s_or_b32 s62, s62, exec_lo
	s_and_saveexec_b32 s73, s72
	s_cbranch_execz .LBB10_1265
	s_branch .LBB10_1269
.LBB10_1268:                            ;   in Loop: Header=BB10_1266 Depth=4
	s_trap 2
	ds_load_b64 v[4:5], v0
	s_and_not1_b32 s72, s72, exec_lo
	s_mov_b32 s63, 0
	s_wait_loadcnt_dscnt 0x0
	flat_load_b32 v1, v[4:5] scope:SCOPE_SYS
	s_wait_loadcnt_dscnt 0x0
	global_inv scope:SCOPE_SYS
	v_cmp_eq_u32_e32 vcc_lo, 0, v1
	s_and_b32 s73, vcc_lo, exec_lo
	s_delay_alu instid0(SALU_CYCLE_1)
	s_or_b32 s72, s72, s73
	s_mov_b32 s74, -1
	s_or_b32 s62, s62, exec_lo
	s_wait_xcnt 0x0
	s_and_saveexec_b32 s73, s72
	s_cbranch_execz .LBB10_1265
.LBB10_1269:                            ;   in Loop: Header=BB10_1266 Depth=4
	s_sleep 1
	s_trap 2
	ds_load_b64 v[4:5], v0
	s_wait_dscnt 0x0
	s_and_not1_b32 s62, s62, exec_lo
	v_cmp_ge_u64_e32 vcc_lo, v[4:5], v[48:49]
	s_or_not1_b32 s74, vcc_lo, exec_lo
	s_branch .LBB10_1265
.LBB10_1270:                            ;   in Loop: Header=BB10_1232 Depth=3
	s_or_b32 exec_lo, exec_lo, s60
	s_and_saveexec_b32 s60, s61
	s_delay_alu instid0(SALU_CYCLE_1)
	s_xor_b32 s60, exec_lo, s60
	s_cbranch_execz .LBB10_1272
; %bb.1271:                             ;   in Loop: Header=BB10_1232 Depth=3
	ds_store_b32 v0, v89
	s_trap 2
.LBB10_1272:                            ;   in Loop: Header=BB10_1232 Depth=3
	s_or_b32 exec_lo, exec_lo, s41
	;;#ASMSTART
	s_wakeup
	;;#ASMEND
.LBB10_1273:                            ;   in Loop: Header=BB10_1232 Depth=3
	s_or_b32 exec_lo, exec_lo, s40
.LBB10_1274:                            ;   in Loop: Header=BB10_1232 Depth=3
	s_and_not1_saveexec_b32 s27, s27
	s_cbranch_execz .LBB10_1276
; %bb.1275:                             ;   in Loop: Header=BB10_1232 Depth=3
	global_wb scope:SCOPE_DEV
	s_wait_storecnt 0x0
	s_wait_loadcnt_dscnt 0x0
	global_inv scope:SCOPE_DEV
	s_barrier_signal -1
	s_barrier_wait -1
.LBB10_1276:                            ;   in Loop: Header=BB10_1232 Depth=3
	s_or_b32 exec_lo, exec_lo, s27
.LBB10_1277:                            ;   in Loop: Header=BB10_1232 Depth=3
	s_delay_alu instid0(SALU_CYCLE_1) | instskip(SKIP_1) | instid1(SALU_CYCLE_1)
	s_or_b32 exec_lo, exec_lo, s13
                                        ; implicit-def: $vgpr1
	s_and_saveexec_b32 s13, s47
	s_xor_b32 s13, exec_lo, s13
	s_cbranch_execz .LBB10_1289
; %bb.1278:                             ;   in Loop: Header=BB10_1232 Depth=3
	s_and_saveexec_b32 s27, s3
	s_delay_alu instid0(SALU_CYCLE_1)
	s_xor_b32 s27, exec_lo, s27
	s_cbranch_execz .LBB10_1294
; %bb.1279:                             ;   in Loop: Header=BB10_1232 Depth=3
	s_and_saveexec_b32 s40, s6
	s_cbranch_execz .LBB10_1293
; %bb.1280:                             ;   in Loop: Header=BB10_1232 Depth=3
	s_mov_b32 s60, exec_lo
	s_mov_b32 s41, exec_lo
	v_mbcnt_lo_u32_b32 v1, s60, 0
	;;#ASMSTART
	s_waitcnt lgkmcnt(0) vmcnt(0)
	;;#ASMEND
	s_delay_alu instid0(VALU_DEP_1)
	v_cmpx_eq_u32_e32 0, v1
	s_cbranch_execz .LBB10_1282
; %bb.1281:                             ;   in Loop: Header=BB10_1232 Depth=3
	s_bcnt1_i32_b32 s60, s60
	s_delay_alu instid0(SALU_CYCLE_1)
	v_mov_b32_e32 v2, s60
	s_wait_storecnt 0x0
	s_wait_loadcnt_dscnt 0x0
	ds_add_u64 v0, v[2:3]
	s_trap 2
.LBB10_1282:                            ;   in Loop: Header=BB10_1232 Depth=3
	s_or_b32 exec_lo, exec_lo, s41
	s_trap 2
	ds_load_b64 v[4:5], v0
	s_wait_dscnt 0x0
	v_add_nc_u64_e32 v[48:49], v[48:49], v[52:53]
	s_mov_b32 s41, exec_lo
	s_delay_alu instid0(VALU_DEP_1)
	v_cmpx_lt_u64_e64 v[4:5], v[48:49]
	s_cbranch_execz .LBB10_1292
; %bb.1283:                             ;   in Loop: Header=BB10_1232 Depth=3
	s_mov_b32 s60, 0
	s_mov_b32 s63, 0
                                        ; implicit-def: $sgpr61
                                        ; implicit-def: $sgpr62
	s_branch .LBB10_1285
.LBB10_1284:                            ;   in Loop: Header=BB10_1285 Depth=4
	s_or_b32 exec_lo, exec_lo, s73
	s_delay_alu instid0(SALU_CYCLE_1) | instskip(NEXT) | instid1(SALU_CYCLE_1)
	s_and_b32 s72, exec_lo, s74
	s_or_b32 s60, s72, s60
	s_and_not1_b32 s61, s61, exec_lo
	s_and_b32 s72, s62, exec_lo
	s_delay_alu instid0(SALU_CYCLE_1)
	s_or_b32 s61, s61, s72
	s_and_not1_b32 exec_lo, exec_lo, s60
	s_cbranch_execz .LBB10_1290
.LBB10_1285:                            ;   Parent Loop BB10_47 Depth=1
                                        ;     Parent Loop BB10_629 Depth=2
                                        ;       Parent Loop BB10_1232 Depth=3
                                        ; =>      This Inner Loop Header: Depth=4
	s_add_co_i32 s63, s63, 1
	s_delay_alu instid0(SALU_CYCLE_1) | instskip(SKIP_1) | instid1(SALU_CYCLE_1)
	s_cmp_lg_u32 s63, 0x2710
	s_cselect_b32 s72, -1, 0
	s_and_b32 vcc_lo, exec_lo, s72
	s_cbranch_vccz .LBB10_1287
; %bb.1286:                             ;   in Loop: Header=BB10_1285 Depth=4
	s_mov_b32 s74, -1
	s_or_b32 s62, s62, exec_lo
	s_and_saveexec_b32 s73, s72
	s_cbranch_execz .LBB10_1284
	s_branch .LBB10_1288
.LBB10_1287:                            ;   in Loop: Header=BB10_1285 Depth=4
	s_trap 2
	ds_load_b64 v[4:5], v0
	s_and_not1_b32 s72, s72, exec_lo
	s_mov_b32 s63, 0
	s_wait_storecnt 0x0
	s_wait_loadcnt_dscnt 0x0
	flat_load_b32 v1, v[4:5] scope:SCOPE_SYS
	s_wait_loadcnt_dscnt 0x0
	global_inv scope:SCOPE_SYS
	v_cmp_eq_u32_e32 vcc_lo, 0, v1
	s_and_b32 s73, vcc_lo, exec_lo
	s_delay_alu instid0(SALU_CYCLE_1)
	s_or_b32 s72, s72, s73
	s_mov_b32 s74, -1
	s_or_b32 s62, s62, exec_lo
	s_wait_xcnt 0x0
	s_and_saveexec_b32 s73, s72
	s_cbranch_execz .LBB10_1284
.LBB10_1288:                            ;   in Loop: Header=BB10_1285 Depth=4
	s_sleep 1
	s_trap 2
	ds_load_b64 v[4:5], v0
	s_wait_dscnt 0x0
	s_and_not1_b32 s62, s62, exec_lo
	v_cmp_ge_u64_e32 vcc_lo, v[4:5], v[48:49]
	s_or_not1_b32 s74, vcc_lo, exec_lo
	s_branch .LBB10_1284
.LBB10_1289:                            ;   in Loop: Header=BB10_1232 Depth=3
	s_and_not1_saveexec_b32 s27, s13
	s_cbranch_execnz .LBB10_1297
	s_branch .LBB10_1300
.LBB10_1290:                            ;   in Loop: Header=BB10_1232 Depth=3
	s_or_b32 exec_lo, exec_lo, s60
	s_and_saveexec_b32 s60, s61
	s_delay_alu instid0(SALU_CYCLE_1)
	s_xor_b32 s60, exec_lo, s60
	s_cbranch_execz .LBB10_1292
; %bb.1291:                             ;   in Loop: Header=BB10_1232 Depth=3
	ds_store_b32 v0, v89
	s_trap 2
.LBB10_1292:                            ;   in Loop: Header=BB10_1232 Depth=3
	s_or_b32 exec_lo, exec_lo, s41
	;;#ASMSTART
	s_wakeup
	;;#ASMEND
.LBB10_1293:                            ;   in Loop: Header=BB10_1232 Depth=3
	s_or_b32 exec_lo, exec_lo, s40
.LBB10_1294:                            ;   in Loop: Header=BB10_1232 Depth=3
	s_and_not1_saveexec_b32 s27, s27
	s_cbranch_execz .LBB10_1296
; %bb.1295:                             ;   in Loop: Header=BB10_1232 Depth=3
	;;#ASMSTART
	s_waitcnt lgkmcnt(0) vmcnt(0)
	;;#ASMEND
	s_barrier_signal -1
	s_barrier_wait -1
.LBB10_1296:                            ;   in Loop: Header=BB10_1232 Depth=3
	s_or_b32 exec_lo, exec_lo, s27
	v_and_b32_e32 v1, 16, v30
	s_and_not1_saveexec_b32 s27, s13
	s_cbranch_execz .LBB10_1300
.LBB10_1297:                            ;   in Loop: Header=BB10_1232 Depth=3
	s_trap 2
	ds_load_b32 v1, v0
	v_cmp_lt_i32_e32 vcc_lo, 0, v42
	s_wait_dscnt 0x0
	v_readfirstlane_b32 s13, v1
	v_and_b32_e32 v1, 16, v30
	s_cmp_eq_u32 s13, 0
	s_delay_alu instid0(VALU_DEP_1) | instskip(SKIP_3) | instid1(SALU_CYCLE_1)
	v_cmp_ne_u32_e64 s13, 0, v1
	s_cselect_b32 s40, -1, 0
	v_and_b32_e32 v1, 16, v30
	s_and_b32 s40, vcc_lo, s40
	s_and_b32 s40, s13, s40
	s_delay_alu instid0(SALU_CYCLE_1)
	s_and_saveexec_b32 s13, s40
	s_cbranch_execz .LBB10_1299
; %bb.1298:                             ;   in Loop: Header=BB10_1232 Depth=3
	v_mov_b32_e32 v1, 1
	global_wb scope:SCOPE_SYS
	s_wait_loadcnt 0x0
	s_wait_storecnt 0x0
	global_inv scope:SCOPE_SYS
.LBB10_1299:                            ;   in Loop: Header=BB10_1232 Depth=3
	s_or_b32 exec_lo, exec_lo, s13
.LBB10_1300:                            ;   in Loop: Header=BB10_1232 Depth=3
	s_delay_alu instid0(SALU_CYCLE_1) | instskip(NEXT) | instid1(VALU_DEP_1)
	s_or_b32 exec_lo, exec_lo, s27
	v_cmp_ne_u32_e32 vcc_lo, 0, v1
	s_xor_b32 s13, s4, -1
	s_delay_alu instid0(SALU_CYCLE_1) | instskip(NEXT) | instid1(SALU_CYCLE_1)
	s_and_b32 s27, vcc_lo, s13
	s_and_saveexec_b32 s13, s27
	s_cbranch_execz .LBB10_1302
; %bb.1301:                             ;   in Loop: Header=BB10_1232 Depth=3
	global_wb scope:SCOPE_SYS
	s_wait_storecnt 0x0
	s_wait_loadcnt_dscnt 0x0
	flat_store_b32 v[38:39], v89 scope:SCOPE_SYS
.LBB10_1302:                            ;   in Loop: Header=BB10_1232 Depth=3
	s_wait_xcnt 0x0
	s_or_b32 exec_lo, exec_lo, s13
	v_and_b32_e32 v1, 48, v30
	s_mov_b32 s13, exec_lo
	s_delay_alu instid0(VALU_DEP_1)
	v_cmpx_ne_u32_e32 0, v1
	s_cbranch_execz .LBB10_1231
; %bb.1303:                             ;   in Loop: Header=BB10_1232 Depth=3
	v_add_nc_u64_e32 v[116:117], 2, v[116:117]
	global_wb scope:SCOPE_SYS
	s_wait_storecnt 0x0
	s_wait_loadcnt_dscnt 0x0
	flat_store_b64 v[32:33], v[116:117] scope:SCOPE_SYS
	s_branch .LBB10_1231
.LBB10_1304:                            ;   in Loop: Header=BB10_47 Depth=1
	s_clause 0x1
	scratch_load_b64 v[10:11], off, s33 offset:204
	scratch_load_b64 v[4:5], off, s33 offset:196
	v_mov_b32_e32 v44, 0
	s_wait_loadcnt 0x1
	v_mul_u64_e32 v[8:9], s[16:17], v[10:11]
	s_wait_loadcnt 0x0
	s_delay_alu instid0(VALU_DEP_1) | instskip(NEXT) | instid1(VALU_DEP_1)
	v_sub_nc_u64_e32 v[4:5], v[4:5], v[8:9]
	v_min_i64 v[4:5], v[10:11], v[4:5]
	s_delay_alu instid0(VALU_DEP_1) | instskip(SKIP_1) | instid1(VALU_DEP_2)
	v_max_i32_e32 v92, 0, v4
	v_cmp_lt_i32_e32 vcc_lo, 0, v4
	v_add_nc_u32_e32 v1, 31, v92
	s_and_b32 s13, s57, vcc_lo
	s_delay_alu instid0(VALU_DEP_1) | instskip(NEXT) | instid1(VALU_DEP_1)
	v_lshrrev_b32_e32 v1, 1, v1
	v_and_b32_e32 v2, 0x3ffffff0, v1
	s_delay_alu instid0(VALU_DEP_1)
	v_dual_mov_b32 v1, 0 :: v_dual_max_i32 v42, s45, v2
	s_wait_xcnt 0x0
	s_and_saveexec_b32 s18, s13
	s_cbranch_execz .LBB10_2393
; %bb.1305:                             ;   in Loop: Header=BB10_47 Depth=1
	scratch_load_b64 v[4:5], off, s33 offset:188 ; 8-byte Folded Reload
	v_mov_b32_e32 v44, 0
	s_mov_b32 s61, 1
	s_mov_b32 s60, -1
	s_mov_b32 s27, 0
	s_wait_loadcnt 0x0
	v_add_nc_u64_e32 v[4:5], v[8:9], v[4:5]
	s_delay_alu instid0(VALU_DEP_1)
	v_lshlrev_b64_e32 v[46:47], 1, v[4:5]
	s_branch .LBB10_1307
.LBB10_1306:                            ;   in Loop: Header=BB10_1307 Depth=2
	s_wait_xcnt 0x0
	s_or_b32 exec_lo, exec_lo, s13
	v_dual_mov_b32 v1, s61 :: v_dual_add_nc_u32 v44, v42, v44
	s_xor_b32 s13, s60, -1
	s_mov_b32 s60, 0
	s_mov_b32 s61, 2
	s_delay_alu instid0(VALU_DEP_1) | instskip(SKIP_1) | instid1(SALU_CYCLE_1)
	v_cmp_ge_i32_e32 vcc_lo, v44, v92
	s_or_b32 s13, s13, vcc_lo
	s_and_b32 s13, exec_lo, s13
	s_delay_alu instid0(SALU_CYCLE_1) | instskip(NEXT) | instid1(SALU_CYCLE_1)
	s_or_b32 s27, s13, s27
	s_and_not1_b32 exec_lo, exec_lo, s27
	s_cbranch_execz .LBB10_2392
.LBB10_1307:                            ;   Parent Loop BB10_47 Depth=1
                                        ; =>  This Loop Header: Depth=2
                                        ;       Child Loop BB10_1315 Depth 3
                                        ;       Child Loop BB10_1343 Depth 3
	;; [unrolled: 1-line block ×5, first 2 shown]
                                        ;         Child Loop BB10_1715 Depth 4
                                        ;       Child Loop BB10_1723 Depth 3
                                        ;       Child Loop BB10_1855 Depth 3
                                        ;         Child Loop BB10_1864 Depth 4
                                        ;       Child Loop BB10_1877 Depth 3
                                        ;       Child Loop BB10_2138 Depth 3
	;; [unrolled: 1-line block ×6, first 2 shown]
	s_wait_xcnt 0x0
	s_and_saveexec_b32 s13, s0
	s_cbranch_execz .LBB10_1309
; %bb.1308:                             ;   in Loop: Header=BB10_1307 Depth=2
	s_trap 2
	ds_load_b64 v[4:5], v0
	ds_load_2addr_b64 v[8:11], v0 offset1:1
	s_wait_dscnt 0x1
	v_cmp_ne_u64_e32 vcc_lo, 0, v[4:5]
	v_ashrrev_i32_e32 v45, 31, v44
	v_add_nc_u64_e32 v[14:15], v[4:5], v[46:47]
	s_wait_dscnt 0x0
	v_add_nc_u64_e32 v[8:9], v[8:9], v[46:47]
	v_add_nc_u64_e32 v[10:11], v[10:11], v[46:47]
	v_lshlrev_b64_e32 v[12:13], 1, v[44:45]
	s_delay_alu instid0(VALU_DEP_1) | instskip(NEXT) | instid1(VALU_DEP_4)
	v_add_nc_u64_e32 v[14:15], v[14:15], v[12:13]
	v_add_nc_u64_e32 v[4:5], v[8:9], v[12:13]
	s_delay_alu instid0(VALU_DEP_4) | instskip(NEXT) | instid1(VALU_DEP_3)
	v_add_nc_u64_e32 v[8:9], v[10:11], v[12:13]
	v_dual_cndmask_b32 v11, 0, v15 :: v_dual_cndmask_b32 v10, 0, v14
	ds_store_b64 v0, v[4:5]
	ds_store_b64 v0, v[8:9]
	;; [unrolled: 1-line block ×3, first 2 shown]
.LBB10_1309:                            ;   in Loop: Header=BB10_1307 Depth=2
	s_or_b32 exec_lo, exec_lo, s13
	v_dual_sub_nc_u32 v1, v92, v44 :: v_dual_bitop2_b32 v2, 12, v30 bitop3:0x40
	s_mov_b32 s14, exec_lo
	s_delay_alu instid0(VALU_DEP_1) | instskip(NEXT) | instid1(VALU_DEP_2)
	v_min_i32_e32 v42, v42, v1
	v_cmpx_ne_u32_e32 0, v2
	s_cbranch_execz .LBB10_1335
; %bb.1310:                             ;   in Loop: Header=BB10_1307 Depth=2
	v_and_b32_e32 v2, 8, v30
	v_add_nc_u64_e32 v[8:9], 2, v[116:117]
	s_mov_b32 s15, exec_lo
	s_wait_loadcnt_dscnt 0x1
	s_delay_alu instid0(VALU_DEP_2) | instskip(NEXT) | instid1(VALU_DEP_1)
	v_add_nc_u64_e32 v[4:5], v[50:51], v[2:3]
	v_cmpx_lt_u64_e64 v[4:5], v[8:9]
	s_cbranch_execz .LBB10_1322
; %bb.1311:                             ;   in Loop: Header=BB10_1307 Depth=2
	v_and_b32_e32 v1, 64, v30
	s_mov_b32 s40, 0
	s_mov_b32 s72, 0
                                        ; implicit-def: $sgpr41
                                        ; implicit-def: $sgpr62
                                        ; implicit-def: $sgpr63
	s_delay_alu instid0(VALU_DEP_1)
	v_cmp_eq_u32_e32 vcc_lo, 0, v1
	s_branch .LBB10_1315
.LBB10_1312:                            ;   in Loop: Header=BB10_1315 Depth=3
	s_wait_loadcnt_dscnt 0x0
	v_add_nc_u64_e32 v[4:5], v[50:51], v[2:3]
	s_or_b32 s75, s75, exec_lo
	s_delay_alu instid0(VALU_DEP_1)
	v_cmp_ge_u64_e64 s13, v[4:5], v[8:9]
	s_or_not1_b32 s74, s13, exec_lo
.LBB10_1313:                            ;   in Loop: Header=BB10_1315 Depth=3
	s_or_b32 exec_lo, exec_lo, s77
	s_delay_alu instid0(SALU_CYCLE_1)
	s_and_not1_b32 s13, s63, exec_lo
	s_and_b32 s63, s75, exec_lo
	s_and_not1_b32 s62, s62, exec_lo
	s_and_b32 s74, s74, exec_lo
	s_or_b32 s63, s13, s63
	s_or_b32 s62, s62, s74
.LBB10_1314:                            ;   in Loop: Header=BB10_1315 Depth=3
	s_or_b32 exec_lo, exec_lo, s73
	s_delay_alu instid0(SALU_CYCLE_1) | instskip(NEXT) | instid1(SALU_CYCLE_1)
	s_and_b32 s13, exec_lo, s62
	s_or_b32 s40, s13, s40
	s_and_not1_b32 s13, s41, exec_lo
	s_and_b32 s41, s63, exec_lo
	s_delay_alu instid0(SALU_CYCLE_1)
	s_or_b32 s41, s13, s41
	s_and_not1_b32 exec_lo, exec_lo, s40
	s_cbranch_execz .LBB10_1319
.LBB10_1315:                            ;   Parent Loop BB10_47 Depth=1
                                        ;     Parent Loop BB10_1307 Depth=2
                                        ; =>    This Inner Loop Header: Depth=3
	s_sleep 1
	s_wait_loadcnt_dscnt 0x0
	flat_load_b64 v[50:51], v[32:33] scope:SCOPE_SYS
	s_or_b32 s63, s63, exec_lo
	s_or_b32 s62, s62, exec_lo
                                        ; implicit-def: $vgpr1
	s_wait_xcnt 0x0
	s_and_saveexec_b32 s73, vcc_lo
	s_cbranch_execz .LBB10_1314
; %bb.1316:                             ;   in Loop: Header=BB10_1315 Depth=3
	s_cmp_lt_i32 s72, 0x270f
	s_mov_b32 s74, -1
	s_cselect_b32 s76, -1, 0
	s_cmp_gt_i32 s72, 0x270e
	s_cbranch_scc0 .LBB10_1318
; %bb.1317:                             ;   in Loop: Header=BB10_1315 Depth=3
	s_trap 2
	ds_load_b64 v[4:5], v0
	s_and_not1_b32 s72, s76, exec_lo
	s_mov_b32 s75, 0
	s_wait_storecnt 0x0
	s_wait_loadcnt_dscnt 0x0
	flat_load_b32 v1, v[4:5] scope:SCOPE_SYS
	s_wait_loadcnt_dscnt 0x0
	global_inv scope:SCOPE_SYS
	v_cmp_eq_u32_e64 s13, 0, v1
	s_and_b32 s13, s13, exec_lo
	s_delay_alu instid0(SALU_CYCLE_1)
	s_or_b32 s76, s72, s13
	s_mov_b32 s72, 0
	s_wait_xcnt 0x0
	s_and_saveexec_b32 s77, s76
	s_cbranch_execz .LBB10_1313
	s_branch .LBB10_1312
.LBB10_1318:                            ;   in Loop: Header=BB10_1315 Depth=3
	s_add_co_i32 s72, s72, 1
	s_mov_b32 s75, -1
                                        ; implicit-def: $vgpr1
	s_and_saveexec_b32 s77, s76
	s_cbranch_execz .LBB10_1313
	s_branch .LBB10_1312
.LBB10_1319:                            ;   in Loop: Header=BB10_1307 Depth=2
	s_or_b32 exec_lo, exec_lo, s40
	s_xor_b32 s13, s41, -1
	s_delay_alu instid0(SALU_CYCLE_1) | instskip(NEXT) | instid1(SALU_CYCLE_1)
	s_and_saveexec_b32 s40, s13
	s_xor_b32 s13, exec_lo, s40
	s_cbranch_execz .LBB10_1321
; %bb.1320:                             ;   in Loop: Header=BB10_1307 Depth=2
	v_or_b32_e32 v30, 64, v30
	s_wait_storecnt 0x0
	s_wait_loadcnt_dscnt 0x0
	ds_store_b32 v0, v1
	s_trap 2
.LBB10_1321:                            ;   in Loop: Header=BB10_1307 Depth=2
	s_or_b32 exec_lo, exec_lo, s13
.LBB10_1322:                            ;   in Loop: Header=BB10_1307 Depth=2
	s_delay_alu instid0(SALU_CYCLE_1) | instskip(SKIP_3) | instid1(VALU_DEP_1)
	s_or_b32 exec_lo, exec_lo, s15
	v_and_b32_e32 v1, 0x108, v30
	s_mov_b32 s13, exec_lo
	;;#ASMSTART
	s_wakeup
	;;#ASMEND
                                        ; implicit-def: $vgpr10_vgpr11
	v_cmpx_ne_u32_e32 0x108, v1
	s_xor_b32 s13, exec_lo, s13
; %bb.1323:                             ;   in Loop: Header=BB10_1307 Depth=2
	v_dual_mov_b32 v11, v3 :: v_dual_bitop2_b32 v10, 7, v116 bitop3:0x40
                                        ; implicit-def: $vgpr116_vgpr117
; %bb.1324:                             ;   in Loop: Header=BB10_1307 Depth=2
	s_and_not1_saveexec_b32 s13, s13
	s_cbranch_execz .LBB10_1326
; %bb.1325:                             ;   in Loop: Header=BB10_1307 Depth=2
	v_dual_ashrrev_i32 v43, 31, v42 :: v_dual_bitop2_b32 v10, 7, v116 bitop3:0x40
	v_mov_b32_e32 v11, v3
	s_delay_alu instid0(VALU_DEP_2) | instskip(NEXT) | instid1(VALU_DEP_3)
	v_mad_nc_u64_u32 v[4:5], v10, 24, v[6:7]
	v_lshlrev_b64_e32 v[12:13], 1, v[42:43]
	flat_store_b64 v[4:5], v[12:13] offset:8
.LBB10_1326:                            ;   in Loop: Header=BB10_1307 Depth=2
	s_wait_xcnt 0x0
	s_or_b32 exec_lo, exec_lo, s13
	v_and_b32_e32 v1, 0x100, v30
	s_mov_b32 s13, -1
	s_mov_b32 s15, exec_lo
                                        ; implicit-def: $vgpr12_vgpr13
	s_delay_alu instid0(VALU_DEP_1)
	v_cmpx_ne_u32_e32 0, v1
	s_cbranch_execz .LBB10_1330
; %bb.1327:                             ;   in Loop: Header=BB10_1307 Depth=2
	v_mad_nc_u64_u32 v[14:15], v10, 24, v[6:7]
	s_mov_b32 s40, exec_lo
                                        ; implicit-def: $vgpr12_vgpr13
	s_delay_alu instid0(VALU_DEP_1)
	v_mad_u32 v15, v11, 24, v15
	flat_load_b32 v1, v[14:15]
	s_wait_loadcnt_dscnt 0x0
	v_cmp_ne_u32_e32 vcc_lo, 1, v1
	s_wait_xcnt 0x0
	v_cmpx_eq_u32_e32 1, v1
	s_cbranch_execz .LBB10_1329
; %bb.1328:                             ;   in Loop: Header=BB10_1307 Depth=2
	flat_load_b32 v4, v[14:15] offset:4 scope:SCOPE_SYS
	s_wait_loadcnt_dscnt 0x0
	v_ashrrev_i32_e32 v5, 31, v4
	s_delay_alu instid0(VALU_DEP_1)
	v_lshrrev_b64 v[12:13], 1, v[4:5]
.LBB10_1329:                            ;   in Loop: Header=BB10_1307 Depth=2
	s_wait_xcnt 0x0
	s_or_b32 exec_lo, exec_lo, s40
	s_delay_alu instid0(SALU_CYCLE_1)
	s_or_not1_b32 s13, vcc_lo, exec_lo
.LBB10_1330:                            ;   in Loop: Header=BB10_1307 Depth=2
	s_or_b32 exec_lo, exec_lo, s15
	s_and_saveexec_b32 s15, s13
; %bb.1331:                             ;   in Loop: Header=BB10_1307 Depth=2
	v_mul_u64_e32 v[12:13], v[10:11], v[34:35]
; %bb.1332:                             ;   in Loop: Header=BB10_1307 Depth=2
	s_or_b32 exec_lo, exec_lo, s15
	v_cmp_eq_u32_e32 vcc_lo, 0, v2
	v_and_b32_e32 v2, 0x2000, v30
	s_delay_alu instid0(VALU_DEP_3) | instskip(SKIP_2) | instid1(VALU_DEP_1)
	v_lshl_add_u64 v[4:5], v[12:13], 1, v[36:37]
	s_mov_b32 s13, exec_lo
	v_cndmask_b32_e32 v1, 0xd0, v90, vcc_lo
	v_add_nc_u32_e32 v1, v0, v1
	ds_store_b64 v1, v[4:5] offset:584
	v_cmpx_ne_u32_e32 0, v2
	s_cbranch_execz .LBB10_1334
; %bb.1333:                             ;   in Loop: Header=BB10_1307 Depth=2
	ds_load_b64 v[4:5], v0 offset:872
	s_wait_dscnt 0x0
	v_add_nc_u64_e32 v[4:5], 1, v[4:5]
	ds_store_b64 v0, v[4:5] offset:872
.LBB10_1334:                            ;   in Loop: Header=BB10_1307 Depth=2
	s_or_b32 exec_lo, exec_lo, s13
	v_mov_b64_e32 v[116:117], v[8:9]
.LBB10_1335:                            ;   in Loop: Header=BB10_1307 Depth=2
	s_or_b32 exec_lo, exec_lo, s14
	s_and_saveexec_b32 s13, s2
	s_cbranch_execz .LBB10_1354
; %bb.1336:                             ;   in Loop: Header=BB10_1307 Depth=2
	s_and_saveexec_b32 s14, s3
	s_delay_alu instid0(SALU_CYCLE_1)
	s_xor_b32 s14, exec_lo, s14
	s_cbranch_execz .LBB10_1351
; %bb.1337:                             ;   in Loop: Header=BB10_1307 Depth=2
	s_and_saveexec_b32 s15, s6
	s_cbranch_execz .LBB10_1350
; %bb.1338:                             ;   in Loop: Header=BB10_1307 Depth=2
	s_mov_b32 s41, exec_lo
	s_mov_b32 s40, exec_lo
	v_mbcnt_lo_u32_b32 v1, s41, 0
	global_wb scope:SCOPE_DEV
	s_wait_storecnt 0x0
	s_wait_loadcnt_dscnt 0x0
	global_inv scope:SCOPE_DEV
	v_cmpx_eq_u32_e32 0, v1
	s_cbranch_execz .LBB10_1340
; %bb.1339:                             ;   in Loop: Header=BB10_1307 Depth=2
	s_bcnt1_i32_b32 s41, s41
	s_delay_alu instid0(SALU_CYCLE_1)
	v_mov_b32_e32 v2, s41
	s_wait_loadcnt 0x0
	ds_add_u64 v0, v[2:3]
	s_trap 2
.LBB10_1340:                            ;   in Loop: Header=BB10_1307 Depth=2
	s_or_b32 exec_lo, exec_lo, s40
	s_trap 2
	ds_load_b64 v[4:5], v0
	s_wait_dscnt 0x0
	v_add_nc_u64_e32 v[48:49], v[48:49], v[52:53]
	s_mov_b32 s40, exec_lo
	s_delay_alu instid0(VALU_DEP_1)
	v_cmpx_lt_u64_e64 v[4:5], v[48:49]
	s_cbranch_execz .LBB10_1349
; %bb.1341:                             ;   in Loop: Header=BB10_1307 Depth=2
	s_mov_b32 s41, 0
	s_mov_b32 s72, 0
                                        ; implicit-def: $sgpr62
                                        ; implicit-def: $sgpr63
	s_branch .LBB10_1343
.LBB10_1342:                            ;   in Loop: Header=BB10_1343 Depth=3
	s_or_b32 exec_lo, exec_lo, s74
	s_delay_alu instid0(SALU_CYCLE_1) | instskip(NEXT) | instid1(SALU_CYCLE_1)
	s_and_b32 s73, exec_lo, s75
	s_or_b32 s41, s73, s41
	s_and_not1_b32 s62, s62, exec_lo
	s_and_b32 s73, s63, exec_lo
	s_delay_alu instid0(SALU_CYCLE_1)
	s_or_b32 s62, s62, s73
	s_and_not1_b32 exec_lo, exec_lo, s41
	s_cbranch_execz .LBB10_1347
.LBB10_1343:                            ;   Parent Loop BB10_47 Depth=1
                                        ;     Parent Loop BB10_1307 Depth=2
                                        ; =>    This Inner Loop Header: Depth=3
	s_add_co_i32 s72, s72, 1
	s_delay_alu instid0(SALU_CYCLE_1) | instskip(SKIP_1) | instid1(SALU_CYCLE_1)
	s_cmp_lg_u32 s72, 0x2710
	s_cselect_b32 s73, -1, 0
	s_and_b32 vcc_lo, exec_lo, s73
	s_cbranch_vccz .LBB10_1345
; %bb.1344:                             ;   in Loop: Header=BB10_1343 Depth=3
	s_mov_b32 s75, -1
	s_or_b32 s63, s63, exec_lo
	s_and_saveexec_b32 s74, s73
	s_cbranch_execz .LBB10_1342
	s_branch .LBB10_1346
.LBB10_1345:                            ;   in Loop: Header=BB10_1343 Depth=3
	s_trap 2
	ds_load_b64 v[4:5], v0
	s_and_not1_b32 s73, s73, exec_lo
	s_mov_b32 s72, 0
	s_wait_loadcnt_dscnt 0x0
	flat_load_b32 v1, v[4:5] scope:SCOPE_SYS
	s_wait_loadcnt_dscnt 0x0
	global_inv scope:SCOPE_SYS
	v_cmp_eq_u32_e32 vcc_lo, 0, v1
	s_and_b32 s74, vcc_lo, exec_lo
	s_delay_alu instid0(SALU_CYCLE_1)
	s_or_b32 s73, s73, s74
	s_mov_b32 s75, -1
	s_or_b32 s63, s63, exec_lo
	s_wait_xcnt 0x0
	s_and_saveexec_b32 s74, s73
	s_cbranch_execz .LBB10_1342
.LBB10_1346:                            ;   in Loop: Header=BB10_1343 Depth=3
	s_sleep 1
	s_trap 2
	ds_load_b64 v[4:5], v0
	s_wait_dscnt 0x0
	s_and_not1_b32 s63, s63, exec_lo
	v_cmp_ge_u64_e32 vcc_lo, v[4:5], v[48:49]
	s_or_not1_b32 s75, vcc_lo, exec_lo
	s_branch .LBB10_1342
.LBB10_1347:                            ;   in Loop: Header=BB10_1307 Depth=2
	s_or_b32 exec_lo, exec_lo, s41
	s_and_saveexec_b32 s41, s62
	s_delay_alu instid0(SALU_CYCLE_1)
	s_xor_b32 s41, exec_lo, s41
	s_cbranch_execz .LBB10_1349
; %bb.1348:                             ;   in Loop: Header=BB10_1307 Depth=2
	ds_store_b32 v0, v89
	s_trap 2
.LBB10_1349:                            ;   in Loop: Header=BB10_1307 Depth=2
	s_or_b32 exec_lo, exec_lo, s40
	;;#ASMSTART
	s_wakeup
	;;#ASMEND
.LBB10_1350:                            ;   in Loop: Header=BB10_1307 Depth=2
	s_or_b32 exec_lo, exec_lo, s15
.LBB10_1351:                            ;   in Loop: Header=BB10_1307 Depth=2
	s_and_not1_saveexec_b32 s14, s14
	s_cbranch_execz .LBB10_1353
; %bb.1352:                             ;   in Loop: Header=BB10_1307 Depth=2
	global_wb scope:SCOPE_DEV
	s_wait_storecnt 0x0
	s_wait_loadcnt_dscnt 0x0
	global_inv scope:SCOPE_DEV
	s_barrier_signal -1
	s_barrier_wait -1
.LBB10_1353:                            ;   in Loop: Header=BB10_1307 Depth=2
	s_or_b32 exec_lo, exec_lo, s14
.LBB10_1354:                            ;   in Loop: Header=BB10_1307 Depth=2
	s_delay_alu instid0(SALU_CYCLE_1) | instskip(SKIP_4) | instid1(VALU_DEP_1)
	s_or_b32 exec_lo, exec_lo, s13
	s_trap 2
	ds_load_b32 v1, v0
	v_and_b32_e32 v2, 0x4000, v30
	s_xor_b32 s13, s1, -1
	v_cmp_ne_u32_e32 vcc_lo, 0, v2
	s_and_b32 s14, s13, vcc_lo
	s_delay_alu instid0(SALU_CYCLE_1)
	s_and_saveexec_b32 s13, s14
	s_cbranch_execz .LBB10_1373
; %bb.1355:                             ;   in Loop: Header=BB10_1307 Depth=2
	s_and_saveexec_b32 s14, s3
	s_delay_alu instid0(SALU_CYCLE_1)
	s_xor_b32 s14, exec_lo, s14
	s_cbranch_execz .LBB10_1370
; %bb.1356:                             ;   in Loop: Header=BB10_1307 Depth=2
	s_and_saveexec_b32 s15, s6
	s_cbranch_execz .LBB10_1369
; %bb.1357:                             ;   in Loop: Header=BB10_1307 Depth=2
	s_mov_b32 s41, exec_lo
	s_mov_b32 s40, exec_lo
	v_mbcnt_lo_u32_b32 v2, s41, 0
	global_wb scope:SCOPE_DEV
	s_wait_storecnt 0x0
	s_wait_loadcnt_dscnt 0x0
	global_inv scope:SCOPE_DEV
	v_cmpx_eq_u32_e32 0, v2
	s_cbranch_execz .LBB10_1359
; %bb.1358:                             ;   in Loop: Header=BB10_1307 Depth=2
	s_bcnt1_i32_b32 s41, s41
	s_delay_alu instid0(SALU_CYCLE_1)
	v_mov_b32_e32 v2, s41
	s_wait_loadcnt 0x0
	ds_add_u64 v0, v[2:3]
	s_trap 2
.LBB10_1359:                            ;   in Loop: Header=BB10_1307 Depth=2
	s_or_b32 exec_lo, exec_lo, s40
	s_trap 2
	ds_load_b64 v[4:5], v0
	s_wait_dscnt 0x0
	v_add_nc_u64_e32 v[48:49], v[48:49], v[52:53]
	s_mov_b32 s40, exec_lo
	s_delay_alu instid0(VALU_DEP_1)
	v_cmpx_lt_u64_e64 v[4:5], v[48:49]
	s_cbranch_execz .LBB10_1368
; %bb.1360:                             ;   in Loop: Header=BB10_1307 Depth=2
	s_mov_b32 s41, 0
	s_mov_b32 s72, 0
                                        ; implicit-def: $sgpr62
                                        ; implicit-def: $sgpr63
	s_branch .LBB10_1362
.LBB10_1361:                            ;   in Loop: Header=BB10_1362 Depth=3
	s_or_b32 exec_lo, exec_lo, s74
	s_delay_alu instid0(SALU_CYCLE_1) | instskip(NEXT) | instid1(SALU_CYCLE_1)
	s_and_b32 s73, exec_lo, s75
	s_or_b32 s41, s73, s41
	s_and_not1_b32 s62, s62, exec_lo
	s_and_b32 s73, s63, exec_lo
	s_delay_alu instid0(SALU_CYCLE_1)
	s_or_b32 s62, s62, s73
	s_and_not1_b32 exec_lo, exec_lo, s41
	s_cbranch_execz .LBB10_1366
.LBB10_1362:                            ;   Parent Loop BB10_47 Depth=1
                                        ;     Parent Loop BB10_1307 Depth=2
                                        ; =>    This Inner Loop Header: Depth=3
	s_add_co_i32 s72, s72, 1
	s_delay_alu instid0(SALU_CYCLE_1) | instskip(SKIP_1) | instid1(SALU_CYCLE_1)
	s_cmp_lg_u32 s72, 0x2710
	s_cselect_b32 s73, -1, 0
	s_and_b32 vcc_lo, exec_lo, s73
	s_cbranch_vccz .LBB10_1364
; %bb.1363:                             ;   in Loop: Header=BB10_1362 Depth=3
	s_mov_b32 s75, -1
	s_or_b32 s63, s63, exec_lo
	s_and_saveexec_b32 s74, s73
	s_cbranch_execz .LBB10_1361
	s_branch .LBB10_1365
.LBB10_1364:                            ;   in Loop: Header=BB10_1362 Depth=3
	s_trap 2
	ds_load_b64 v[4:5], v0
	s_and_not1_b32 s73, s73, exec_lo
	s_mov_b32 s72, 0
	s_wait_loadcnt_dscnt 0x0
	flat_load_b32 v2, v[4:5] scope:SCOPE_SYS
	s_wait_loadcnt_dscnt 0x0
	global_inv scope:SCOPE_SYS
	v_cmp_eq_u32_e32 vcc_lo, 0, v2
	s_and_b32 s74, vcc_lo, exec_lo
	s_delay_alu instid0(SALU_CYCLE_1)
	s_or_b32 s73, s73, s74
	s_mov_b32 s75, -1
	s_or_b32 s63, s63, exec_lo
	s_wait_xcnt 0x0
	s_and_saveexec_b32 s74, s73
	s_cbranch_execz .LBB10_1361
.LBB10_1365:                            ;   in Loop: Header=BB10_1362 Depth=3
	s_sleep 1
	s_trap 2
	ds_load_b64 v[4:5], v0
	s_wait_dscnt 0x0
	s_and_not1_b32 s63, s63, exec_lo
	v_cmp_ge_u64_e32 vcc_lo, v[4:5], v[48:49]
	s_or_not1_b32 s75, vcc_lo, exec_lo
	s_branch .LBB10_1361
.LBB10_1366:                            ;   in Loop: Header=BB10_1307 Depth=2
	s_or_b32 exec_lo, exec_lo, s41
	s_and_saveexec_b32 s41, s62
	s_delay_alu instid0(SALU_CYCLE_1)
	s_xor_b32 s41, exec_lo, s41
	s_cbranch_execz .LBB10_1368
; %bb.1367:                             ;   in Loop: Header=BB10_1307 Depth=2
	ds_store_b32 v0, v89
	s_trap 2
.LBB10_1368:                            ;   in Loop: Header=BB10_1307 Depth=2
	s_or_b32 exec_lo, exec_lo, s40
	;;#ASMSTART
	s_wakeup
	;;#ASMEND
.LBB10_1369:                            ;   in Loop: Header=BB10_1307 Depth=2
	s_or_b32 exec_lo, exec_lo, s15
.LBB10_1370:                            ;   in Loop: Header=BB10_1307 Depth=2
	s_and_not1_saveexec_b32 s14, s14
	s_cbranch_execz .LBB10_1372
; %bb.1371:                             ;   in Loop: Header=BB10_1307 Depth=2
	global_wb scope:SCOPE_DEV
	s_wait_storecnt 0x0
	s_wait_loadcnt_dscnt 0x0
	global_inv scope:SCOPE_DEV
	s_barrier_signal -1
	s_barrier_wait -1
.LBB10_1372:                            ;   in Loop: Header=BB10_1307 Depth=2
	s_or_b32 exec_lo, exec_lo, s14
.LBB10_1373:                            ;   in Loop: Header=BB10_1307 Depth=2
	s_delay_alu instid0(SALU_CYCLE_1)
	s_or_b32 exec_lo, exec_lo, s13
	s_trap 2
	ds_load_b64 v[56:57], v0
	s_wait_dscnt 0x0
	v_cmp_eq_u64_e32 vcc_lo, 0, v[56:57]
	s_cbranch_vccnz .LBB10_1382
; %bb.1374:                             ;   in Loop: Header=BB10_1307 Depth=2
	s_trap 2
	ds_load_b64 v[58:59], v0
	s_wait_dscnt 0x0
	v_cmp_eq_u64_e32 vcc_lo, 0, v[58:59]
	s_cbranch_vccnz .LBB10_1382
; %bb.1375:                             ;   in Loop: Header=BB10_1307 Depth=2
	s_trap 2
	ds_load_b64 v[60:61], v0
	v_cmp_eq_u32_e32 vcc_lo, 0, v1
	s_mov_b32 s13, -1
	v_cndmask_b32_e32 v2, 0, v42, vcc_lo
	s_delay_alu instid0(VALU_DEP_1)
	v_lshlrev_b32_e32 v43, 1, v2
	s_wait_dscnt 0x0
	v_cmp_ne_u64_e32 vcc_lo, 0, v[60:61]
	s_cbranch_vccz .LBB10_1867
; %bb.1376:                             ;   in Loop: Header=BB10_1307 Depth=2
	s_and_saveexec_b32 s14, s11
	s_cbranch_execz .LBB10_1378
; %bb.1377:                             ;   in Loop: Header=BB10_1307 Depth=2
	ds_load_b32 v1, v0 offset:720
	s_wait_dscnt 0x0
	v_and_b32_e32 v1, 15, v1
	s_delay_alu instid0(VALU_DEP_1)
	v_cmp_eq_u32_e32 vcc_lo, 0, v1
	s_or_not1_b32 s13, vcc_lo, exec_lo
.LBB10_1378:                            ;   in Loop: Header=BB10_1307 Depth=2
	s_or_b32 exec_lo, exec_lo, s14
	s_and_saveexec_b32 s14, s11
	s_cbranch_execz .LBB10_1380
; %bb.1379:                             ;   in Loop: Header=BB10_1307 Depth=2
	ds_load_b32 v1, v0 offset:784
	s_wait_dscnt 0x0
	v_and_b32_e32 v1, 15, v1
	s_delay_alu instid0(VALU_DEP_1) | instskip(SKIP_3) | instid1(SALU_CYCLE_1)
	v_cmp_eq_u32_e32 vcc_lo, 0, v1
	s_and_b32 s15, s13, vcc_lo
	s_and_not1_b32 s13, s13, exec_lo
	s_and_b32 s15, s15, exec_lo
	s_or_b32 s13, s13, s15
.LBB10_1380:                            ;   in Loop: Header=BB10_1307 Depth=2
	s_or_b32 exec_lo, exec_lo, s14
	s_xor_b32 s13, s13, -1
	v_dual_mov_b32 v16, 0 :: v_dual_mov_b32 v17, v43
	v_cndmask_b32_e64 v1, 0, 1, s13
	v_mov_b32_e32 v18, v0
	s_mov_b32 s13, -1
	s_delay_alu instid0(VALU_DEP_2)
	v_cmp_ne_u32_e32 vcc_lo, 0, v1
	s_cbranch_vccz .LBB10_1387
; %bb.1381:                             ;   in Loop: Header=BB10_1307 Depth=2
	s_and_saveexec_b32 s15, s13
	s_cbranch_execnz .LBB10_1720
	s_branch .LBB10_1866
.LBB10_1382:                            ;   in Loop: Header=BB10_1307 Depth=2
	s_mov_b32 s13, 0
	s_and_saveexec_b32 s14, s2
	s_cbranch_execnz .LBB10_2351
.LBB10_1383:                            ;   in Loop: Header=BB10_1307 Depth=2
	s_or_b32 exec_lo, exec_lo, s14
                                        ; implicit-def: $vgpr1
	s_and_saveexec_b32 s14, s12
	s_delay_alu instid0(SALU_CYCLE_1)
	s_xor_b32 s14, exec_lo, s14
	s_cbranch_execz .LBB10_2369
.LBB10_1384:                            ;   in Loop: Header=BB10_1307 Depth=2
	v_and_b32_e32 v1, 16, v30
	s_delay_alu instid0(VALU_DEP_1) | instskip(SKIP_2) | instid1(SALU_CYCLE_1)
	v_cmp_ne_u32_e32 vcc_lo, 0, v1
	v_and_b32_e32 v1, 16, v30
	s_and_b32 s15, vcc_lo, s13
	s_and_saveexec_b32 s13, s15
	s_cbranch_execz .LBB10_1386
; %bb.1385:                             ;   in Loop: Header=BB10_1307 Depth=2
	v_mov_b32_e32 v1, 1
	global_wb scope:SCOPE_SYS
	s_wait_storecnt 0x0
	s_wait_loadcnt_dscnt 0x0
	global_inv scope:SCOPE_SYS
.LBB10_1386:                            ;   in Loop: Header=BB10_1307 Depth=2
	s_or_b32 exec_lo, exec_lo, s13
	s_and_not1_saveexec_b32 s13, s14
	s_cbranch_execz .LBB10_2388
	s_branch .LBB10_2370
.LBB10_1387:                            ;   in Loop: Header=BB10_1307 Depth=2
	v_ashrrev_i32_e32 v1, 31, v43
	s_mov_b32 s13, exec_lo
	s_delay_alu instid0(VALU_DEP_1) | instskip(NEXT) | instid1(VALU_DEP_1)
	v_lshrrev_b32_e32 v1, 21, v1
	v_add_nc_u32_e32 v1, v43, v1
	s_delay_alu instid0(VALU_DEP_1) | instskip(NEXT) | instid1(VALU_DEP_1)
	v_dual_ashrrev_i32 v93, 11, v1 :: v_dual_lshrrev_b32 v1, 5, v0
	v_sub_nc_u32_e32 v45, v93, v1
	s_delay_alu instid0(VALU_DEP_1)
	v_cmpx_lt_i32_e32 0, v45
	s_cbranch_execz .LBB10_1647
; %bb.1388:                             ;   in Loop: Header=BB10_1307 Depth=2
	s_trap 2
	ds_load_b64 v[4:5], v0
	ds_load_b32 v1, v0
	scratch_load_b64 v[8:9], off, s33 offset:212 ; 8-byte Folded Reload
	s_mov_b32 s14, 0
	s_wait_dscnt 0x0
	v_lshlrev_b32_e32 v94, 16, v1
	s_wait_loadcnt 0x0
	v_add_nc_u64_e32 v[62:63], v[58:59], v[8:9]
	v_add_nc_u64_e32 v[72:73], v[60:61], v[8:9]
	;; [unrolled: 1-line block ×4, first 2 shown]
	s_branch .LBB10_1390
.LBB10_1389:                            ;   in Loop: Header=BB10_1390 Depth=3
	s_or_b32 exec_lo, exec_lo, s15
	v_dual_lshrrev_b32 v1, 16, v1 :: v_dual_lshrrev_b32 v26, 16, v26
	v_lshrrev_b32_e32 v25, 16, v25
	v_dual_lshrrev_b32 v29, 16, v29 :: v_dual_lshrrev_b32 v27, 16, v27
	s_delay_alu instid0(VALU_DEP_3) | instskip(SKIP_4) | instid1(VALU_DEP_4)
	v_and_or_b32 v13, 0xffff0000, v13, v1
	v_lshrrev_b32_e32 v1, 16, v4
	v_and_or_b32 v14, 0xffff0000, v14, v26
	v_dual_lshrrev_b32 v4, 16, v28 :: v_dual_lshrrev_b32 v26, 16, v95
	v_and_or_b32 v15, 0xffff0000, v15, v27
	v_and_or_b32 v16, 0xffff0000, v16, v1
	v_dual_lshrrev_b32 v1, 16, v24 :: v_dual_lshrrev_b32 v24, 16, v119
	v_lshrrev_b32_e32 v27, 16, v65
	v_and_or_b32 v17, 0xffff0000, v17, v25
	v_and_or_b32 v19, 0xffff0000, v19, v4
	s_delay_alu instid0(VALU_DEP_4)
	v_and_or_b32 v18, 0xffff0000, v18, v1
	v_lshrrev_b32_e32 v1, 16, v22
	v_and_or_b32 v25, 0xffff0000, v21, v24
	v_and_or_b32 v24, 0xffff0000, v20, v26
	;; [unrolled: 1-line block ×3, first 2 shown]
	v_dual_lshrrev_b32 v4, 16, v54 :: v_dual_lshrrev_b32 v5, 16, v31
	v_dual_lshrrev_b32 v20, 16, v55 :: v_dual_lshrrev_b32 v21, 16, v64
	v_and_or_b32 v12, 0xffff0000, v12, v29
	v_and_or_b32 v27, 0xffff0000, v23, v1
	v_sub_nc_u32_e32 v45, v45, v52
	v_and_or_b32 v9, 0xffff0000, v9, v4
	v_and_or_b32 v8, 0xffff0000, v8, v5
	;; [unrolled: 1-line block ×4, first 2 shown]
	s_clause 0x3
	global_store_b128 v[62:63], v[24:27], off th:TH_STORE_NT
	global_store_b128 v[62:63], v[16:19], off offset:512 th:TH_STORE_NT
	global_store_b128 v[62:63], v[12:15], off offset:1024 th:TH_STORE_NT
	;; [unrolled: 1-line block ×3, first 2 shown]
	s_clause 0x3
	global_store_b128 v[72:73], v[24:27], off th:TH_STORE_NT
	global_store_b128 v[72:73], v[16:19], off offset:512 th:TH_STORE_NT
	global_store_b128 v[72:73], v[12:15], off offset:1024 th:TH_STORE_NT
	;; [unrolled: 1-line block ×3, first 2 shown]
	v_add_nc_u64_e32 v[74:75], v[74:75], v[86:87]
	v_add_nc_u64_e32 v[76:77], v[76:77], v[86:87]
	s_wait_xcnt 0x4
	v_add_nc_u64_e32 v[62:63], v[62:63], v[86:87]
	v_cmp_gt_i32_e32 vcc_lo, 1, v45
	s_wait_xcnt 0x0
	v_add_nc_u64_e32 v[72:73], v[72:73], v[86:87]
	s_or_b32 s14, vcc_lo, s14
	s_delay_alu instid0(SALU_CYCLE_1)
	s_and_not1_b32 exec_lo, exec_lo, s14
	s_cbranch_execz .LBB10_1646
.LBB10_1390:                            ;   Parent Loop BB10_47 Depth=1
                                        ;     Parent Loop BB10_1307 Depth=2
                                        ; =>    This Inner Loop Header: Depth=3
	global_load_b128 v[8:11], v[74:75], off th:TH_LOAD_NT
	s_mov_b32 s15, exec_lo
                                        ; implicit-def: $vgpr95
	s_wait_loadcnt 0x0
	v_lshlrev_b32_e32 v1, 16, v8
	s_delay_alu instid0(VALU_DEP_1) | instskip(NEXT) | instid1(VALU_DEP_1)
	v_mul_f32_e32 v1, v94, v1
	v_and_b32_e32 v4, 0x7f800000, v1
	s_wait_xcnt 0x0
	s_delay_alu instid0(VALU_DEP_1)
	v_cmpx_ne_u32_e32 0x7f800000, v4
	s_xor_b32 s15, exec_lo, s15
; %bb.1391:                             ;   in Loop: Header=BB10_1390 Depth=3
	v_bfe_u32 v4, v1, 16, 1
	s_delay_alu instid0(VALU_DEP_1)
	v_add3_u32 v95, v1, v4, 0x7fff
                                        ; implicit-def: $vgpr1
; %bb.1392:                             ;   in Loop: Header=BB10_1390 Depth=3
	s_and_not1_saveexec_b32 s15, s15
; %bb.1393:                             ;   in Loop: Header=BB10_1390 Depth=3
	v_and_b32_e32 v4, 0xffff, v1
	v_or_b32_e32 v5, 0x10000, v1
	s_delay_alu instid0(VALU_DEP_2) | instskip(NEXT) | instid1(VALU_DEP_2)
	v_cmp_eq_u32_e32 vcc_lo, 0, v4
	v_cndmask_b32_e32 v95, v5, v1, vcc_lo
; %bb.1394:                             ;   in Loop: Header=BB10_1390 Depth=3
	s_or_b32 exec_lo, exec_lo, s15
	v_and_b32_e32 v1, 0xffff0000, v8
	s_mov_b32 s15, exec_lo
                                        ; implicit-def: $vgpr119
	s_delay_alu instid0(VALU_DEP_1) | instskip(NEXT) | instid1(VALU_DEP_1)
	v_mul_f32_e32 v1, v94, v1
	v_and_b32_e32 v4, 0x7f800000, v1
	s_delay_alu instid0(VALU_DEP_1)
	v_cmpx_ne_u32_e32 0x7f800000, v4
	s_xor_b32 s15, exec_lo, s15
; %bb.1395:                             ;   in Loop: Header=BB10_1390 Depth=3
	v_bfe_u32 v4, v1, 16, 1
	s_delay_alu instid0(VALU_DEP_1)
	v_add3_u32 v119, v1, v4, 0x7fff
                                        ; implicit-def: $vgpr1
; %bb.1396:                             ;   in Loop: Header=BB10_1390 Depth=3
	s_and_not1_saveexec_b32 s15, s15
; %bb.1397:                             ;   in Loop: Header=BB10_1390 Depth=3
	v_and_b32_e32 v4, 0xffff, v1
	v_or_b32_e32 v5, 0x10000, v1
	s_delay_alu instid0(VALU_DEP_2) | instskip(NEXT) | instid1(VALU_DEP_2)
	v_cmp_eq_u32_e32 vcc_lo, 0, v4
	v_cndmask_b32_e32 v119, v5, v1, vcc_lo
; %bb.1398:                             ;   in Loop: Header=BB10_1390 Depth=3
	s_or_b32 exec_lo, exec_lo, s15
	v_lshlrev_b32_e32 v1, 16, v9
	s_mov_b32 s15, exec_lo
                                        ; implicit-def: $vgpr79
	s_delay_alu instid0(VALU_DEP_1) | instskip(NEXT) | instid1(VALU_DEP_1)
	v_mul_f32_e32 v1, v94, v1
	v_and_b32_e32 v4, 0x7f800000, v1
	s_delay_alu instid0(VALU_DEP_1)
	v_cmpx_ne_u32_e32 0x7f800000, v4
	s_xor_b32 s15, exec_lo, s15
; %bb.1399:                             ;   in Loop: Header=BB10_1390 Depth=3
	v_bfe_u32 v4, v1, 16, 1
	s_delay_alu instid0(VALU_DEP_1)
	v_add3_u32 v79, v1, v4, 0x7fff
                                        ; implicit-def: $vgpr1
; %bb.1400:                             ;   in Loop: Header=BB10_1390 Depth=3
	s_and_not1_saveexec_b32 s15, s15
; %bb.1401:                             ;   in Loop: Header=BB10_1390 Depth=3
	v_and_b32_e32 v4, 0xffff, v1
	v_or_b32_e32 v5, 0x10000, v1
	s_delay_alu instid0(VALU_DEP_2) | instskip(NEXT) | instid1(VALU_DEP_2)
	v_cmp_eq_u32_e32 vcc_lo, 0, v4
	v_cndmask_b32_e32 v79, v5, v1, vcc_lo
; %bb.1402:                             ;   in Loop: Header=BB10_1390 Depth=3
	s_or_b32 exec_lo, exec_lo, s15
	v_and_b32_e32 v1, 0xffff0000, v9
	s_mov_b32 s15, exec_lo
                                        ; implicit-def: $vgpr65
	s_delay_alu instid0(VALU_DEP_1) | instskip(NEXT) | instid1(VALU_DEP_1)
	v_mul_f32_e32 v1, v94, v1
	v_and_b32_e32 v4, 0x7f800000, v1
	s_delay_alu instid0(VALU_DEP_1)
	v_cmpx_ne_u32_e32 0x7f800000, v4
	s_xor_b32 s15, exec_lo, s15
; %bb.1403:                             ;   in Loop: Header=BB10_1390 Depth=3
	v_bfe_u32 v4, v1, 16, 1
	s_delay_alu instid0(VALU_DEP_1)
	v_add3_u32 v65, v1, v4, 0x7fff
                                        ; implicit-def: $vgpr1
; %bb.1404:                             ;   in Loop: Header=BB10_1390 Depth=3
	s_and_not1_saveexec_b32 s15, s15
; %bb.1405:                             ;   in Loop: Header=BB10_1390 Depth=3
	v_and_b32_e32 v4, 0xffff, v1
	v_or_b32_e32 v5, 0x10000, v1
	s_delay_alu instid0(VALU_DEP_2) | instskip(NEXT) | instid1(VALU_DEP_2)
	v_cmp_eq_u32_e32 vcc_lo, 0, v4
	v_cndmask_b32_e32 v65, v5, v1, vcc_lo
; %bb.1406:                             ;   in Loop: Header=BB10_1390 Depth=3
	s_or_b32 exec_lo, exec_lo, s15
	v_lshlrev_b32_e32 v1, 16, v10
	s_mov_b32 s15, exec_lo
                                        ; implicit-def: $vgpr118
	s_delay_alu instid0(VALU_DEP_1) | instskip(NEXT) | instid1(VALU_DEP_1)
	v_mul_f32_e32 v1, v94, v1
	v_and_b32_e32 v4, 0x7f800000, v1
	s_delay_alu instid0(VALU_DEP_1)
	v_cmpx_ne_u32_e32 0x7f800000, v4
	s_xor_b32 s15, exec_lo, s15
; %bb.1407:                             ;   in Loop: Header=BB10_1390 Depth=3
	v_bfe_u32 v4, v1, 16, 1
	s_delay_alu instid0(VALU_DEP_1)
	v_add3_u32 v118, v1, v4, 0x7fff
                                        ; implicit-def: $vgpr1
; %bb.1408:                             ;   in Loop: Header=BB10_1390 Depth=3
	s_and_not1_saveexec_b32 s15, s15
; %bb.1409:                             ;   in Loop: Header=BB10_1390 Depth=3
	v_and_b32_e32 v4, 0xffff, v1
	v_or_b32_e32 v5, 0x10000, v1
	s_delay_alu instid0(VALU_DEP_2) | instskip(NEXT) | instid1(VALU_DEP_2)
	v_cmp_eq_u32_e32 vcc_lo, 0, v4
	v_cndmask_b32_e32 v118, v5, v1, vcc_lo
; %bb.1410:                             ;   in Loop: Header=BB10_1390 Depth=3
	s_or_b32 exec_lo, exec_lo, s15
	v_and_b32_e32 v1, 0xffff0000, v10
	s_mov_b32 s15, exec_lo
                                        ; implicit-def: $vgpr5
	s_delay_alu instid0(VALU_DEP_1) | instskip(NEXT) | instid1(VALU_DEP_1)
	v_mul_f32_e32 v1, v94, v1
	v_and_b32_e32 v4, 0x7f800000, v1
	s_delay_alu instid0(VALU_DEP_1)
	v_cmpx_ne_u32_e32 0x7f800000, v4
	s_xor_b32 s15, exec_lo, s15
; %bb.1411:                             ;   in Loop: Header=BB10_1390 Depth=3
	v_bfe_u32 v4, v1, 16, 1
	s_delay_alu instid0(VALU_DEP_1)
	v_add3_u32 v5, v1, v4, 0x7fff
                                        ; implicit-def: $vgpr1
; %bb.1412:                             ;   in Loop: Header=BB10_1390 Depth=3
	s_and_not1_saveexec_b32 s15, s15
; %bb.1413:                             ;   in Loop: Header=BB10_1390 Depth=3
	v_and_b32_e32 v4, 0xffff, v1
	v_or_b32_e32 v5, 0x10000, v1
	s_delay_alu instid0(VALU_DEP_2) | instskip(NEXT) | instid1(VALU_DEP_2)
	v_cmp_eq_u32_e32 vcc_lo, 0, v4
	v_cndmask_b32_e32 v5, v5, v1, vcc_lo
; %bb.1414:                             ;   in Loop: Header=BB10_1390 Depth=3
	s_or_b32 exec_lo, exec_lo, s15
	v_lshlrev_b32_e32 v1, 16, v11
	s_mov_b32 s15, exec_lo
                                        ; implicit-def: $vgpr64
	s_delay_alu instid0(VALU_DEP_1) | instskip(NEXT) | instid1(VALU_DEP_1)
	v_mul_f32_e32 v1, v94, v1
	v_and_b32_e32 v4, 0x7f800000, v1
	s_delay_alu instid0(VALU_DEP_1)
	v_cmpx_ne_u32_e32 0x7f800000, v4
	s_xor_b32 s15, exec_lo, s15
; %bb.1415:                             ;   in Loop: Header=BB10_1390 Depth=3
	v_bfe_u32 v4, v1, 16, 1
	s_delay_alu instid0(VALU_DEP_1)
	v_add3_u32 v64, v1, v4, 0x7fff
                                        ; implicit-def: $vgpr1
; %bb.1416:                             ;   in Loop: Header=BB10_1390 Depth=3
	s_and_not1_saveexec_b32 s15, s15
; %bb.1417:                             ;   in Loop: Header=BB10_1390 Depth=3
	v_and_b32_e32 v4, 0xffff, v1
	v_or_b32_e32 v8, 0x10000, v1
	s_delay_alu instid0(VALU_DEP_2) | instskip(NEXT) | instid1(VALU_DEP_2)
	v_cmp_eq_u32_e32 vcc_lo, 0, v4
	v_cndmask_b32_e32 v64, v8, v1, vcc_lo
; %bb.1418:                             ;   in Loop: Header=BB10_1390 Depth=3
	s_or_b32 exec_lo, exec_lo, s15
	v_and_b32_e32 v1, 0xffff0000, v11
	s_mov_b32 s15, exec_lo
                                        ; implicit-def: $vgpr67
	s_delay_alu instid0(VALU_DEP_1) | instskip(NEXT) | instid1(VALU_DEP_1)
	v_mul_f32_e32 v1, v94, v1
	v_and_b32_e32 v4, 0x7f800000, v1
	s_delay_alu instid0(VALU_DEP_1)
	v_cmpx_ne_u32_e32 0x7f800000, v4
	s_xor_b32 s15, exec_lo, s15
; %bb.1419:                             ;   in Loop: Header=BB10_1390 Depth=3
	v_bfe_u32 v4, v1, 16, 1
	s_delay_alu instid0(VALU_DEP_1)
	v_add3_u32 v67, v1, v4, 0x7fff
                                        ; implicit-def: $vgpr1
; %bb.1420:                             ;   in Loop: Header=BB10_1390 Depth=3
	s_and_not1_saveexec_b32 s15, s15
; %bb.1421:                             ;   in Loop: Header=BB10_1390 Depth=3
	v_and_b32_e32 v4, 0xffff, v1
	v_or_b32_e32 v8, 0x10000, v1
	s_delay_alu instid0(VALU_DEP_2) | instskip(NEXT) | instid1(VALU_DEP_2)
	v_cmp_eq_u32_e32 vcc_lo, 0, v4
	v_cndmask_b32_e32 v67, v8, v1, vcc_lo
; %bb.1422:                             ;   in Loop: Header=BB10_1390 Depth=3
	s_or_b32 exec_lo, exec_lo, s15
	global_load_b128 v[8:11], v[74:75], off offset:512 th:TH_LOAD_NT
	s_wait_loadcnt 0x0
	v_lshlrev_b32_e32 v1, 16, v8
	s_delay_alu instid0(VALU_DEP_1) | instskip(NEXT) | instid1(VALU_DEP_1)
	v_mul_f32_e32 v1, v94, v1
	v_and_b32_e32 v4, 0x7f800000, v1
	s_delay_alu instid0(VALU_DEP_1) | instskip(SKIP_2) | instid1(SALU_CYCLE_1)
	v_cmp_ne_u32_e32 vcc_lo, 0x7f800000, v4
                                        ; implicit-def: $vgpr4
	s_wait_xcnt 0x0
	s_and_saveexec_b32 s15, vcc_lo
	s_xor_b32 s15, exec_lo, s15
; %bb.1423:                             ;   in Loop: Header=BB10_1390 Depth=3
	v_bfe_u32 v4, v1, 16, 1
	s_delay_alu instid0(VALU_DEP_1)
	v_add3_u32 v4, v1, v4, 0x7fff
                                        ; implicit-def: $vgpr1
; %bb.1424:                             ;   in Loop: Header=BB10_1390 Depth=3
	s_and_not1_saveexec_b32 s15, s15
; %bb.1425:                             ;   in Loop: Header=BB10_1390 Depth=3
	v_and_b32_e32 v4, 0xffff, v1
	v_or_b32_e32 v12, 0x10000, v1
	s_delay_alu instid0(VALU_DEP_2) | instskip(NEXT) | instid1(VALU_DEP_2)
	v_cmp_eq_u32_e32 vcc_lo, 0, v4
	v_cndmask_b32_e32 v4, v12, v1, vcc_lo
; %bb.1426:                             ;   in Loop: Header=BB10_1390 Depth=3
	s_or_b32 exec_lo, exec_lo, s15
	v_and_b32_e32 v1, 0xffff0000, v8
	s_mov_b32 s15, exec_lo
                                        ; implicit-def: $vgpr25
	s_delay_alu instid0(VALU_DEP_1) | instskip(NEXT) | instid1(VALU_DEP_1)
	v_mul_f32_e32 v1, v94, v1
	v_and_b32_e32 v8, 0x7f800000, v1
	s_delay_alu instid0(VALU_DEP_1)
	v_cmpx_ne_u32_e32 0x7f800000, v8
	s_xor_b32 s15, exec_lo, s15
; %bb.1427:                             ;   in Loop: Header=BB10_1390 Depth=3
	v_bfe_u32 v8, v1, 16, 1
	s_delay_alu instid0(VALU_DEP_1)
	v_add3_u32 v25, v1, v8, 0x7fff
                                        ; implicit-def: $vgpr1
; %bb.1428:                             ;   in Loop: Header=BB10_1390 Depth=3
	s_and_not1_saveexec_b32 s15, s15
; %bb.1429:                             ;   in Loop: Header=BB10_1390 Depth=3
	v_and_b32_e32 v8, 0xffff, v1
	v_or_b32_e32 v12, 0x10000, v1
	s_delay_alu instid0(VALU_DEP_2) | instskip(NEXT) | instid1(VALU_DEP_2)
	v_cmp_eq_u32_e32 vcc_lo, 0, v8
	v_cndmask_b32_e32 v25, v12, v1, vcc_lo
; %bb.1430:                             ;   in Loop: Header=BB10_1390 Depth=3
	s_or_b32 exec_lo, exec_lo, s15
	v_lshlrev_b32_e32 v1, 16, v9
	s_mov_b32 s15, exec_lo
                                        ; implicit-def: $vgpr66
	s_delay_alu instid0(VALU_DEP_1) | instskip(NEXT) | instid1(VALU_DEP_1)
	v_mul_f32_e32 v1, v94, v1
	v_and_b32_e32 v8, 0x7f800000, v1
	s_delay_alu instid0(VALU_DEP_1)
	v_cmpx_ne_u32_e32 0x7f800000, v8
	s_xor_b32 s15, exec_lo, s15
; %bb.1431:                             ;   in Loop: Header=BB10_1390 Depth=3
	v_bfe_u32 v8, v1, 16, 1
	s_delay_alu instid0(VALU_DEP_1)
	v_add3_u32 v66, v1, v8, 0x7fff
                                        ; implicit-def: $vgpr1
; %bb.1432:                             ;   in Loop: Header=BB10_1390 Depth=3
	s_and_not1_saveexec_b32 s15, s15
; %bb.1433:                             ;   in Loop: Header=BB10_1390 Depth=3
	v_and_b32_e32 v8, 0xffff, v1
	v_or_b32_e32 v12, 0x10000, v1
	s_delay_alu instid0(VALU_DEP_2) | instskip(NEXT) | instid1(VALU_DEP_2)
	v_cmp_eq_u32_e32 vcc_lo, 0, v8
	v_cndmask_b32_e32 v66, v12, v1, vcc_lo
; %bb.1434:                             ;   in Loop: Header=BB10_1390 Depth=3
	s_or_b32 exec_lo, exec_lo, s15
	v_and_b32_e32 v1, 0xffff0000, v9
	s_mov_b32 s15, exec_lo
                                        ; implicit-def: $vgpr29
	s_delay_alu instid0(VALU_DEP_1) | instskip(NEXT) | instid1(VALU_DEP_1)
	v_mul_f32_e32 v1, v94, v1
	v_and_b32_e32 v8, 0x7f800000, v1
	s_delay_alu instid0(VALU_DEP_1)
	v_cmpx_ne_u32_e32 0x7f800000, v8
	s_xor_b32 s15, exec_lo, s15
; %bb.1435:                             ;   in Loop: Header=BB10_1390 Depth=3
	v_bfe_u32 v8, v1, 16, 1
	s_delay_alu instid0(VALU_DEP_1)
	v_add3_u32 v29, v1, v8, 0x7fff
                                        ; implicit-def: $vgpr1
; %bb.1436:                             ;   in Loop: Header=BB10_1390 Depth=3
	s_and_not1_saveexec_b32 s15, s15
; %bb.1437:                             ;   in Loop: Header=BB10_1390 Depth=3
	v_and_b32_e32 v8, 0xffff, v1
	v_or_b32_e32 v9, 0x10000, v1
	s_delay_alu instid0(VALU_DEP_2) | instskip(NEXT) | instid1(VALU_DEP_2)
	v_cmp_eq_u32_e32 vcc_lo, 0, v8
	v_cndmask_b32_e32 v29, v9, v1, vcc_lo
; %bb.1438:                             ;   in Loop: Header=BB10_1390 Depth=3
	s_or_b32 exec_lo, exec_lo, s15
	v_lshlrev_b32_e32 v1, 16, v10
	s_mov_b32 s15, exec_lo
                                        ; implicit-def: $vgpr24
	s_delay_alu instid0(VALU_DEP_1) | instskip(NEXT) | instid1(VALU_DEP_1)
	v_mul_f32_e32 v1, v94, v1
	v_and_b32_e32 v8, 0x7f800000, v1
	s_delay_alu instid0(VALU_DEP_1)
	v_cmpx_ne_u32_e32 0x7f800000, v8
	s_xor_b32 s15, exec_lo, s15
; %bb.1439:                             ;   in Loop: Header=BB10_1390 Depth=3
	v_bfe_u32 v8, v1, 16, 1
	s_delay_alu instid0(VALU_DEP_1)
	v_add3_u32 v24, v1, v8, 0x7fff
                                        ; implicit-def: $vgpr1
; %bb.1440:                             ;   in Loop: Header=BB10_1390 Depth=3
	s_and_not1_saveexec_b32 s15, s15
; %bb.1441:                             ;   in Loop: Header=BB10_1390 Depth=3
	v_and_b32_e32 v8, 0xffff, v1
	v_or_b32_e32 v9, 0x10000, v1
	s_delay_alu instid0(VALU_DEP_2) | instskip(NEXT) | instid1(VALU_DEP_2)
	v_cmp_eq_u32_e32 vcc_lo, 0, v8
	v_cndmask_b32_e32 v24, v9, v1, vcc_lo
; %bb.1442:                             ;   in Loop: Header=BB10_1390 Depth=3
	s_or_b32 exec_lo, exec_lo, s15
	v_and_b32_e32 v1, 0xffff0000, v10
	s_mov_b32 s15, exec_lo
                                        ; implicit-def: $vgpr78
	s_delay_alu instid0(VALU_DEP_1) | instskip(NEXT) | instid1(VALU_DEP_1)
	v_mul_f32_e32 v1, v94, v1
	v_and_b32_e32 v8, 0x7f800000, v1
	s_delay_alu instid0(VALU_DEP_1)
	v_cmpx_ne_u32_e32 0x7f800000, v8
	s_xor_b32 s15, exec_lo, s15
; %bb.1443:                             ;   in Loop: Header=BB10_1390 Depth=3
	v_bfe_u32 v8, v1, 16, 1
	s_delay_alu instid0(VALU_DEP_1)
	v_add3_u32 v78, v1, v8, 0x7fff
                                        ; implicit-def: $vgpr1
; %bb.1444:                             ;   in Loop: Header=BB10_1390 Depth=3
	s_and_not1_saveexec_b32 s15, s15
; %bb.1445:                             ;   in Loop: Header=BB10_1390 Depth=3
	v_and_b32_e32 v8, 0xffff, v1
	v_or_b32_e32 v9, 0x10000, v1
	s_delay_alu instid0(VALU_DEP_2) | instskip(NEXT) | instid1(VALU_DEP_2)
	v_cmp_eq_u32_e32 vcc_lo, 0, v8
	v_cndmask_b32_e32 v78, v9, v1, vcc_lo
; %bb.1446:                             ;   in Loop: Header=BB10_1390 Depth=3
	s_or_b32 exec_lo, exec_lo, s15
	v_lshlrev_b32_e32 v1, 16, v11
	s_mov_b32 s15, exec_lo
                                        ; implicit-def: $vgpr28
	s_delay_alu instid0(VALU_DEP_1) | instskip(NEXT) | instid1(VALU_DEP_1)
	v_mul_f32_e32 v1, v94, v1
	v_and_b32_e32 v8, 0x7f800000, v1
	s_delay_alu instid0(VALU_DEP_1)
	v_cmpx_ne_u32_e32 0x7f800000, v8
	s_xor_b32 s15, exec_lo, s15
; %bb.1447:                             ;   in Loop: Header=BB10_1390 Depth=3
	v_bfe_u32 v8, v1, 16, 1
	s_delay_alu instid0(VALU_DEP_1)
	v_add3_u32 v28, v1, v8, 0x7fff
                                        ; implicit-def: $vgpr1
; %bb.1448:                             ;   in Loop: Header=BB10_1390 Depth=3
	s_and_not1_saveexec_b32 s15, s15
; %bb.1449:                             ;   in Loop: Header=BB10_1390 Depth=3
	v_and_b32_e32 v8, 0xffff, v1
	v_or_b32_e32 v9, 0x10000, v1
	s_delay_alu instid0(VALU_DEP_2) | instskip(NEXT) | instid1(VALU_DEP_2)
	v_cmp_eq_u32_e32 vcc_lo, 0, v8
	v_cndmask_b32_e32 v28, v9, v1, vcc_lo
; %bb.1450:                             ;   in Loop: Header=BB10_1390 Depth=3
	s_or_b32 exec_lo, exec_lo, s15
	v_and_b32_e32 v1, 0xffff0000, v11
	s_mov_b32 s15, exec_lo
                                        ; implicit-def: $vgpr125
	s_delay_alu instid0(VALU_DEP_1) | instskip(NEXT) | instid1(VALU_DEP_1)
	v_mul_f32_e32 v1, v94, v1
	v_and_b32_e32 v8, 0x7f800000, v1
	s_delay_alu instid0(VALU_DEP_1)
	v_cmpx_ne_u32_e32 0x7f800000, v8
	s_xor_b32 s15, exec_lo, s15
; %bb.1451:                             ;   in Loop: Header=BB10_1390 Depth=3
	v_bfe_u32 v8, v1, 16, 1
	s_delay_alu instid0(VALU_DEP_1)
	v_add3_u32 v125, v1, v8, 0x7fff
                                        ; implicit-def: $vgpr1
; %bb.1452:                             ;   in Loop: Header=BB10_1390 Depth=3
	s_and_not1_saveexec_b32 s15, s15
; %bb.1453:                             ;   in Loop: Header=BB10_1390 Depth=3
	v_and_b32_e32 v8, 0xffff, v1
	v_or_b32_e32 v9, 0x10000, v1
	s_delay_alu instid0(VALU_DEP_2) | instskip(NEXT) | instid1(VALU_DEP_2)
	v_cmp_eq_u32_e32 vcc_lo, 0, v8
	v_cndmask_b32_e32 v125, v9, v1, vcc_lo
; %bb.1454:                             ;   in Loop: Header=BB10_1390 Depth=3
	s_or_b32 exec_lo, exec_lo, s15
	global_load_b128 v[8:11], v[74:75], off offset:1024 th:TH_LOAD_NT
	s_mov_b32 s15, exec_lo
                                        ; implicit-def: $vgpr126
	s_wait_loadcnt 0x0
	v_lshlrev_b32_e32 v1, 16, v8
	s_delay_alu instid0(VALU_DEP_1) | instskip(NEXT) | instid1(VALU_DEP_1)
	v_mul_f32_e32 v1, v94, v1
	v_and_b32_e32 v12, 0x7f800000, v1
	s_wait_xcnt 0x0
	s_delay_alu instid0(VALU_DEP_1)
	v_cmpx_ne_u32_e32 0x7f800000, v12
	s_xor_b32 s15, exec_lo, s15
; %bb.1455:                             ;   in Loop: Header=BB10_1390 Depth=3
	v_bfe_u32 v12, v1, 16, 1
	s_delay_alu instid0(VALU_DEP_1)
	v_add3_u32 v126, v1, v12, 0x7fff
                                        ; implicit-def: $vgpr1
; %bb.1456:                             ;   in Loop: Header=BB10_1390 Depth=3
	s_and_not1_saveexec_b32 s15, s15
; %bb.1457:                             ;   in Loop: Header=BB10_1390 Depth=3
	v_and_b32_e32 v12, 0xffff, v1
	v_or_b32_e32 v13, 0x10000, v1
	s_delay_alu instid0(VALU_DEP_2) | instskip(NEXT) | instid1(VALU_DEP_2)
	v_cmp_eq_u32_e32 vcc_lo, 0, v12
	v_cndmask_b32_e32 v126, v13, v1, vcc_lo
; %bb.1458:                             ;   in Loop: Header=BB10_1390 Depth=3
	s_or_b32 exec_lo, exec_lo, s15
	v_and_b32_e32 v1, 0xffff0000, v8
	s_mov_b32 s15, exec_lo
                                        ; implicit-def: $vgpr123
	s_delay_alu instid0(VALU_DEP_1) | instskip(NEXT) | instid1(VALU_DEP_1)
	v_mul_f32_e32 v1, v94, v1
	v_and_b32_e32 v8, 0x7f800000, v1
	s_delay_alu instid0(VALU_DEP_1)
	v_cmpx_ne_u32_e32 0x7f800000, v8
	s_xor_b32 s15, exec_lo, s15
; %bb.1459:                             ;   in Loop: Header=BB10_1390 Depth=3
	v_bfe_u32 v8, v1, 16, 1
	s_delay_alu instid0(VALU_DEP_1)
	v_add3_u32 v123, v1, v8, 0x7fff
                                        ; implicit-def: $vgpr1
; %bb.1460:                             ;   in Loop: Header=BB10_1390 Depth=3
	s_and_not1_saveexec_b32 s15, s15
; %bb.1461:                             ;   in Loop: Header=BB10_1390 Depth=3
	v_and_b32_e32 v8, 0xffff, v1
	v_or_b32_e32 v12, 0x10000, v1
	s_delay_alu instid0(VALU_DEP_2) | instskip(NEXT) | instid1(VALU_DEP_2)
	v_cmp_eq_u32_e32 vcc_lo, 0, v8
	v_cndmask_b32_e32 v123, v12, v1, vcc_lo
; %bb.1462:                             ;   in Loop: Header=BB10_1390 Depth=3
	s_or_b32 exec_lo, exec_lo, s15
	v_lshlrev_b32_e32 v1, 16, v9
	s_mov_b32 s15, exec_lo
                                        ; implicit-def: $vgpr124
	s_delay_alu instid0(VALU_DEP_1) | instskip(NEXT) | instid1(VALU_DEP_1)
	v_mul_f32_e32 v1, v94, v1
	v_and_b32_e32 v8, 0x7f800000, v1
	s_delay_alu instid0(VALU_DEP_1)
	v_cmpx_ne_u32_e32 0x7f800000, v8
	s_xor_b32 s15, exec_lo, s15
; %bb.1463:                             ;   in Loop: Header=BB10_1390 Depth=3
	v_bfe_u32 v8, v1, 16, 1
	s_delay_alu instid0(VALU_DEP_1)
	v_add3_u32 v124, v1, v8, 0x7fff
                                        ; implicit-def: $vgpr1
; %bb.1464:                             ;   in Loop: Header=BB10_1390 Depth=3
	s_and_not1_saveexec_b32 s15, s15
; %bb.1465:                             ;   in Loop: Header=BB10_1390 Depth=3
	v_and_b32_e32 v8, 0xffff, v1
	v_or_b32_e32 v12, 0x10000, v1
	s_delay_alu instid0(VALU_DEP_2) | instskip(NEXT) | instid1(VALU_DEP_2)
	v_cmp_eq_u32_e32 vcc_lo, 0, v8
	v_cndmask_b32_e32 v124, v12, v1, vcc_lo
; %bb.1466:                             ;   in Loop: Header=BB10_1390 Depth=3
	s_or_b32 exec_lo, exec_lo, s15
	v_and_b32_e32 v1, 0xffff0000, v9
	s_mov_b32 s15, exec_lo
                                        ; implicit-def: $vgpr26
	s_delay_alu instid0(VALU_DEP_1) | instskip(NEXT) | instid1(VALU_DEP_1)
	v_mul_f32_e32 v1, v94, v1
	v_and_b32_e32 v8, 0x7f800000, v1
	s_delay_alu instid0(VALU_DEP_1)
	v_cmpx_ne_u32_e32 0x7f800000, v8
	s_xor_b32 s15, exec_lo, s15
; %bb.1467:                             ;   in Loop: Header=BB10_1390 Depth=3
	v_bfe_u32 v8, v1, 16, 1
	s_delay_alu instid0(VALU_DEP_1)
	v_add3_u32 v26, v1, v8, 0x7fff
                                        ; implicit-def: $vgpr1
; %bb.1468:                             ;   in Loop: Header=BB10_1390 Depth=3
	s_and_not1_saveexec_b32 s15, s15
; %bb.1469:                             ;   in Loop: Header=BB10_1390 Depth=3
	v_and_b32_e32 v8, 0xffff, v1
	v_or_b32_e32 v9, 0x10000, v1
	s_delay_alu instid0(VALU_DEP_2) | instskip(NEXT) | instid1(VALU_DEP_2)
	v_cmp_eq_u32_e32 vcc_lo, 0, v8
	v_cndmask_b32_e32 v26, v9, v1, vcc_lo
; %bb.1470:                             ;   in Loop: Header=BB10_1390 Depth=3
	s_or_b32 exec_lo, exec_lo, s15
	v_lshlrev_b32_e32 v1, 16, v10
	s_mov_b32 s15, exec_lo
                                        ; implicit-def: $vgpr27
	s_delay_alu instid0(VALU_DEP_1) | instskip(NEXT) | instid1(VALU_DEP_1)
	v_mul_f32_e32 v1, v94, v1
	v_and_b32_e32 v8, 0x7f800000, v1
	s_delay_alu instid0(VALU_DEP_1)
	v_cmpx_ne_u32_e32 0x7f800000, v8
	s_xor_b32 s15, exec_lo, s15
; %bb.1471:                             ;   in Loop: Header=BB10_1390 Depth=3
	v_bfe_u32 v8, v1, 16, 1
	s_delay_alu instid0(VALU_DEP_1)
	v_add3_u32 v27, v1, v8, 0x7fff
                                        ; implicit-def: $vgpr1
; %bb.1472:                             ;   in Loop: Header=BB10_1390 Depth=3
	s_and_not1_saveexec_b32 s15, s15
; %bb.1473:                             ;   in Loop: Header=BB10_1390 Depth=3
	v_and_b32_e32 v8, 0xffff, v1
	v_or_b32_e32 v9, 0x10000, v1
	s_delay_alu instid0(VALU_DEP_2) | instskip(NEXT) | instid1(VALU_DEP_2)
	v_cmp_eq_u32_e32 vcc_lo, 0, v8
	v_cndmask_b32_e32 v27, v9, v1, vcc_lo
; %bb.1474:                             ;   in Loop: Header=BB10_1390 Depth=3
	s_or_b32 exec_lo, exec_lo, s15
	v_and_b32_e32 v1, 0xffff0000, v10
	s_mov_b32 s15, exec_lo
                                        ; implicit-def: $vgpr121
	s_delay_alu instid0(VALU_DEP_1) | instskip(NEXT) | instid1(VALU_DEP_1)
	v_mul_f32_e32 v1, v94, v1
	v_and_b32_e32 v8, 0x7f800000, v1
	s_delay_alu instid0(VALU_DEP_1)
	v_cmpx_ne_u32_e32 0x7f800000, v8
	s_xor_b32 s15, exec_lo, s15
; %bb.1475:                             ;   in Loop: Header=BB10_1390 Depth=3
	v_bfe_u32 v8, v1, 16, 1
	s_delay_alu instid0(VALU_DEP_1)
	v_add3_u32 v121, v1, v8, 0x7fff
                                        ; implicit-def: $vgpr1
; %bb.1476:                             ;   in Loop: Header=BB10_1390 Depth=3
	s_and_not1_saveexec_b32 s15, s15
; %bb.1477:                             ;   in Loop: Header=BB10_1390 Depth=3
	v_and_b32_e32 v8, 0xffff, v1
	v_or_b32_e32 v9, 0x10000, v1
	s_delay_alu instid0(VALU_DEP_2) | instskip(NEXT) | instid1(VALU_DEP_2)
	v_cmp_eq_u32_e32 vcc_lo, 0, v8
	v_cndmask_b32_e32 v121, v9, v1, vcc_lo
; %bb.1478:                             ;   in Loop: Header=BB10_1390 Depth=3
	s_or_b32 exec_lo, exec_lo, s15
	v_lshlrev_b32_e32 v1, 16, v11
	s_mov_b32 s15, exec_lo
                                        ; implicit-def: $vgpr122
	s_delay_alu instid0(VALU_DEP_1) | instskip(NEXT) | instid1(VALU_DEP_1)
	v_mul_f32_e32 v1, v94, v1
	v_and_b32_e32 v8, 0x7f800000, v1
	s_delay_alu instid0(VALU_DEP_1)
	v_cmpx_ne_u32_e32 0x7f800000, v8
	s_xor_b32 s15, exec_lo, s15
; %bb.1479:                             ;   in Loop: Header=BB10_1390 Depth=3
	v_bfe_u32 v8, v1, 16, 1
	s_delay_alu instid0(VALU_DEP_1)
	v_add3_u32 v122, v1, v8, 0x7fff
                                        ; implicit-def: $vgpr1
; %bb.1480:                             ;   in Loop: Header=BB10_1390 Depth=3
	s_and_not1_saveexec_b32 s15, s15
; %bb.1481:                             ;   in Loop: Header=BB10_1390 Depth=3
	v_and_b32_e32 v8, 0xffff, v1
	v_or_b32_e32 v9, 0x10000, v1
	s_delay_alu instid0(VALU_DEP_2) | instskip(NEXT) | instid1(VALU_DEP_2)
	v_cmp_eq_u32_e32 vcc_lo, 0, v8
	v_cndmask_b32_e32 v122, v9, v1, vcc_lo
; %bb.1482:                             ;   in Loop: Header=BB10_1390 Depth=3
	s_or_b32 exec_lo, exec_lo, s15
	v_and_b32_e32 v1, 0xffff0000, v11
	s_mov_b32 s15, exec_lo
                                        ; implicit-def: $vgpr111
	s_delay_alu instid0(VALU_DEP_1) | instskip(NEXT) | instid1(VALU_DEP_1)
	v_mul_f32_e32 v1, v94, v1
	v_and_b32_e32 v8, 0x7f800000, v1
	s_delay_alu instid0(VALU_DEP_1)
	v_cmpx_ne_u32_e32 0x7f800000, v8
	s_xor_b32 s15, exec_lo, s15
; %bb.1483:                             ;   in Loop: Header=BB10_1390 Depth=3
	v_bfe_u32 v8, v1, 16, 1
	s_delay_alu instid0(VALU_DEP_1)
	v_add3_u32 v111, v1, v8, 0x7fff
                                        ; implicit-def: $vgpr1
; %bb.1484:                             ;   in Loop: Header=BB10_1390 Depth=3
	s_and_not1_saveexec_b32 s15, s15
; %bb.1485:                             ;   in Loop: Header=BB10_1390 Depth=3
	v_and_b32_e32 v8, 0xffff, v1
	v_or_b32_e32 v9, 0x10000, v1
	s_delay_alu instid0(VALU_DEP_2) | instskip(NEXT) | instid1(VALU_DEP_2)
	v_cmp_eq_u32_e32 vcc_lo, 0, v8
	v_cndmask_b32_e32 v111, v9, v1, vcc_lo
; %bb.1486:                             ;   in Loop: Header=BB10_1390 Depth=3
	s_or_b32 exec_lo, exec_lo, s15
	global_load_b128 v[8:11], v[74:75], off offset:1536 th:TH_LOAD_NT
	s_mov_b32 s15, exec_lo
                                        ; implicit-def: $vgpr120
	s_wait_loadcnt 0x0
	v_lshlrev_b32_e32 v1, 16, v8
	s_delay_alu instid0(VALU_DEP_1) | instskip(NEXT) | instid1(VALU_DEP_1)
	v_mul_f32_e32 v1, v94, v1
	v_and_b32_e32 v12, 0x7f800000, v1
	s_wait_xcnt 0x0
	s_delay_alu instid0(VALU_DEP_1)
	v_cmpx_ne_u32_e32 0x7f800000, v12
	s_xor_b32 s15, exec_lo, s15
; %bb.1487:                             ;   in Loop: Header=BB10_1390 Depth=3
	v_bfe_u32 v12, v1, 16, 1
	s_delay_alu instid0(VALU_DEP_1)
	v_add3_u32 v120, v1, v12, 0x7fff
                                        ; implicit-def: $vgpr1
; %bb.1488:                             ;   in Loop: Header=BB10_1390 Depth=3
	s_and_not1_saveexec_b32 s15, s15
; %bb.1489:                             ;   in Loop: Header=BB10_1390 Depth=3
	v_and_b32_e32 v12, 0xffff, v1
	v_or_b32_e32 v13, 0x10000, v1
	s_delay_alu instid0(VALU_DEP_2) | instskip(NEXT) | instid1(VALU_DEP_2)
	v_cmp_eq_u32_e32 vcc_lo, 0, v12
	v_cndmask_b32_e32 v120, v13, v1, vcc_lo
; %bb.1490:                             ;   in Loop: Header=BB10_1390 Depth=3
	s_or_b32 exec_lo, exec_lo, s15
	v_and_b32_e32 v1, 0xffff0000, v8
	s_mov_b32 s15, exec_lo
                                        ; implicit-def: $vgpr109
	s_delay_alu instid0(VALU_DEP_1) | instskip(NEXT) | instid1(VALU_DEP_1)
	v_mul_f32_e32 v1, v94, v1
	v_and_b32_e32 v8, 0x7f800000, v1
	s_delay_alu instid0(VALU_DEP_1)
	v_cmpx_ne_u32_e32 0x7f800000, v8
	s_xor_b32 s15, exec_lo, s15
; %bb.1491:                             ;   in Loop: Header=BB10_1390 Depth=3
	v_bfe_u32 v8, v1, 16, 1
	s_delay_alu instid0(VALU_DEP_1)
	v_add3_u32 v109, v1, v8, 0x7fff
                                        ; implicit-def: $vgpr1
; %bb.1492:                             ;   in Loop: Header=BB10_1390 Depth=3
	s_and_not1_saveexec_b32 s15, s15
; %bb.1493:                             ;   in Loop: Header=BB10_1390 Depth=3
	v_and_b32_e32 v8, 0xffff, v1
	v_or_b32_e32 v12, 0x10000, v1
	s_delay_alu instid0(VALU_DEP_2) | instskip(NEXT) | instid1(VALU_DEP_2)
	v_cmp_eq_u32_e32 vcc_lo, 0, v8
	v_cndmask_b32_e32 v109, v12, v1, vcc_lo
; %bb.1494:                             ;   in Loop: Header=BB10_1390 Depth=3
	s_or_b32 exec_lo, exec_lo, s15
	v_lshlrev_b32_e32 v1, 16, v9
	s_mov_b32 s15, exec_lo
                                        ; implicit-def: $vgpr110
	s_delay_alu instid0(VALU_DEP_1) | instskip(NEXT) | instid1(VALU_DEP_1)
	v_mul_f32_e32 v1, v94, v1
	v_and_b32_e32 v8, 0x7f800000, v1
	s_delay_alu instid0(VALU_DEP_1)
	v_cmpx_ne_u32_e32 0x7f800000, v8
	s_xor_b32 s15, exec_lo, s15
; %bb.1495:                             ;   in Loop: Header=BB10_1390 Depth=3
	v_bfe_u32 v8, v1, 16, 1
	s_delay_alu instid0(VALU_DEP_1)
	v_add3_u32 v110, v1, v8, 0x7fff
                                        ; implicit-def: $vgpr1
; %bb.1496:                             ;   in Loop: Header=BB10_1390 Depth=3
	s_and_not1_saveexec_b32 s15, s15
; %bb.1497:                             ;   in Loop: Header=BB10_1390 Depth=3
	v_and_b32_e32 v8, 0xffff, v1
	v_or_b32_e32 v12, 0x10000, v1
	s_delay_alu instid0(VALU_DEP_2) | instskip(NEXT) | instid1(VALU_DEP_2)
	v_cmp_eq_u32_e32 vcc_lo, 0, v8
	v_cndmask_b32_e32 v110, v12, v1, vcc_lo
; %bb.1498:                             ;   in Loop: Header=BB10_1390 Depth=3
	s_or_b32 exec_lo, exec_lo, s15
	v_and_b32_e32 v1, 0xffff0000, v9
	s_mov_b32 s15, exec_lo
                                        ; implicit-def: $vgpr107
	s_delay_alu instid0(VALU_DEP_1) | instskip(NEXT) | instid1(VALU_DEP_1)
	v_mul_f32_e32 v1, v94, v1
	v_and_b32_e32 v8, 0x7f800000, v1
	s_delay_alu instid0(VALU_DEP_1)
	v_cmpx_ne_u32_e32 0x7f800000, v8
	s_xor_b32 s15, exec_lo, s15
; %bb.1499:                             ;   in Loop: Header=BB10_1390 Depth=3
	v_bfe_u32 v8, v1, 16, 1
	s_delay_alu instid0(VALU_DEP_1)
	v_add3_u32 v107, v1, v8, 0x7fff
                                        ; implicit-def: $vgpr1
; %bb.1500:                             ;   in Loop: Header=BB10_1390 Depth=3
	s_and_not1_saveexec_b32 s15, s15
; %bb.1501:                             ;   in Loop: Header=BB10_1390 Depth=3
	v_and_b32_e32 v8, 0xffff, v1
	v_or_b32_e32 v9, 0x10000, v1
	s_delay_alu instid0(VALU_DEP_2) | instskip(NEXT) | instid1(VALU_DEP_2)
	v_cmp_eq_u32_e32 vcc_lo, 0, v8
	v_cndmask_b32_e32 v107, v9, v1, vcc_lo
; %bb.1502:                             ;   in Loop: Header=BB10_1390 Depth=3
	s_or_b32 exec_lo, exec_lo, s15
	v_lshlrev_b32_e32 v1, 16, v10
	s_mov_b32 s15, exec_lo
                                        ; implicit-def: $vgpr108
	s_delay_alu instid0(VALU_DEP_1) | instskip(NEXT) | instid1(VALU_DEP_1)
	v_mul_f32_e32 v1, v94, v1
	v_and_b32_e32 v8, 0x7f800000, v1
	s_delay_alu instid0(VALU_DEP_1)
	v_cmpx_ne_u32_e32 0x7f800000, v8
	s_xor_b32 s15, exec_lo, s15
; %bb.1503:                             ;   in Loop: Header=BB10_1390 Depth=3
	v_bfe_u32 v8, v1, 16, 1
	s_delay_alu instid0(VALU_DEP_1)
	v_add3_u32 v108, v1, v8, 0x7fff
                                        ; implicit-def: $vgpr1
; %bb.1504:                             ;   in Loop: Header=BB10_1390 Depth=3
	s_and_not1_saveexec_b32 s15, s15
; %bb.1505:                             ;   in Loop: Header=BB10_1390 Depth=3
	v_and_b32_e32 v8, 0xffff, v1
	v_or_b32_e32 v9, 0x10000, v1
	s_delay_alu instid0(VALU_DEP_2) | instskip(NEXT) | instid1(VALU_DEP_2)
	v_cmp_eq_u32_e32 vcc_lo, 0, v8
	v_cndmask_b32_e32 v108, v9, v1, vcc_lo
; %bb.1506:                             ;   in Loop: Header=BB10_1390 Depth=3
	s_or_b32 exec_lo, exec_lo, s15
	v_and_b32_e32 v1, 0xffff0000, v10
	s_mov_b32 s15, exec_lo
                                        ; implicit-def: $vgpr105
	s_delay_alu instid0(VALU_DEP_1) | instskip(NEXT) | instid1(VALU_DEP_1)
	v_mul_f32_e32 v1, v94, v1
	v_and_b32_e32 v8, 0x7f800000, v1
	s_delay_alu instid0(VALU_DEP_1)
	v_cmpx_ne_u32_e32 0x7f800000, v8
	s_xor_b32 s15, exec_lo, s15
; %bb.1507:                             ;   in Loop: Header=BB10_1390 Depth=3
	v_bfe_u32 v8, v1, 16, 1
	s_delay_alu instid0(VALU_DEP_1)
	v_add3_u32 v105, v1, v8, 0x7fff
                                        ; implicit-def: $vgpr1
; %bb.1508:                             ;   in Loop: Header=BB10_1390 Depth=3
	s_and_not1_saveexec_b32 s15, s15
; %bb.1509:                             ;   in Loop: Header=BB10_1390 Depth=3
	v_and_b32_e32 v8, 0xffff, v1
	v_or_b32_e32 v9, 0x10000, v1
	s_delay_alu instid0(VALU_DEP_2) | instskip(NEXT) | instid1(VALU_DEP_2)
	v_cmp_eq_u32_e32 vcc_lo, 0, v8
	v_cndmask_b32_e32 v105, v9, v1, vcc_lo
; %bb.1510:                             ;   in Loop: Header=BB10_1390 Depth=3
	s_or_b32 exec_lo, exec_lo, s15
	v_lshlrev_b32_e32 v1, 16, v11
	s_mov_b32 s15, exec_lo
                                        ; implicit-def: $vgpr106
	s_delay_alu instid0(VALU_DEP_1) | instskip(NEXT) | instid1(VALU_DEP_1)
	v_mul_f32_e32 v1, v94, v1
	v_and_b32_e32 v8, 0x7f800000, v1
	s_delay_alu instid0(VALU_DEP_1)
	v_cmpx_ne_u32_e32 0x7f800000, v8
	s_xor_b32 s15, exec_lo, s15
; %bb.1511:                             ;   in Loop: Header=BB10_1390 Depth=3
	v_bfe_u32 v8, v1, 16, 1
	s_delay_alu instid0(VALU_DEP_1)
	v_add3_u32 v106, v1, v8, 0x7fff
                                        ; implicit-def: $vgpr1
; %bb.1512:                             ;   in Loop: Header=BB10_1390 Depth=3
	s_and_not1_saveexec_b32 s15, s15
; %bb.1513:                             ;   in Loop: Header=BB10_1390 Depth=3
	v_and_b32_e32 v8, 0xffff, v1
	v_or_b32_e32 v9, 0x10000, v1
	s_delay_alu instid0(VALU_DEP_2) | instskip(NEXT) | instid1(VALU_DEP_2)
	v_cmp_eq_u32_e32 vcc_lo, 0, v8
	v_cndmask_b32_e32 v106, v9, v1, vcc_lo
; %bb.1514:                             ;   in Loop: Header=BB10_1390 Depth=3
	s_or_b32 exec_lo, exec_lo, s15
	v_and_b32_e32 v1, 0xffff0000, v11
	s_mov_b32 s15, exec_lo
                                        ; implicit-def: $vgpr104
	s_delay_alu instid0(VALU_DEP_1) | instskip(NEXT) | instid1(VALU_DEP_1)
	v_mul_f32_e32 v1, v94, v1
	v_and_b32_e32 v8, 0x7f800000, v1
	s_delay_alu instid0(VALU_DEP_1)
	v_cmpx_ne_u32_e32 0x7f800000, v8
	s_xor_b32 s15, exec_lo, s15
; %bb.1515:                             ;   in Loop: Header=BB10_1390 Depth=3
	v_bfe_u32 v8, v1, 16, 1
	s_delay_alu instid0(VALU_DEP_1)
	v_add3_u32 v104, v1, v8, 0x7fff
                                        ; implicit-def: $vgpr1
; %bb.1516:                             ;   in Loop: Header=BB10_1390 Depth=3
	s_and_not1_saveexec_b32 s15, s15
; %bb.1517:                             ;   in Loop: Header=BB10_1390 Depth=3
	v_and_b32_e32 v8, 0xffff, v1
	v_or_b32_e32 v9, 0x10000, v1
	s_delay_alu instid0(VALU_DEP_2) | instskip(NEXT) | instid1(VALU_DEP_2)
	v_cmp_eq_u32_e32 vcc_lo, 0, v8
	v_cndmask_b32_e32 v104, v9, v1, vcc_lo
; %bb.1518:                             ;   in Loop: Header=BB10_1390 Depth=3
	s_or_b32 exec_lo, exec_lo, s15
	s_clause 0x3
	global_load_b128 v[20:23], v[76:77], off th:TH_LOAD_NT
	global_load_b128 v[16:19], v[76:77], off offset:512 th:TH_LOAD_NT
	global_load_b128 v[12:15], v[76:77], off offset:1024 th:TH_LOAD_NT
	;; [unrolled: 1-line block ×3, first 2 shown]
	v_and_b32_e32 v1, 0xffff0000, v95
	s_mov_b32 s15, exec_lo
                                        ; implicit-def: $vgpr95
	s_wait_loadcnt 0x3
	v_lshlrev_b32_e32 v31, 16, v20
	s_delay_alu instid0(VALU_DEP_1) | instskip(NEXT) | instid1(VALU_DEP_1)
	v_add_f32_e32 v1, v1, v31
	v_and_b32_e32 v31, 0x7f800000, v1
	s_wait_xcnt 0x0
	s_delay_alu instid0(VALU_DEP_1)
	v_cmpx_ne_u32_e32 0x7f800000, v31
	s_xor_b32 s15, exec_lo, s15
; %bb.1519:                             ;   in Loop: Header=BB10_1390 Depth=3
	v_bfe_u32 v31, v1, 16, 1
	s_delay_alu instid0(VALU_DEP_1)
	v_add3_u32 v95, v1, v31, 0x7fff
                                        ; implicit-def: $vgpr1
; %bb.1520:                             ;   in Loop: Header=BB10_1390 Depth=3
	s_and_not1_saveexec_b32 s15, s15
; %bb.1521:                             ;   in Loop: Header=BB10_1390 Depth=3
	v_and_b32_e32 v31, 0xffff, v1
	v_or_b32_e32 v54, 0x10000, v1
	s_delay_alu instid0(VALU_DEP_2) | instskip(NEXT) | instid1(VALU_DEP_2)
	v_cmp_eq_u32_e32 vcc_lo, 0, v31
	v_cndmask_b32_e32 v95, v54, v1, vcc_lo
; %bb.1522:                             ;   in Loop: Header=BB10_1390 Depth=3
	s_or_b32 exec_lo, exec_lo, s15
	v_and_b32_e32 v1, 0xffff0000, v20
	v_and_b32_e32 v20, 0xffff0000, v119
	s_delay_alu instid0(VALU_DEP_1) | instskip(NEXT) | instid1(VALU_DEP_1)
	v_add_f32_e32 v1, v20, v1
	v_and_b32_e32 v20, 0x7f800000, v1
	s_delay_alu instid0(VALU_DEP_1) | instskip(SKIP_1) | instid1(SALU_CYCLE_1)
	v_cmp_ne_u32_e32 vcc_lo, 0x7f800000, v20
                                        ; implicit-def: $vgpr20
	s_and_saveexec_b32 s15, vcc_lo
	s_xor_b32 s15, exec_lo, s15
; %bb.1523:                             ;   in Loop: Header=BB10_1390 Depth=3
	v_bfe_u32 v20, v1, 16, 1
	s_delay_alu instid0(VALU_DEP_1)
	v_add3_u32 v20, v1, v20, 0x7fff
                                        ; implicit-def: $vgpr1
; %bb.1524:                             ;   in Loop: Header=BB10_1390 Depth=3
	s_and_not1_saveexec_b32 s15, s15
; %bb.1525:                             ;   in Loop: Header=BB10_1390 Depth=3
	v_and_b32_e32 v20, 0xffff, v1
	v_or_b32_e32 v31, 0x10000, v1
	s_delay_alu instid0(VALU_DEP_2) | instskip(NEXT) | instid1(VALU_DEP_2)
	v_cmp_eq_u32_e32 vcc_lo, 0, v20
	v_cndmask_b32_e32 v20, v31, v1, vcc_lo
; %bb.1526:                             ;   in Loop: Header=BB10_1390 Depth=3
	s_or_b32 exec_lo, exec_lo, s15
	v_and_b32_e32 v1, 0xffff0000, v79
	v_lshlrev_b32_e32 v31, 16, v21
	s_mov_b32 s15, exec_lo
                                        ; implicit-def: $vgpr119
	s_delay_alu instid0(VALU_DEP_1) | instskip(NEXT) | instid1(VALU_DEP_1)
	v_add_f32_e32 v1, v1, v31
	v_and_b32_e32 v31, 0x7f800000, v1
	s_delay_alu instid0(VALU_DEP_1)
	v_cmpx_ne_u32_e32 0x7f800000, v31
	s_xor_b32 s15, exec_lo, s15
; %bb.1527:                             ;   in Loop: Header=BB10_1390 Depth=3
	v_bfe_u32 v31, v1, 16, 1
	s_delay_alu instid0(VALU_DEP_1)
	v_add3_u32 v119, v1, v31, 0x7fff
                                        ; implicit-def: $vgpr1
; %bb.1528:                             ;   in Loop: Header=BB10_1390 Depth=3
	s_and_not1_saveexec_b32 s15, s15
; %bb.1529:                             ;   in Loop: Header=BB10_1390 Depth=3
	v_and_b32_e32 v31, 0xffff, v1
	v_or_b32_e32 v54, 0x10000, v1
	s_delay_alu instid0(VALU_DEP_2) | instskip(NEXT) | instid1(VALU_DEP_2)
	v_cmp_eq_u32_e32 vcc_lo, 0, v31
	v_cndmask_b32_e32 v119, v54, v1, vcc_lo
; %bb.1530:                             ;   in Loop: Header=BB10_1390 Depth=3
	s_or_b32 exec_lo, exec_lo, s15
	v_and_b32_e32 v1, 0xffff0000, v21
	v_and_b32_e32 v21, 0xffff0000, v65
	s_delay_alu instid0(VALU_DEP_1) | instskip(NEXT) | instid1(VALU_DEP_1)
	v_add_f32_e32 v1, v21, v1
	v_and_b32_e32 v21, 0x7f800000, v1
	s_delay_alu instid0(VALU_DEP_1) | instskip(SKIP_1) | instid1(SALU_CYCLE_1)
	v_cmp_ne_u32_e32 vcc_lo, 0x7f800000, v21
                                        ; implicit-def: $vgpr21
	s_and_saveexec_b32 s15, vcc_lo
	s_xor_b32 s15, exec_lo, s15
; %bb.1531:                             ;   in Loop: Header=BB10_1390 Depth=3
	v_bfe_u32 v21, v1, 16, 1
	s_delay_alu instid0(VALU_DEP_1)
	v_add3_u32 v21, v1, v21, 0x7fff
                                        ; implicit-def: $vgpr1
; %bb.1532:                             ;   in Loop: Header=BB10_1390 Depth=3
	s_and_not1_saveexec_b32 s15, s15
; %bb.1533:                             ;   in Loop: Header=BB10_1390 Depth=3
	v_and_b32_e32 v21, 0xffff, v1
	v_or_b32_e32 v31, 0x10000, v1
	s_delay_alu instid0(VALU_DEP_2) | instskip(NEXT) | instid1(VALU_DEP_2)
	v_cmp_eq_u32_e32 vcc_lo, 0, v21
	v_cndmask_b32_e32 v21, v31, v1, vcc_lo
; %bb.1534:                             ;   in Loop: Header=BB10_1390 Depth=3
	s_or_b32 exec_lo, exec_lo, s15
	v_and_b32_e32 v1, 0xffff0000, v118
	v_lshlrev_b32_e32 v31, 16, v22
	s_mov_b32 s15, exec_lo
                                        ; implicit-def: $vgpr65
	s_delay_alu instid0(VALU_DEP_1) | instskip(NEXT) | instid1(VALU_DEP_1)
	v_add_f32_e32 v1, v1, v31
	v_and_b32_e32 v31, 0x7f800000, v1
	s_delay_alu instid0(VALU_DEP_1)
	v_cmpx_ne_u32_e32 0x7f800000, v31
	s_xor_b32 s15, exec_lo, s15
; %bb.1535:                             ;   in Loop: Header=BB10_1390 Depth=3
	v_bfe_u32 v31, v1, 16, 1
	s_delay_alu instid0(VALU_DEP_1)
	v_add3_u32 v65, v1, v31, 0x7fff
                                        ; implicit-def: $vgpr1
; %bb.1536:                             ;   in Loop: Header=BB10_1390 Depth=3
	s_and_not1_saveexec_b32 s15, s15
; %bb.1537:                             ;   in Loop: Header=BB10_1390 Depth=3
	v_and_b32_e32 v31, 0xffff, v1
	v_or_b32_e32 v54, 0x10000, v1
	s_delay_alu instid0(VALU_DEP_2) | instskip(NEXT) | instid1(VALU_DEP_2)
	v_cmp_eq_u32_e32 vcc_lo, 0, v31
	v_cndmask_b32_e32 v65, v54, v1, vcc_lo
; %bb.1538:                             ;   in Loop: Header=BB10_1390 Depth=3
	s_or_b32 exec_lo, exec_lo, s15
	v_and_b32_e32 v1, 0xffff0000, v22
	v_and_b32_e32 v5, 0xffff0000, v5
	s_delay_alu instid0(VALU_DEP_1) | instskip(NEXT) | instid1(VALU_DEP_1)
	v_add_f32_e32 v1, v5, v1
	v_and_b32_e32 v5, 0x7f800000, v1
	s_delay_alu instid0(VALU_DEP_1) | instskip(SKIP_1) | instid1(SALU_CYCLE_1)
	v_cmp_ne_u32_e32 vcc_lo, 0x7f800000, v5
                                        ; implicit-def: $vgpr5
	s_and_saveexec_b32 s15, vcc_lo
	s_xor_b32 s15, exec_lo, s15
; %bb.1539:                             ;   in Loop: Header=BB10_1390 Depth=3
	v_bfe_u32 v5, v1, 16, 1
	s_delay_alu instid0(VALU_DEP_1)
	v_add3_u32 v5, v1, v5, 0x7fff
                                        ; implicit-def: $vgpr1
; %bb.1540:                             ;   in Loop: Header=BB10_1390 Depth=3
	s_and_not1_saveexec_b32 s15, s15
; %bb.1541:                             ;   in Loop: Header=BB10_1390 Depth=3
	v_and_b32_e32 v5, 0xffff, v1
	v_or_b32_e32 v22, 0x10000, v1
	s_delay_alu instid0(VALU_DEP_2) | instskip(NEXT) | instid1(VALU_DEP_2)
	v_cmp_eq_u32_e32 vcc_lo, 0, v5
	v_cndmask_b32_e32 v5, v22, v1, vcc_lo
; %bb.1542:                             ;   in Loop: Header=BB10_1390 Depth=3
	s_or_b32 exec_lo, exec_lo, s15
	v_and_b32_e32 v1, 0xffff0000, v64
	v_lshlrev_b32_e32 v22, 16, v23
	s_delay_alu instid0(VALU_DEP_1) | instskip(NEXT) | instid1(VALU_DEP_1)
	v_add_f32_e32 v1, v1, v22
	v_and_b32_e32 v22, 0x7f800000, v1
	s_delay_alu instid0(VALU_DEP_1) | instskip(SKIP_1) | instid1(SALU_CYCLE_1)
	v_cmp_ne_u32_e32 vcc_lo, 0x7f800000, v22
                                        ; implicit-def: $vgpr22
	s_and_saveexec_b32 s15, vcc_lo
	s_xor_b32 s15, exec_lo, s15
; %bb.1543:                             ;   in Loop: Header=BB10_1390 Depth=3
	v_bfe_u32 v22, v1, 16, 1
	s_delay_alu instid0(VALU_DEP_1)
	v_add3_u32 v22, v1, v22, 0x7fff
                                        ; implicit-def: $vgpr1
; %bb.1544:                             ;   in Loop: Header=BB10_1390 Depth=3
	s_and_not1_saveexec_b32 s15, s15
; %bb.1545:                             ;   in Loop: Header=BB10_1390 Depth=3
	v_and_b32_e32 v22, 0xffff, v1
	v_or_b32_e32 v31, 0x10000, v1
	s_delay_alu instid0(VALU_DEP_2) | instskip(NEXT) | instid1(VALU_DEP_2)
	v_cmp_eq_u32_e32 vcc_lo, 0, v22
	v_cndmask_b32_e32 v22, v31, v1, vcc_lo
; %bb.1546:                             ;   in Loop: Header=BB10_1390 Depth=3
	s_or_b32 exec_lo, exec_lo, s15
	v_and_b32_e32 v1, 0xffff0000, v23
	v_and_b32_e32 v23, 0xffff0000, v67
	s_delay_alu instid0(VALU_DEP_1) | instskip(NEXT) | instid1(VALU_DEP_1)
	v_add_f32_e32 v1, v23, v1
	v_and_b32_e32 v23, 0x7f800000, v1
	s_delay_alu instid0(VALU_DEP_1) | instskip(SKIP_1) | instid1(SALU_CYCLE_1)
	v_cmp_ne_u32_e32 vcc_lo, 0x7f800000, v23
                                        ; implicit-def: $vgpr23
	s_and_saveexec_b32 s15, vcc_lo
	s_xor_b32 s15, exec_lo, s15
; %bb.1547:                             ;   in Loop: Header=BB10_1390 Depth=3
	v_bfe_u32 v23, v1, 16, 1
	s_delay_alu instid0(VALU_DEP_1)
	v_add3_u32 v23, v1, v23, 0x7fff
                                        ; implicit-def: $vgpr1
; %bb.1548:                             ;   in Loop: Header=BB10_1390 Depth=3
	s_and_not1_saveexec_b32 s15, s15
; %bb.1549:                             ;   in Loop: Header=BB10_1390 Depth=3
	v_and_b32_e32 v23, 0xffff, v1
	v_or_b32_e32 v31, 0x10000, v1
	s_delay_alu instid0(VALU_DEP_2) | instskip(NEXT) | instid1(VALU_DEP_2)
	v_cmp_eq_u32_e32 vcc_lo, 0, v23
	v_cndmask_b32_e32 v23, v31, v1, vcc_lo
; %bb.1550:                             ;   in Loop: Header=BB10_1390 Depth=3
	s_or_b32 exec_lo, exec_lo, s15
	v_and_b32_e32 v1, 0xffff0000, v4
	s_wait_loadcnt 0x2
	v_lshlrev_b32_e32 v4, 16, v16
	s_delay_alu instid0(VALU_DEP_1) | instskip(NEXT) | instid1(VALU_DEP_1)
	v_add_f32_e32 v1, v1, v4
	v_and_b32_e32 v4, 0x7f800000, v1
	s_delay_alu instid0(VALU_DEP_1) | instskip(SKIP_1) | instid1(SALU_CYCLE_1)
	v_cmp_ne_u32_e32 vcc_lo, 0x7f800000, v4
                                        ; implicit-def: $vgpr4
	s_and_saveexec_b32 s15, vcc_lo
	s_xor_b32 s15, exec_lo, s15
; %bb.1551:                             ;   in Loop: Header=BB10_1390 Depth=3
	v_bfe_u32 v4, v1, 16, 1
	s_delay_alu instid0(VALU_DEP_1)
	v_add3_u32 v4, v1, v4, 0x7fff
                                        ; implicit-def: $vgpr1
; %bb.1552:                             ;   in Loop: Header=BB10_1390 Depth=3
	s_and_not1_saveexec_b32 s15, s15
; %bb.1553:                             ;   in Loop: Header=BB10_1390 Depth=3
	v_and_b32_e32 v4, 0xffff, v1
	v_or_b32_e32 v31, 0x10000, v1
	s_delay_alu instid0(VALU_DEP_2) | instskip(NEXT) | instid1(VALU_DEP_2)
	v_cmp_eq_u32_e32 vcc_lo, 0, v4
	v_cndmask_b32_e32 v4, v31, v1, vcc_lo
; %bb.1554:                             ;   in Loop: Header=BB10_1390 Depth=3
	s_or_b32 exec_lo, exec_lo, s15
	v_and_b32_e32 v1, 0xffff0000, v16
	v_and_b32_e32 v16, 0xffff0000, v25
	s_delay_alu instid0(VALU_DEP_1) | instskip(NEXT) | instid1(VALU_DEP_1)
	v_add_f32_e32 v1, v16, v1
	v_and_b32_e32 v16, 0x7f800000, v1
	s_delay_alu instid0(VALU_DEP_1) | instskip(SKIP_1) | instid1(SALU_CYCLE_1)
	v_cmp_ne_u32_e32 vcc_lo, 0x7f800000, v16
                                        ; implicit-def: $vgpr16
	s_and_saveexec_b32 s15, vcc_lo
	s_xor_b32 s15, exec_lo, s15
; %bb.1555:                             ;   in Loop: Header=BB10_1390 Depth=3
	v_bfe_u32 v16, v1, 16, 1
	s_delay_alu instid0(VALU_DEP_1)
	v_add3_u32 v16, v1, v16, 0x7fff
                                        ; implicit-def: $vgpr1
; %bb.1556:                             ;   in Loop: Header=BB10_1390 Depth=3
	s_and_not1_saveexec_b32 s15, s15
; %bb.1557:                             ;   in Loop: Header=BB10_1390 Depth=3
	v_and_b32_e32 v16, 0xffff, v1
	v_or_b32_e32 v25, 0x10000, v1
	s_delay_alu instid0(VALU_DEP_2) | instskip(NEXT) | instid1(VALU_DEP_2)
	v_cmp_eq_u32_e32 vcc_lo, 0, v16
	v_cndmask_b32_e32 v16, v25, v1, vcc_lo
; %bb.1558:                             ;   in Loop: Header=BB10_1390 Depth=3
	s_or_b32 exec_lo, exec_lo, s15
	v_and_b32_e32 v1, 0xffff0000, v66
	v_lshlrev_b32_e32 v25, 16, v17
	s_delay_alu instid0(VALU_DEP_1) | instskip(NEXT) | instid1(VALU_DEP_1)
	v_add_f32_e32 v1, v1, v25
	v_and_b32_e32 v25, 0x7f800000, v1
	s_delay_alu instid0(VALU_DEP_1) | instskip(SKIP_1) | instid1(SALU_CYCLE_1)
	v_cmp_ne_u32_e32 vcc_lo, 0x7f800000, v25
                                        ; implicit-def: $vgpr25
	s_and_saveexec_b32 s15, vcc_lo
	s_xor_b32 s15, exec_lo, s15
; %bb.1559:                             ;   in Loop: Header=BB10_1390 Depth=3
	v_bfe_u32 v25, v1, 16, 1
	s_delay_alu instid0(VALU_DEP_1)
	v_add3_u32 v25, v1, v25, 0x7fff
                                        ; implicit-def: $vgpr1
; %bb.1560:                             ;   in Loop: Header=BB10_1390 Depth=3
	s_and_not1_saveexec_b32 s15, s15
; %bb.1561:                             ;   in Loop: Header=BB10_1390 Depth=3
	v_and_b32_e32 v25, 0xffff, v1
	v_or_b32_e32 v31, 0x10000, v1
	s_delay_alu instid0(VALU_DEP_2) | instskip(NEXT) | instid1(VALU_DEP_2)
	v_cmp_eq_u32_e32 vcc_lo, 0, v25
	v_cndmask_b32_e32 v25, v31, v1, vcc_lo
; %bb.1562:                             ;   in Loop: Header=BB10_1390 Depth=3
	s_or_b32 exec_lo, exec_lo, s15
	v_and_b32_e32 v1, 0xffff0000, v17
	v_and_b32_e32 v17, 0xffff0000, v29
	s_delay_alu instid0(VALU_DEP_1) | instskip(NEXT) | instid1(VALU_DEP_1)
	v_add_f32_e32 v1, v17, v1
	v_and_b32_e32 v17, 0x7f800000, v1
	s_delay_alu instid0(VALU_DEP_1) | instskip(SKIP_1) | instid1(SALU_CYCLE_1)
	v_cmp_ne_u32_e32 vcc_lo, 0x7f800000, v17
                                        ; implicit-def: $vgpr17
	s_and_saveexec_b32 s15, vcc_lo
	s_xor_b32 s15, exec_lo, s15
; %bb.1563:                             ;   in Loop: Header=BB10_1390 Depth=3
	v_bfe_u32 v17, v1, 16, 1
	s_delay_alu instid0(VALU_DEP_1)
	v_add3_u32 v17, v1, v17, 0x7fff
                                        ; implicit-def: $vgpr1
; %bb.1564:                             ;   in Loop: Header=BB10_1390 Depth=3
	s_and_not1_saveexec_b32 s15, s15
; %bb.1565:                             ;   in Loop: Header=BB10_1390 Depth=3
	v_and_b32_e32 v17, 0xffff, v1
	v_or_b32_e32 v29, 0x10000, v1
	s_delay_alu instid0(VALU_DEP_2) | instskip(NEXT) | instid1(VALU_DEP_2)
	v_cmp_eq_u32_e32 vcc_lo, 0, v17
	v_cndmask_b32_e32 v17, v29, v1, vcc_lo
; %bb.1566:                             ;   in Loop: Header=BB10_1390 Depth=3
	s_or_b32 exec_lo, exec_lo, s15
	v_and_b32_e32 v1, 0xffff0000, v24
	v_lshlrev_b32_e32 v24, 16, v18
	s_delay_alu instid0(VALU_DEP_1) | instskip(NEXT) | instid1(VALU_DEP_1)
	v_add_f32_e32 v1, v1, v24
	v_and_b32_e32 v24, 0x7f800000, v1
	s_delay_alu instid0(VALU_DEP_1) | instskip(SKIP_1) | instid1(SALU_CYCLE_1)
	v_cmp_ne_u32_e32 vcc_lo, 0x7f800000, v24
                                        ; implicit-def: $vgpr24
	s_and_saveexec_b32 s15, vcc_lo
	s_xor_b32 s15, exec_lo, s15
; %bb.1567:                             ;   in Loop: Header=BB10_1390 Depth=3
	v_bfe_u32 v24, v1, 16, 1
	s_delay_alu instid0(VALU_DEP_1)
	v_add3_u32 v24, v1, v24, 0x7fff
                                        ; implicit-def: $vgpr1
; %bb.1568:                             ;   in Loop: Header=BB10_1390 Depth=3
	s_and_not1_saveexec_b32 s15, s15
; %bb.1569:                             ;   in Loop: Header=BB10_1390 Depth=3
	v_and_b32_e32 v24, 0xffff, v1
	v_or_b32_e32 v29, 0x10000, v1
	s_delay_alu instid0(VALU_DEP_2) | instskip(NEXT) | instid1(VALU_DEP_2)
	v_cmp_eq_u32_e32 vcc_lo, 0, v24
	v_cndmask_b32_e32 v24, v29, v1, vcc_lo
; %bb.1570:                             ;   in Loop: Header=BB10_1390 Depth=3
	s_or_b32 exec_lo, exec_lo, s15
	v_and_b32_e32 v1, 0xffff0000, v18
	v_and_b32_e32 v18, 0xffff0000, v78
	s_delay_alu instid0(VALU_DEP_1) | instskip(NEXT) | instid1(VALU_DEP_1)
	v_add_f32_e32 v1, v18, v1
	v_and_b32_e32 v18, 0x7f800000, v1
	s_delay_alu instid0(VALU_DEP_1) | instskip(SKIP_1) | instid1(SALU_CYCLE_1)
	v_cmp_ne_u32_e32 vcc_lo, 0x7f800000, v18
                                        ; implicit-def: $vgpr18
	s_and_saveexec_b32 s15, vcc_lo
	s_xor_b32 s15, exec_lo, s15
; %bb.1571:                             ;   in Loop: Header=BB10_1390 Depth=3
	v_bfe_u32 v18, v1, 16, 1
	s_delay_alu instid0(VALU_DEP_1)
	v_add3_u32 v18, v1, v18, 0x7fff
                                        ; implicit-def: $vgpr1
; %bb.1572:                             ;   in Loop: Header=BB10_1390 Depth=3
	s_and_not1_saveexec_b32 s15, s15
; %bb.1573:                             ;   in Loop: Header=BB10_1390 Depth=3
	v_and_b32_e32 v18, 0xffff, v1
	v_or_b32_e32 v29, 0x10000, v1
	s_delay_alu instid0(VALU_DEP_2) | instskip(NEXT) | instid1(VALU_DEP_2)
	v_cmp_eq_u32_e32 vcc_lo, 0, v18
	v_cndmask_b32_e32 v18, v29, v1, vcc_lo
; %bb.1574:                             ;   in Loop: Header=BB10_1390 Depth=3
	s_or_b32 exec_lo, exec_lo, s15
	v_and_b32_e32 v1, 0xffff0000, v28
	v_lshlrev_b32_e32 v28, 16, v19
	s_delay_alu instid0(VALU_DEP_1) | instskip(NEXT) | instid1(VALU_DEP_1)
	v_add_f32_e32 v1, v1, v28
	v_and_b32_e32 v28, 0x7f800000, v1
	s_delay_alu instid0(VALU_DEP_1) | instskip(SKIP_1) | instid1(SALU_CYCLE_1)
	v_cmp_ne_u32_e32 vcc_lo, 0x7f800000, v28
                                        ; implicit-def: $vgpr28
	s_and_saveexec_b32 s15, vcc_lo
	s_xor_b32 s15, exec_lo, s15
; %bb.1575:                             ;   in Loop: Header=BB10_1390 Depth=3
	v_bfe_u32 v28, v1, 16, 1
	s_delay_alu instid0(VALU_DEP_1)
	v_add3_u32 v28, v1, v28, 0x7fff
                                        ; implicit-def: $vgpr1
; %bb.1576:                             ;   in Loop: Header=BB10_1390 Depth=3
	s_and_not1_saveexec_b32 s15, s15
; %bb.1577:                             ;   in Loop: Header=BB10_1390 Depth=3
	v_and_b32_e32 v28, 0xffff, v1
	v_or_b32_e32 v29, 0x10000, v1
	s_delay_alu instid0(VALU_DEP_2) | instskip(NEXT) | instid1(VALU_DEP_2)
	v_cmp_eq_u32_e32 vcc_lo, 0, v28
	v_cndmask_b32_e32 v28, v29, v1, vcc_lo
; %bb.1578:                             ;   in Loop: Header=BB10_1390 Depth=3
	s_or_b32 exec_lo, exec_lo, s15
	v_and_b32_e32 v1, 0xffff0000, v19
	v_and_b32_e32 v19, 0xffff0000, v125
	s_delay_alu instid0(VALU_DEP_1) | instskip(NEXT) | instid1(VALU_DEP_1)
	v_add_f32_e32 v1, v19, v1
	v_and_b32_e32 v19, 0x7f800000, v1
	s_delay_alu instid0(VALU_DEP_1) | instskip(SKIP_1) | instid1(SALU_CYCLE_1)
	v_cmp_ne_u32_e32 vcc_lo, 0x7f800000, v19
                                        ; implicit-def: $vgpr19
	s_and_saveexec_b32 s15, vcc_lo
	s_xor_b32 s15, exec_lo, s15
; %bb.1579:                             ;   in Loop: Header=BB10_1390 Depth=3
	v_bfe_u32 v19, v1, 16, 1
	s_delay_alu instid0(VALU_DEP_1)
	v_add3_u32 v19, v1, v19, 0x7fff
                                        ; implicit-def: $vgpr1
; %bb.1580:                             ;   in Loop: Header=BB10_1390 Depth=3
	s_and_not1_saveexec_b32 s15, s15
; %bb.1581:                             ;   in Loop: Header=BB10_1390 Depth=3
	v_and_b32_e32 v19, 0xffff, v1
	v_or_b32_e32 v29, 0x10000, v1
	s_delay_alu instid0(VALU_DEP_2) | instskip(NEXT) | instid1(VALU_DEP_2)
	v_cmp_eq_u32_e32 vcc_lo, 0, v19
	v_cndmask_b32_e32 v19, v29, v1, vcc_lo
; %bb.1582:                             ;   in Loop: Header=BB10_1390 Depth=3
	s_or_b32 exec_lo, exec_lo, s15
	v_and_b32_e32 v1, 0xffff0000, v126
	s_wait_loadcnt 0x1
	v_lshlrev_b32_e32 v29, 16, v12
	s_delay_alu instid0(VALU_DEP_1) | instskip(NEXT) | instid1(VALU_DEP_1)
	v_add_f32_e32 v1, v1, v29
	v_and_b32_e32 v29, 0x7f800000, v1
	s_delay_alu instid0(VALU_DEP_1) | instskip(SKIP_1) | instid1(SALU_CYCLE_1)
	v_cmp_ne_u32_e32 vcc_lo, 0x7f800000, v29
                                        ; implicit-def: $vgpr29
	s_and_saveexec_b32 s15, vcc_lo
	s_xor_b32 s15, exec_lo, s15
; %bb.1583:                             ;   in Loop: Header=BB10_1390 Depth=3
	v_bfe_u32 v29, v1, 16, 1
	s_delay_alu instid0(VALU_DEP_1)
	v_add3_u32 v29, v1, v29, 0x7fff
                                        ; implicit-def: $vgpr1
; %bb.1584:                             ;   in Loop: Header=BB10_1390 Depth=3
	s_and_not1_saveexec_b32 s15, s15
; %bb.1585:                             ;   in Loop: Header=BB10_1390 Depth=3
	v_and_b32_e32 v29, 0xffff, v1
	v_or_b32_e32 v31, 0x10000, v1
	s_delay_alu instid0(VALU_DEP_2) | instskip(NEXT) | instid1(VALU_DEP_2)
	v_cmp_eq_u32_e32 vcc_lo, 0, v29
	v_cndmask_b32_e32 v29, v31, v1, vcc_lo
; %bb.1586:                             ;   in Loop: Header=BB10_1390 Depth=3
	s_or_b32 exec_lo, exec_lo, s15
	v_and_b32_e32 v1, 0xffff0000, v12
	v_and_b32_e32 v12, 0xffff0000, v123
	s_delay_alu instid0(VALU_DEP_1) | instskip(NEXT) | instid1(VALU_DEP_1)
	v_add_f32_e32 v1, v12, v1
	v_and_b32_e32 v12, 0x7f800000, v1
	s_delay_alu instid0(VALU_DEP_1) | instskip(SKIP_1) | instid1(SALU_CYCLE_1)
	v_cmp_ne_u32_e32 vcc_lo, 0x7f800000, v12
                                        ; implicit-def: $vgpr12
	s_and_saveexec_b32 s15, vcc_lo
	s_xor_b32 s15, exec_lo, s15
; %bb.1587:                             ;   in Loop: Header=BB10_1390 Depth=3
	v_bfe_u32 v12, v1, 16, 1
	s_delay_alu instid0(VALU_DEP_1)
	v_add3_u32 v12, v1, v12, 0x7fff
                                        ; implicit-def: $vgpr1
; %bb.1588:                             ;   in Loop: Header=BB10_1390 Depth=3
	s_and_not1_saveexec_b32 s15, s15
; %bb.1589:                             ;   in Loop: Header=BB10_1390 Depth=3
	v_and_b32_e32 v12, 0xffff, v1
	v_or_b32_e32 v31, 0x10000, v1
	s_delay_alu instid0(VALU_DEP_2) | instskip(NEXT) | instid1(VALU_DEP_2)
	v_cmp_eq_u32_e32 vcc_lo, 0, v12
	v_cndmask_b32_e32 v12, v31, v1, vcc_lo
; %bb.1590:                             ;   in Loop: Header=BB10_1390 Depth=3
	s_or_b32 exec_lo, exec_lo, s15
	v_and_b32_e32 v1, 0xffff0000, v124
	v_lshlrev_b32_e32 v31, 16, v13
	s_delay_alu instid0(VALU_DEP_1) | instskip(NEXT) | instid1(VALU_DEP_1)
	v_add_f32_e32 v31, v1, v31
	v_and_b32_e32 v1, 0x7f800000, v31
	s_delay_alu instid0(VALU_DEP_1) | instskip(SKIP_1) | instid1(SALU_CYCLE_1)
	v_cmp_ne_u32_e32 vcc_lo, 0x7f800000, v1
                                        ; implicit-def: $vgpr1
	s_and_saveexec_b32 s15, vcc_lo
	s_xor_b32 s15, exec_lo, s15
; %bb.1591:                             ;   in Loop: Header=BB10_1390 Depth=3
	v_bfe_u32 v1, v31, 16, 1
	s_delay_alu instid0(VALU_DEP_1)
	v_add3_u32 v1, v31, v1, 0x7fff
                                        ; implicit-def: $vgpr31
; %bb.1592:                             ;   in Loop: Header=BB10_1390 Depth=3
	s_and_not1_saveexec_b32 s15, s15
; %bb.1593:                             ;   in Loop: Header=BB10_1390 Depth=3
	v_and_b32_e32 v1, 0xffff, v31
	v_or_b32_e32 v54, 0x10000, v31
	s_delay_alu instid0(VALU_DEP_2) | instskip(NEXT) | instid1(VALU_DEP_2)
	v_cmp_eq_u32_e32 vcc_lo, 0, v1
	v_cndmask_b32_e32 v1, v54, v31, vcc_lo
; %bb.1594:                             ;   in Loop: Header=BB10_1390 Depth=3
	s_or_b32 exec_lo, exec_lo, s15
	v_and_b32_e32 v13, 0xffff0000, v13
	v_and_b32_e32 v26, 0xffff0000, v26
	s_delay_alu instid0(VALU_DEP_1) | instskip(NEXT) | instid1(VALU_DEP_1)
	v_add_f32_e32 v26, v26, v13
	v_and_b32_e32 v13, 0x7f800000, v26
	s_delay_alu instid0(VALU_DEP_1) | instskip(SKIP_1) | instid1(SALU_CYCLE_1)
	v_cmp_ne_u32_e32 vcc_lo, 0x7f800000, v13
                                        ; implicit-def: $vgpr13
	s_and_saveexec_b32 s15, vcc_lo
	s_xor_b32 s15, exec_lo, s15
; %bb.1595:                             ;   in Loop: Header=BB10_1390 Depth=3
	v_bfe_u32 v13, v26, 16, 1
	s_delay_alu instid0(VALU_DEP_1)
	v_add3_u32 v13, v26, v13, 0x7fff
                                        ; implicit-def: $vgpr26
; %bb.1596:                             ;   in Loop: Header=BB10_1390 Depth=3
	s_and_not1_saveexec_b32 s15, s15
; %bb.1597:                             ;   in Loop: Header=BB10_1390 Depth=3
	v_and_b32_e32 v13, 0xffff, v26
	v_or_b32_e32 v31, 0x10000, v26
	s_delay_alu instid0(VALU_DEP_2) | instskip(NEXT) | instid1(VALU_DEP_2)
	v_cmp_eq_u32_e32 vcc_lo, 0, v13
	v_cndmask_b32_e32 v13, v31, v26, vcc_lo
; %bb.1598:                             ;   in Loop: Header=BB10_1390 Depth=3
	s_or_b32 exec_lo, exec_lo, s15
	v_and_b32_e32 v26, 0xffff0000, v27
	v_lshlrev_b32_e32 v27, 16, v14
	s_delay_alu instid0(VALU_DEP_1) | instskip(NEXT) | instid1(VALU_DEP_1)
	v_add_f32_e32 v27, v26, v27
	v_and_b32_e32 v26, 0x7f800000, v27
	s_delay_alu instid0(VALU_DEP_1) | instskip(SKIP_1) | instid1(SALU_CYCLE_1)
	v_cmp_ne_u32_e32 vcc_lo, 0x7f800000, v26
                                        ; implicit-def: $vgpr26
	s_and_saveexec_b32 s15, vcc_lo
	s_xor_b32 s15, exec_lo, s15
; %bb.1599:                             ;   in Loop: Header=BB10_1390 Depth=3
	v_bfe_u32 v26, v27, 16, 1
	s_delay_alu instid0(VALU_DEP_1)
	v_add3_u32 v26, v27, v26, 0x7fff
                                        ; implicit-def: $vgpr27
; %bb.1600:                             ;   in Loop: Header=BB10_1390 Depth=3
	s_and_not1_saveexec_b32 s15, s15
; %bb.1601:                             ;   in Loop: Header=BB10_1390 Depth=3
	v_and_b32_e32 v26, 0xffff, v27
	v_or_b32_e32 v31, 0x10000, v27
	s_delay_alu instid0(VALU_DEP_2) | instskip(NEXT) | instid1(VALU_DEP_2)
	v_cmp_eq_u32_e32 vcc_lo, 0, v26
	v_cndmask_b32_e32 v26, v31, v27, vcc_lo
; %bb.1602:                             ;   in Loop: Header=BB10_1390 Depth=3
	s_or_b32 exec_lo, exec_lo, s15
	v_and_b32_e32 v14, 0xffff0000, v14
	v_and_b32_e32 v27, 0xffff0000, v121
	s_delay_alu instid0(VALU_DEP_1) | instskip(NEXT) | instid1(VALU_DEP_1)
	v_add_f32_e32 v27, v27, v14
	v_and_b32_e32 v14, 0x7f800000, v27
	s_delay_alu instid0(VALU_DEP_1) | instskip(SKIP_1) | instid1(SALU_CYCLE_1)
	v_cmp_ne_u32_e32 vcc_lo, 0x7f800000, v14
                                        ; implicit-def: $vgpr14
	s_and_saveexec_b32 s15, vcc_lo
	s_xor_b32 s15, exec_lo, s15
; %bb.1603:                             ;   in Loop: Header=BB10_1390 Depth=3
	v_bfe_u32 v14, v27, 16, 1
	s_delay_alu instid0(VALU_DEP_1)
	v_add3_u32 v14, v27, v14, 0x7fff
                                        ; implicit-def: $vgpr27
; %bb.1604:                             ;   in Loop: Header=BB10_1390 Depth=3
	s_and_not1_saveexec_b32 s15, s15
; %bb.1605:                             ;   in Loop: Header=BB10_1390 Depth=3
	v_and_b32_e32 v14, 0xffff, v27
	v_or_b32_e32 v31, 0x10000, v27
	s_delay_alu instid0(VALU_DEP_2) | instskip(NEXT) | instid1(VALU_DEP_2)
	v_cmp_eq_u32_e32 vcc_lo, 0, v14
	v_cndmask_b32_e32 v14, v31, v27, vcc_lo
; %bb.1606:                             ;   in Loop: Header=BB10_1390 Depth=3
	s_or_b32 exec_lo, exec_lo, s15
	v_and_b32_e32 v27, 0xffff0000, v122
	v_lshlrev_b32_e32 v31, 16, v15
	s_delay_alu instid0(VALU_DEP_1) | instskip(NEXT) | instid1(VALU_DEP_1)
	v_add_f32_e32 v31, v27, v31
	v_and_b32_e32 v27, 0x7f800000, v31
	s_delay_alu instid0(VALU_DEP_1) | instskip(SKIP_1) | instid1(SALU_CYCLE_1)
	v_cmp_ne_u32_e32 vcc_lo, 0x7f800000, v27
                                        ; implicit-def: $vgpr27
	s_and_saveexec_b32 s15, vcc_lo
	s_xor_b32 s15, exec_lo, s15
; %bb.1607:                             ;   in Loop: Header=BB10_1390 Depth=3
	v_bfe_u32 v27, v31, 16, 1
	s_delay_alu instid0(VALU_DEP_1)
	v_add3_u32 v27, v31, v27, 0x7fff
                                        ; implicit-def: $vgpr31
; %bb.1608:                             ;   in Loop: Header=BB10_1390 Depth=3
	s_and_not1_saveexec_b32 s15, s15
; %bb.1609:                             ;   in Loop: Header=BB10_1390 Depth=3
	v_and_b32_e32 v27, 0xffff, v31
	v_or_b32_e32 v54, 0x10000, v31
	s_delay_alu instid0(VALU_DEP_2) | instskip(NEXT) | instid1(VALU_DEP_2)
	v_cmp_eq_u32_e32 vcc_lo, 0, v27
	v_cndmask_b32_e32 v27, v54, v31, vcc_lo
; %bb.1610:                             ;   in Loop: Header=BB10_1390 Depth=3
	s_or_b32 exec_lo, exec_lo, s15
	v_and_b32_e32 v15, 0xffff0000, v15
	v_and_b32_e32 v31, 0xffff0000, v111
	s_delay_alu instid0(VALU_DEP_1) | instskip(NEXT) | instid1(VALU_DEP_1)
	v_add_f32_e32 v31, v31, v15
	v_and_b32_e32 v15, 0x7f800000, v31
	s_delay_alu instid0(VALU_DEP_1) | instskip(SKIP_1) | instid1(SALU_CYCLE_1)
	v_cmp_ne_u32_e32 vcc_lo, 0x7f800000, v15
                                        ; implicit-def: $vgpr15
	s_and_saveexec_b32 s15, vcc_lo
	s_xor_b32 s15, exec_lo, s15
; %bb.1611:                             ;   in Loop: Header=BB10_1390 Depth=3
	v_bfe_u32 v15, v31, 16, 1
	s_delay_alu instid0(VALU_DEP_1)
	v_add3_u32 v15, v31, v15, 0x7fff
                                        ; implicit-def: $vgpr31
; %bb.1612:                             ;   in Loop: Header=BB10_1390 Depth=3
	s_and_not1_saveexec_b32 s15, s15
; %bb.1613:                             ;   in Loop: Header=BB10_1390 Depth=3
	v_and_b32_e32 v15, 0xffff, v31
	v_or_b32_e32 v54, 0x10000, v31
	s_delay_alu instid0(VALU_DEP_2) | instskip(NEXT) | instid1(VALU_DEP_2)
	v_cmp_eq_u32_e32 vcc_lo, 0, v15
	v_cndmask_b32_e32 v15, v54, v31, vcc_lo
; %bb.1614:                             ;   in Loop: Header=BB10_1390 Depth=3
	s_or_b32 exec_lo, exec_lo, s15
	v_and_b32_e32 v31, 0xffff0000, v120
	s_wait_loadcnt 0x0
	v_lshlrev_b32_e32 v54, 16, v8
	s_delay_alu instid0(VALU_DEP_1) | instskip(NEXT) | instid1(VALU_DEP_1)
	v_add_f32_e32 v54, v31, v54
	v_and_b32_e32 v31, 0x7f800000, v54
	s_delay_alu instid0(VALU_DEP_1) | instskip(SKIP_1) | instid1(SALU_CYCLE_1)
	v_cmp_ne_u32_e32 vcc_lo, 0x7f800000, v31
                                        ; implicit-def: $vgpr31
	s_and_saveexec_b32 s15, vcc_lo
	s_xor_b32 s15, exec_lo, s15
; %bb.1615:                             ;   in Loop: Header=BB10_1390 Depth=3
	v_bfe_u32 v31, v54, 16, 1
	s_delay_alu instid0(VALU_DEP_1)
	v_add3_u32 v31, v54, v31, 0x7fff
                                        ; implicit-def: $vgpr54
; %bb.1616:                             ;   in Loop: Header=BB10_1390 Depth=3
	s_and_not1_saveexec_b32 s15, s15
; %bb.1617:                             ;   in Loop: Header=BB10_1390 Depth=3
	v_and_b32_e32 v31, 0xffff, v54
	v_or_b32_e32 v55, 0x10000, v54
	s_delay_alu instid0(VALU_DEP_2) | instskip(NEXT) | instid1(VALU_DEP_2)
	v_cmp_eq_u32_e32 vcc_lo, 0, v31
	v_cndmask_b32_e32 v31, v55, v54, vcc_lo
; %bb.1618:                             ;   in Loop: Header=BB10_1390 Depth=3
	s_or_b32 exec_lo, exec_lo, s15
	v_and_b32_e32 v8, 0xffff0000, v8
	v_and_b32_e32 v54, 0xffff0000, v109
	s_delay_alu instid0(VALU_DEP_1) | instskip(NEXT) | instid1(VALU_DEP_1)
	v_add_f32_e32 v54, v54, v8
	v_and_b32_e32 v8, 0x7f800000, v54
	s_delay_alu instid0(VALU_DEP_1) | instskip(SKIP_1) | instid1(SALU_CYCLE_1)
	v_cmp_ne_u32_e32 vcc_lo, 0x7f800000, v8
                                        ; implicit-def: $vgpr8
	s_and_saveexec_b32 s15, vcc_lo
	s_xor_b32 s15, exec_lo, s15
; %bb.1619:                             ;   in Loop: Header=BB10_1390 Depth=3
	v_bfe_u32 v8, v54, 16, 1
	s_delay_alu instid0(VALU_DEP_1)
	v_add3_u32 v8, v54, v8, 0x7fff
                                        ; implicit-def: $vgpr54
; %bb.1620:                             ;   in Loop: Header=BB10_1390 Depth=3
	s_and_not1_saveexec_b32 s15, s15
; %bb.1621:                             ;   in Loop: Header=BB10_1390 Depth=3
	v_and_b32_e32 v8, 0xffff, v54
	v_or_b32_e32 v55, 0x10000, v54
	s_delay_alu instid0(VALU_DEP_2) | instskip(NEXT) | instid1(VALU_DEP_2)
	v_cmp_eq_u32_e32 vcc_lo, 0, v8
	v_cndmask_b32_e32 v8, v55, v54, vcc_lo
; %bb.1622:                             ;   in Loop: Header=BB10_1390 Depth=3
	s_or_b32 exec_lo, exec_lo, s15
	v_and_b32_e32 v54, 0xffff0000, v110
	v_lshlrev_b32_e32 v55, 16, v9
	s_delay_alu instid0(VALU_DEP_1) | instskip(NEXT) | instid1(VALU_DEP_1)
	v_add_f32_e32 v55, v54, v55
	v_and_b32_e32 v54, 0x7f800000, v55
	s_delay_alu instid0(VALU_DEP_1) | instskip(SKIP_1) | instid1(SALU_CYCLE_1)
	v_cmp_ne_u32_e32 vcc_lo, 0x7f800000, v54
                                        ; implicit-def: $vgpr54
	s_and_saveexec_b32 s15, vcc_lo
	s_xor_b32 s15, exec_lo, s15
; %bb.1623:                             ;   in Loop: Header=BB10_1390 Depth=3
	v_bfe_u32 v54, v55, 16, 1
	s_delay_alu instid0(VALU_DEP_1)
	v_add3_u32 v54, v55, v54, 0x7fff
                                        ; implicit-def: $vgpr55
; %bb.1624:                             ;   in Loop: Header=BB10_1390 Depth=3
	s_and_not1_saveexec_b32 s15, s15
; %bb.1625:                             ;   in Loop: Header=BB10_1390 Depth=3
	v_and_b32_e32 v54, 0xffff, v55
	v_or_b32_e32 v64, 0x10000, v55
	s_delay_alu instid0(VALU_DEP_2) | instskip(NEXT) | instid1(VALU_DEP_2)
	v_cmp_eq_u32_e32 vcc_lo, 0, v54
	v_cndmask_b32_e32 v54, v64, v55, vcc_lo
; %bb.1626:                             ;   in Loop: Header=BB10_1390 Depth=3
	s_or_b32 exec_lo, exec_lo, s15
	v_and_b32_e32 v9, 0xffff0000, v9
	v_and_b32_e32 v55, 0xffff0000, v107
	s_delay_alu instid0(VALU_DEP_1) | instskip(NEXT) | instid1(VALU_DEP_1)
	v_add_f32_e32 v55, v55, v9
	v_and_b32_e32 v9, 0x7f800000, v55
	s_delay_alu instid0(VALU_DEP_1) | instskip(SKIP_1) | instid1(SALU_CYCLE_1)
	v_cmp_ne_u32_e32 vcc_lo, 0x7f800000, v9
                                        ; implicit-def: $vgpr9
	s_and_saveexec_b32 s15, vcc_lo
	s_xor_b32 s15, exec_lo, s15
; %bb.1627:                             ;   in Loop: Header=BB10_1390 Depth=3
	v_bfe_u32 v9, v55, 16, 1
	s_delay_alu instid0(VALU_DEP_1)
	v_add3_u32 v9, v55, v9, 0x7fff
                                        ; implicit-def: $vgpr55
; %bb.1628:                             ;   in Loop: Header=BB10_1390 Depth=3
	s_and_not1_saveexec_b32 s15, s15
; %bb.1629:                             ;   in Loop: Header=BB10_1390 Depth=3
	v_and_b32_e32 v9, 0xffff, v55
	v_or_b32_e32 v64, 0x10000, v55
	s_delay_alu instid0(VALU_DEP_2) | instskip(NEXT) | instid1(VALU_DEP_2)
	v_cmp_eq_u32_e32 vcc_lo, 0, v9
	v_cndmask_b32_e32 v9, v64, v55, vcc_lo
; %bb.1630:                             ;   in Loop: Header=BB10_1390 Depth=3
	s_or_b32 exec_lo, exec_lo, s15
	v_and_b32_e32 v55, 0xffff0000, v108
	v_lshlrev_b32_e32 v64, 16, v10
	s_delay_alu instid0(VALU_DEP_1) | instskip(NEXT) | instid1(VALU_DEP_1)
	v_add_f32_e32 v64, v55, v64
	v_and_b32_e32 v55, 0x7f800000, v64
	s_delay_alu instid0(VALU_DEP_1) | instskip(SKIP_1) | instid1(SALU_CYCLE_1)
	v_cmp_ne_u32_e32 vcc_lo, 0x7f800000, v55
                                        ; implicit-def: $vgpr55
	s_and_saveexec_b32 s15, vcc_lo
	s_xor_b32 s15, exec_lo, s15
; %bb.1631:                             ;   in Loop: Header=BB10_1390 Depth=3
	v_bfe_u32 v55, v64, 16, 1
	s_delay_alu instid0(VALU_DEP_1)
	v_add3_u32 v55, v64, v55, 0x7fff
                                        ; implicit-def: $vgpr64
; %bb.1632:                             ;   in Loop: Header=BB10_1390 Depth=3
	s_and_not1_saveexec_b32 s15, s15
; %bb.1633:                             ;   in Loop: Header=BB10_1390 Depth=3
	v_and_b32_e32 v55, 0xffff, v64
	v_or_b32_e32 v66, 0x10000, v64
	s_delay_alu instid0(VALU_DEP_2) | instskip(NEXT) | instid1(VALU_DEP_2)
	v_cmp_eq_u32_e32 vcc_lo, 0, v55
	v_cndmask_b32_e32 v55, v66, v64, vcc_lo
; %bb.1634:                             ;   in Loop: Header=BB10_1390 Depth=3
	s_or_b32 exec_lo, exec_lo, s15
	v_and_b32_e32 v10, 0xffff0000, v10
	v_and_b32_e32 v64, 0xffff0000, v105
	s_delay_alu instid0(VALU_DEP_1) | instskip(NEXT) | instid1(VALU_DEP_1)
	v_add_f32_e32 v64, v64, v10
	v_and_b32_e32 v10, 0x7f800000, v64
	s_delay_alu instid0(VALU_DEP_1) | instskip(SKIP_1) | instid1(SALU_CYCLE_1)
	v_cmp_ne_u32_e32 vcc_lo, 0x7f800000, v10
                                        ; implicit-def: $vgpr10
	s_and_saveexec_b32 s15, vcc_lo
	s_xor_b32 s15, exec_lo, s15
; %bb.1635:                             ;   in Loop: Header=BB10_1390 Depth=3
	v_bfe_u32 v10, v64, 16, 1
	s_delay_alu instid0(VALU_DEP_1)
	v_add3_u32 v10, v64, v10, 0x7fff
                                        ; implicit-def: $vgpr64
; %bb.1636:                             ;   in Loop: Header=BB10_1390 Depth=3
	s_and_not1_saveexec_b32 s15, s15
; %bb.1637:                             ;   in Loop: Header=BB10_1390 Depth=3
	v_and_b32_e32 v10, 0xffff, v64
	v_or_b32_e32 v66, 0x10000, v64
	s_delay_alu instid0(VALU_DEP_2) | instskip(NEXT) | instid1(VALU_DEP_2)
	v_cmp_eq_u32_e32 vcc_lo, 0, v10
	v_cndmask_b32_e32 v10, v66, v64, vcc_lo
; %bb.1638:                             ;   in Loop: Header=BB10_1390 Depth=3
	s_or_b32 exec_lo, exec_lo, s15
	v_and_b32_e32 v64, 0xffff0000, v106
	v_lshlrev_b32_e32 v66, 16, v11
	s_delay_alu instid0(VALU_DEP_1) | instskip(NEXT) | instid1(VALU_DEP_1)
	v_add_f32_e32 v66, v64, v66
	v_and_b32_e32 v64, 0x7f800000, v66
	s_delay_alu instid0(VALU_DEP_1) | instskip(SKIP_1) | instid1(SALU_CYCLE_1)
	v_cmp_ne_u32_e32 vcc_lo, 0x7f800000, v64
                                        ; implicit-def: $vgpr64
	s_and_saveexec_b32 s15, vcc_lo
	s_xor_b32 s15, exec_lo, s15
; %bb.1639:                             ;   in Loop: Header=BB10_1390 Depth=3
	v_bfe_u32 v64, v66, 16, 1
	s_delay_alu instid0(VALU_DEP_1)
	v_add3_u32 v64, v66, v64, 0x7fff
                                        ; implicit-def: $vgpr66
; %bb.1640:                             ;   in Loop: Header=BB10_1390 Depth=3
	s_and_not1_saveexec_b32 s15, s15
; %bb.1641:                             ;   in Loop: Header=BB10_1390 Depth=3
	v_and_b32_e32 v64, 0xffff, v66
	v_or_b32_e32 v67, 0x10000, v66
	s_delay_alu instid0(VALU_DEP_2) | instskip(NEXT) | instid1(VALU_DEP_2)
	v_cmp_eq_u32_e32 vcc_lo, 0, v64
	v_cndmask_b32_e32 v64, v67, v66, vcc_lo
; %bb.1642:                             ;   in Loop: Header=BB10_1390 Depth=3
	s_or_b32 exec_lo, exec_lo, s15
	v_and_b32_e32 v11, 0xffff0000, v11
	v_and_b32_e32 v66, 0xffff0000, v104
	s_delay_alu instid0(VALU_DEP_1) | instskip(NEXT) | instid1(VALU_DEP_1)
	v_add_f32_e32 v66, v66, v11
	v_and_b32_e32 v11, 0x7f800000, v66
	s_delay_alu instid0(VALU_DEP_1) | instskip(SKIP_1) | instid1(SALU_CYCLE_1)
	v_cmp_ne_u32_e32 vcc_lo, 0x7f800000, v11
                                        ; implicit-def: $vgpr11
	s_and_saveexec_b32 s15, vcc_lo
	s_xor_b32 s15, exec_lo, s15
; %bb.1643:                             ;   in Loop: Header=BB10_1390 Depth=3
	v_bfe_u32 v11, v66, 16, 1
	s_delay_alu instid0(VALU_DEP_1)
	v_add3_u32 v11, v66, v11, 0x7fff
                                        ; implicit-def: $vgpr66
; %bb.1644:                             ;   in Loop: Header=BB10_1390 Depth=3
	s_and_not1_saveexec_b32 s15, s15
	s_cbranch_execz .LBB10_1389
; %bb.1645:                             ;   in Loop: Header=BB10_1390 Depth=3
	v_and_b32_e32 v11, 0xffff, v66
	v_or_b32_e32 v67, 0x10000, v66
	s_delay_alu instid0(VALU_DEP_2) | instskip(NEXT) | instid1(VALU_DEP_2)
	v_cmp_eq_u32_e32 vcc_lo, 0, v11
	v_cndmask_b32_e32 v11, v67, v66, vcc_lo
	s_branch .LBB10_1389
.LBB10_1646:                            ;   in Loop: Header=BB10_1307 Depth=2
	s_or_b32 exec_lo, exec_lo, s14
.LBB10_1647:                            ;   in Loop: Header=BB10_1307 Depth=2
	s_delay_alu instid0(SALU_CYCLE_1) | instskip(SKIP_3) | instid1(VALU_DEP_1)
	s_or_b32 exec_lo, exec_lo, s13
	v_dual_lshlrev_b32 v4, 11, v93 :: v_dual_mov_b32 v16, 0
	s_mov_b32 s13, 0
	s_mov_b32 s62, exec_lo
                                        ; implicit-def: $vgpr17
                                        ; implicit-def: $vgpr18
	v_cmpx_ne_u32_e64 v43, v4
	s_cbranch_execz .LBB10_1719
; %bb.1648:                             ;   in Loop: Header=BB10_1307 Depth=2
	v_dual_lshlrev_b32 v1, 5, v45 :: v_dual_bitop2_b32 v5, 31, v0 bitop3:0x40
	s_mov_b32 s63, exec_lo
	s_delay_alu instid0(VALU_DEP_1) | instskip(NEXT) | instid1(VALU_DEP_1)
	v_dual_sub_nc_u32 v8, v43, v4 :: v_dual_sub_nc_u32 v1, v5, v1
	v_dual_ashrrev_i32 v9, 31, v8 :: v_dual_ashrrev_i32 v5, 31, v1
	s_delay_alu instid0(VALU_DEP_1) | instskip(NEXT) | instid1(VALU_DEP_1)
	v_lshrrev_b32_e32 v5, 27, v5
	v_add_nc_u32_e32 v10, v1, v5
	s_delay_alu instid0(VALU_DEP_3) | instskip(NEXT) | instid1(VALU_DEP_1)
	v_lshrrev_b32_e32 v5, 23, v9
	v_add_nc_u32_e32 v11, v8, v5
	s_delay_alu instid0(VALU_DEP_3) | instskip(NEXT) | instid1(VALU_DEP_2)
	v_and_b32_e32 v9, 0xffffffe0, v10
	v_and_b32_e32 v20, 0xfffffe00, v11
	s_delay_alu instid0(VALU_DEP_2) | instskip(NEXT) | instid1(VALU_DEP_2)
	v_dual_sub_nc_u32 v5, v1, v9 :: v_dual_ashrrev_i32 v9, 5, v10
	v_dual_ashrrev_i32 v10, 9, v11 :: v_dual_sub_nc_u32 v21, v8, v20
	s_delay_alu instid0(VALU_DEP_2) | instskip(NEXT) | instid1(VALU_DEP_2)
	v_lshlrev_b32_e32 v1, 4, v5
	v_cmp_lt_i32_e64 s13, 15, v21
	s_delay_alu instid0(VALU_DEP_2) | instskip(NEXT) | instid1(VALU_DEP_2)
	v_lshl_add_u32 v1, v9, 9, v1
	v_add_co_ci_u32_e64 v10, null, 0, v10, s13
	s_delay_alu instid0(VALU_DEP_2) | instskip(NEXT) | instid1(VALU_DEP_2)
	v_sub_nc_u32_e32 v23, v8, v1
	v_sub_nc_u32_e32 v22, v10, v9
	s_delay_alu instid0(VALU_DEP_2)
	v_cmpx_lt_i32_e32 15, v23
	s_cbranch_execz .LBB10_1718
; %bb.1649:                             ;   in Loop: Header=BB10_1307 Depth=2
	s_trap 2
	ds_load_b64 v[8:9], v0
	ds_load_b32 v24, v0
	v_add_nc_u32_e32 v10, v1, v4
	s_mov_b32 s72, 0
	s_wait_dscnt 0x0
	s_delay_alu instid0(VALU_DEP_1) | instskip(NEXT) | instid1(VALU_DEP_1)
	v_dual_ashrrev_i32 v11, 31, v10 :: v_dual_lshlrev_b32 v24, 16, v24
	v_add_nc_u64_e32 v[12:13], v[10:11], v[58:59]
	v_add_nc_u64_e32 v[14:15], v[10:11], v[60:61]
	;; [unrolled: 1-line block ×4, first 2 shown]
.LBB10_1650:                            ;   Parent Loop BB10_47 Depth=1
                                        ;     Parent Loop BB10_1307 Depth=2
                                        ; =>    This Loop Header: Depth=3
                                        ;         Child Loop BB10_1715 Depth 4
	global_load_b128 v[8:11], v[16:17], off th:TH_LOAD_NT
	s_wait_loadcnt 0x0
	v_lshlrev_b32_e32 v1, 16, v8
	s_delay_alu instid0(VALU_DEP_1) | instskip(NEXT) | instid1(VALU_DEP_1)
	v_mul_f32_e32 v1, v24, v1
	v_and_b32_e32 v25, 0x7f800000, v1
	s_delay_alu instid0(VALU_DEP_1) | instskip(SKIP_2) | instid1(SALU_CYCLE_1)
	v_cmp_ne_u32_e32 vcc_lo, 0x7f800000, v25
                                        ; implicit-def: $vgpr25
	s_wait_xcnt 0x0
	s_and_saveexec_b32 s14, vcc_lo
	s_xor_b32 s14, exec_lo, s14
; %bb.1651:                             ;   in Loop: Header=BB10_1650 Depth=3
	v_bfe_u32 v25, v1, 16, 1
	s_delay_alu instid0(VALU_DEP_1)
	v_add3_u32 v25, v1, v25, 0x7fff
                                        ; implicit-def: $vgpr1
; %bb.1652:                             ;   in Loop: Header=BB10_1650 Depth=3
	s_and_not1_saveexec_b32 s14, s14
; %bb.1653:                             ;   in Loop: Header=BB10_1650 Depth=3
	v_and_b32_e32 v25, 0xffff, v1
	v_or_b32_e32 v26, 0x10000, v1
	s_delay_alu instid0(VALU_DEP_2) | instskip(NEXT) | instid1(VALU_DEP_2)
	v_cmp_eq_u32_e32 vcc_lo, 0, v25
	v_cndmask_b32_e32 v25, v26, v1, vcc_lo
; %bb.1654:                             ;   in Loop: Header=BB10_1650 Depth=3
	s_or_b32 exec_lo, exec_lo, s14
	v_and_b32_e32 v1, 0xffff0000, v8
	s_mov_b32 s14, exec_lo
                                        ; implicit-def: $vgpr54
	s_delay_alu instid0(VALU_DEP_1) | instskip(NEXT) | instid1(VALU_DEP_1)
	v_mul_f32_e32 v1, v24, v1
	v_and_b32_e32 v8, 0x7f800000, v1
	s_delay_alu instid0(VALU_DEP_1)
	v_cmpx_ne_u32_e32 0x7f800000, v8
	s_xor_b32 s14, exec_lo, s14
; %bb.1655:                             ;   in Loop: Header=BB10_1650 Depth=3
	v_bfe_u32 v8, v1, 16, 1
	s_delay_alu instid0(VALU_DEP_1)
	v_add3_u32 v54, v1, v8, 0x7fff
                                        ; implicit-def: $vgpr1
; %bb.1656:                             ;   in Loop: Header=BB10_1650 Depth=3
	s_and_not1_saveexec_b32 s14, s14
; %bb.1657:                             ;   in Loop: Header=BB10_1650 Depth=3
	v_and_b32_e32 v8, 0xffff, v1
	v_or_b32_e32 v26, 0x10000, v1
	s_delay_alu instid0(VALU_DEP_2) | instskip(NEXT) | instid1(VALU_DEP_2)
	v_cmp_eq_u32_e32 vcc_lo, 0, v8
	v_cndmask_b32_e32 v54, v26, v1, vcc_lo
; %bb.1658:                             ;   in Loop: Header=BB10_1650 Depth=3
	s_or_b32 exec_lo, exec_lo, s14
	v_lshlrev_b32_e32 v1, 16, v9
	s_mov_b32 s14, exec_lo
                                        ; implicit-def: $vgpr31
	s_delay_alu instid0(VALU_DEP_1) | instskip(NEXT) | instid1(VALU_DEP_1)
	v_mul_f32_e32 v1, v24, v1
	v_and_b32_e32 v8, 0x7f800000, v1
	s_delay_alu instid0(VALU_DEP_1)
	v_cmpx_ne_u32_e32 0x7f800000, v8
	s_xor_b32 s14, exec_lo, s14
; %bb.1659:                             ;   in Loop: Header=BB10_1650 Depth=3
	v_bfe_u32 v8, v1, 16, 1
	s_delay_alu instid0(VALU_DEP_1)
	v_add3_u32 v31, v1, v8, 0x7fff
                                        ; implicit-def: $vgpr1
; %bb.1660:                             ;   in Loop: Header=BB10_1650 Depth=3
	s_and_not1_saveexec_b32 s14, s14
; %bb.1661:                             ;   in Loop: Header=BB10_1650 Depth=3
	v_and_b32_e32 v8, 0xffff, v1
	v_or_b32_e32 v26, 0x10000, v1
	s_delay_alu instid0(VALU_DEP_2) | instskip(NEXT) | instid1(VALU_DEP_2)
	v_cmp_eq_u32_e32 vcc_lo, 0, v8
	v_cndmask_b32_e32 v31, v26, v1, vcc_lo
; %bb.1662:                             ;   in Loop: Header=BB10_1650 Depth=3
	s_or_b32 exec_lo, exec_lo, s14
	v_and_b32_e32 v1, 0xffff0000, v9
	s_mov_b32 s14, exec_lo
                                        ; implicit-def: $vgpr29
	s_delay_alu instid0(VALU_DEP_1) | instskip(NEXT) | instid1(VALU_DEP_1)
	v_mul_f32_e32 v1, v24, v1
	v_and_b32_e32 v8, 0x7f800000, v1
	s_delay_alu instid0(VALU_DEP_1)
	v_cmpx_ne_u32_e32 0x7f800000, v8
	s_xor_b32 s14, exec_lo, s14
; %bb.1663:                             ;   in Loop: Header=BB10_1650 Depth=3
	v_bfe_u32 v8, v1, 16, 1
	s_delay_alu instid0(VALU_DEP_1)
	v_add3_u32 v29, v1, v8, 0x7fff
                                        ; implicit-def: $vgpr1
; %bb.1664:                             ;   in Loop: Header=BB10_1650 Depth=3
	s_and_not1_saveexec_b32 s14, s14
; %bb.1665:                             ;   in Loop: Header=BB10_1650 Depth=3
	v_and_b32_e32 v8, 0xffff, v1
	v_or_b32_e32 v9, 0x10000, v1
	s_delay_alu instid0(VALU_DEP_2) | instskip(NEXT) | instid1(VALU_DEP_2)
	v_cmp_eq_u32_e32 vcc_lo, 0, v8
	v_cndmask_b32_e32 v29, v9, v1, vcc_lo
; %bb.1666:                             ;   in Loop: Header=BB10_1650 Depth=3
	s_or_b32 exec_lo, exec_lo, s14
	v_lshlrev_b32_e32 v1, 16, v10
	s_mov_b32 s14, exec_lo
                                        ; implicit-def: $vgpr28
	s_delay_alu instid0(VALU_DEP_1) | instskip(NEXT) | instid1(VALU_DEP_1)
	v_mul_f32_e32 v1, v24, v1
	v_and_b32_e32 v8, 0x7f800000, v1
	s_delay_alu instid0(VALU_DEP_1)
	v_cmpx_ne_u32_e32 0x7f800000, v8
	s_xor_b32 s14, exec_lo, s14
; %bb.1667:                             ;   in Loop: Header=BB10_1650 Depth=3
	v_bfe_u32 v8, v1, 16, 1
	s_delay_alu instid0(VALU_DEP_1)
	v_add3_u32 v28, v1, v8, 0x7fff
                                        ; implicit-def: $vgpr1
; %bb.1668:                             ;   in Loop: Header=BB10_1650 Depth=3
	s_and_not1_saveexec_b32 s14, s14
; %bb.1669:                             ;   in Loop: Header=BB10_1650 Depth=3
	v_and_b32_e32 v8, 0xffff, v1
	v_or_b32_e32 v9, 0x10000, v1
	s_delay_alu instid0(VALU_DEP_2) | instskip(NEXT) | instid1(VALU_DEP_2)
	v_cmp_eq_u32_e32 vcc_lo, 0, v8
	v_cndmask_b32_e32 v28, v9, v1, vcc_lo
; %bb.1670:                             ;   in Loop: Header=BB10_1650 Depth=3
	s_or_b32 exec_lo, exec_lo, s14
	v_and_b32_e32 v1, 0xffff0000, v10
	s_mov_b32 s14, exec_lo
                                        ; implicit-def: $vgpr27
	s_delay_alu instid0(VALU_DEP_1) | instskip(NEXT) | instid1(VALU_DEP_1)
	v_mul_f32_e32 v1, v24, v1
	v_and_b32_e32 v8, 0x7f800000, v1
	s_delay_alu instid0(VALU_DEP_1)
	v_cmpx_ne_u32_e32 0x7f800000, v8
	s_xor_b32 s14, exec_lo, s14
; %bb.1671:                             ;   in Loop: Header=BB10_1650 Depth=3
	v_bfe_u32 v8, v1, 16, 1
	s_delay_alu instid0(VALU_DEP_1)
	v_add3_u32 v27, v1, v8, 0x7fff
                                        ; implicit-def: $vgpr1
; %bb.1672:                             ;   in Loop: Header=BB10_1650 Depth=3
	s_and_not1_saveexec_b32 s14, s14
; %bb.1673:                             ;   in Loop: Header=BB10_1650 Depth=3
	v_and_b32_e32 v8, 0xffff, v1
	v_or_b32_e32 v9, 0x10000, v1
	s_delay_alu instid0(VALU_DEP_2) | instskip(NEXT) | instid1(VALU_DEP_2)
	v_cmp_eq_u32_e32 vcc_lo, 0, v8
	v_cndmask_b32_e32 v27, v9, v1, vcc_lo
; %bb.1674:                             ;   in Loop: Header=BB10_1650 Depth=3
	s_or_b32 exec_lo, exec_lo, s14
	v_lshlrev_b32_e32 v1, 16, v11
	s_mov_b32 s14, exec_lo
                                        ; implicit-def: $vgpr26
	s_delay_alu instid0(VALU_DEP_1) | instskip(NEXT) | instid1(VALU_DEP_1)
	v_mul_f32_e32 v1, v24, v1
	v_and_b32_e32 v8, 0x7f800000, v1
	s_delay_alu instid0(VALU_DEP_1)
	v_cmpx_ne_u32_e32 0x7f800000, v8
	s_xor_b32 s14, exec_lo, s14
; %bb.1675:                             ;   in Loop: Header=BB10_1650 Depth=3
	v_bfe_u32 v8, v1, 16, 1
	s_delay_alu instid0(VALU_DEP_1)
	v_add3_u32 v26, v1, v8, 0x7fff
                                        ; implicit-def: $vgpr1
; %bb.1676:                             ;   in Loop: Header=BB10_1650 Depth=3
	s_and_not1_saveexec_b32 s14, s14
; %bb.1677:                             ;   in Loop: Header=BB10_1650 Depth=3
	v_and_b32_e32 v8, 0xffff, v1
	v_or_b32_e32 v9, 0x10000, v1
	s_delay_alu instid0(VALU_DEP_2) | instskip(NEXT) | instid1(VALU_DEP_2)
	v_cmp_eq_u32_e32 vcc_lo, 0, v8
	v_cndmask_b32_e32 v26, v9, v1, vcc_lo
; %bb.1678:                             ;   in Loop: Header=BB10_1650 Depth=3
	s_or_b32 exec_lo, exec_lo, s14
	v_and_b32_e32 v1, 0xffff0000, v11
	s_delay_alu instid0(VALU_DEP_1) | instskip(NEXT) | instid1(VALU_DEP_1)
	v_mul_f32_e32 v8, v24, v1
	v_and_b32_e32 v1, 0x7f800000, v8
	s_delay_alu instid0(VALU_DEP_1) | instskip(SKIP_1) | instid1(SALU_CYCLE_1)
	v_cmp_ne_u32_e32 vcc_lo, 0x7f800000, v1
                                        ; implicit-def: $vgpr1
	s_and_saveexec_b32 s14, vcc_lo
	s_xor_b32 s14, exec_lo, s14
; %bb.1679:                             ;   in Loop: Header=BB10_1650 Depth=3
	v_bfe_u32 v1, v8, 16, 1
	s_delay_alu instid0(VALU_DEP_1)
	v_add3_u32 v1, v8, v1, 0x7fff
                                        ; implicit-def: $vgpr8
; %bb.1680:                             ;   in Loop: Header=BB10_1650 Depth=3
	s_and_not1_saveexec_b32 s14, s14
; %bb.1681:                             ;   in Loop: Header=BB10_1650 Depth=3
	v_and_b32_e32 v1, 0xffff, v8
	v_or_b32_e32 v9, 0x10000, v8
	s_delay_alu instid0(VALU_DEP_2) | instskip(NEXT) | instid1(VALU_DEP_2)
	v_cmp_eq_u32_e32 vcc_lo, 0, v1
	v_cndmask_b32_e32 v1, v9, v8, vcc_lo
; %bb.1682:                             ;   in Loop: Header=BB10_1650 Depth=3
	s_or_b32 exec_lo, exec_lo, s14
	global_load_b128 v[8:11], v[18:19], off th:TH_LOAD_NT
	v_and_b32_e32 v25, 0xffff0000, v25
	s_wait_loadcnt 0x0
	v_lshlrev_b32_e32 v55, 16, v8
	s_delay_alu instid0(VALU_DEP_1) | instskip(NEXT) | instid1(VALU_DEP_1)
	v_add_f32_e32 v55, v25, v55
	v_and_b32_e32 v25, 0x7f800000, v55
	s_delay_alu instid0(VALU_DEP_1) | instskip(SKIP_2) | instid1(SALU_CYCLE_1)
	v_cmp_ne_u32_e32 vcc_lo, 0x7f800000, v25
                                        ; implicit-def: $vgpr25
	s_wait_xcnt 0x0
	s_and_saveexec_b32 s14, vcc_lo
	s_xor_b32 s14, exec_lo, s14
; %bb.1683:                             ;   in Loop: Header=BB10_1650 Depth=3
	v_bfe_u32 v25, v55, 16, 1
	s_delay_alu instid0(VALU_DEP_1)
	v_add3_u32 v25, v55, v25, 0x7fff
                                        ; implicit-def: $vgpr55
; %bb.1684:                             ;   in Loop: Header=BB10_1650 Depth=3
	s_and_not1_saveexec_b32 s14, s14
; %bb.1685:                             ;   in Loop: Header=BB10_1650 Depth=3
	v_and_b32_e32 v25, 0xffff, v55
	v_or_b32_e32 v64, 0x10000, v55
	s_delay_alu instid0(VALU_DEP_2) | instskip(NEXT) | instid1(VALU_DEP_2)
	v_cmp_eq_u32_e32 vcc_lo, 0, v25
	v_cndmask_b32_e32 v25, v64, v55, vcc_lo
; %bb.1686:                             ;   in Loop: Header=BB10_1650 Depth=3
	s_or_b32 exec_lo, exec_lo, s14
	v_and_b32_e32 v54, 0xffff0000, v54
	v_and_b32_e32 v8, 0xffff0000, v8
	s_delay_alu instid0(VALU_DEP_1) | instskip(NEXT) | instid1(VALU_DEP_1)
	v_add_f32_e32 v54, v54, v8
	v_and_b32_e32 v8, 0x7f800000, v54
	s_delay_alu instid0(VALU_DEP_1) | instskip(SKIP_1) | instid1(SALU_CYCLE_1)
	v_cmp_ne_u32_e32 vcc_lo, 0x7f800000, v8
                                        ; implicit-def: $vgpr8
	s_and_saveexec_b32 s14, vcc_lo
	s_xor_b32 s14, exec_lo, s14
; %bb.1687:                             ;   in Loop: Header=BB10_1650 Depth=3
	v_bfe_u32 v8, v54, 16, 1
	s_delay_alu instid0(VALU_DEP_1)
	v_add3_u32 v8, v54, v8, 0x7fff
                                        ; implicit-def: $vgpr54
; %bb.1688:                             ;   in Loop: Header=BB10_1650 Depth=3
	s_and_not1_saveexec_b32 s14, s14
; %bb.1689:                             ;   in Loop: Header=BB10_1650 Depth=3
	v_and_b32_e32 v8, 0xffff, v54
	v_or_b32_e32 v55, 0x10000, v54
	s_delay_alu instid0(VALU_DEP_2) | instskip(NEXT) | instid1(VALU_DEP_2)
	v_cmp_eq_u32_e32 vcc_lo, 0, v8
	v_cndmask_b32_e32 v8, v55, v54, vcc_lo
; %bb.1690:                             ;   in Loop: Header=BB10_1650 Depth=3
	s_or_b32 exec_lo, exec_lo, s14
	v_and_b32_e32 v31, 0xffff0000, v31
	v_lshlrev_b32_e32 v54, 16, v9
	s_delay_alu instid0(VALU_DEP_1) | instskip(NEXT) | instid1(VALU_DEP_1)
	v_add_f32_e32 v54, v31, v54
	v_and_b32_e32 v31, 0x7f800000, v54
	s_delay_alu instid0(VALU_DEP_1) | instskip(SKIP_1) | instid1(SALU_CYCLE_1)
	v_cmp_ne_u32_e32 vcc_lo, 0x7f800000, v31
                                        ; implicit-def: $vgpr31
	s_and_saveexec_b32 s14, vcc_lo
	s_xor_b32 s14, exec_lo, s14
; %bb.1691:                             ;   in Loop: Header=BB10_1650 Depth=3
	v_bfe_u32 v31, v54, 16, 1
	s_delay_alu instid0(VALU_DEP_1)
	v_add3_u32 v31, v54, v31, 0x7fff
                                        ; implicit-def: $vgpr54
; %bb.1692:                             ;   in Loop: Header=BB10_1650 Depth=3
	s_and_not1_saveexec_b32 s14, s14
; %bb.1693:                             ;   in Loop: Header=BB10_1650 Depth=3
	v_and_b32_e32 v31, 0xffff, v54
	v_or_b32_e32 v55, 0x10000, v54
	s_delay_alu instid0(VALU_DEP_2) | instskip(NEXT) | instid1(VALU_DEP_2)
	v_cmp_eq_u32_e32 vcc_lo, 0, v31
	v_cndmask_b32_e32 v31, v55, v54, vcc_lo
; %bb.1694:                             ;   in Loop: Header=BB10_1650 Depth=3
	s_or_b32 exec_lo, exec_lo, s14
	v_and_b32_e32 v29, 0xffff0000, v29
	v_and_b32_e32 v9, 0xffff0000, v9
	s_delay_alu instid0(VALU_DEP_1) | instskip(NEXT) | instid1(VALU_DEP_1)
	v_add_f32_e32 v29, v29, v9
	v_and_b32_e32 v9, 0x7f800000, v29
	s_delay_alu instid0(VALU_DEP_1) | instskip(SKIP_1) | instid1(SALU_CYCLE_1)
	v_cmp_ne_u32_e32 vcc_lo, 0x7f800000, v9
                                        ; implicit-def: $vgpr9
	s_and_saveexec_b32 s14, vcc_lo
	s_xor_b32 s14, exec_lo, s14
; %bb.1695:                             ;   in Loop: Header=BB10_1650 Depth=3
	v_bfe_u32 v9, v29, 16, 1
	s_delay_alu instid0(VALU_DEP_1)
	v_add3_u32 v9, v29, v9, 0x7fff
                                        ; implicit-def: $vgpr29
; %bb.1696:                             ;   in Loop: Header=BB10_1650 Depth=3
	s_and_not1_saveexec_b32 s14, s14
; %bb.1697:                             ;   in Loop: Header=BB10_1650 Depth=3
	v_and_b32_e32 v9, 0xffff, v29
	v_or_b32_e32 v54, 0x10000, v29
	s_delay_alu instid0(VALU_DEP_2) | instskip(NEXT) | instid1(VALU_DEP_2)
	v_cmp_eq_u32_e32 vcc_lo, 0, v9
	v_cndmask_b32_e32 v9, v54, v29, vcc_lo
; %bb.1698:                             ;   in Loop: Header=BB10_1650 Depth=3
	s_or_b32 exec_lo, exec_lo, s14
	v_and_b32_e32 v28, 0xffff0000, v28
	v_lshlrev_b32_e32 v29, 16, v10
	s_delay_alu instid0(VALU_DEP_1) | instskip(NEXT) | instid1(VALU_DEP_1)
	v_add_f32_e32 v29, v28, v29
	v_and_b32_e32 v28, 0x7f800000, v29
	s_delay_alu instid0(VALU_DEP_1) | instskip(SKIP_1) | instid1(SALU_CYCLE_1)
	v_cmp_ne_u32_e32 vcc_lo, 0x7f800000, v28
                                        ; implicit-def: $vgpr28
	s_and_saveexec_b32 s14, vcc_lo
	s_xor_b32 s14, exec_lo, s14
; %bb.1699:                             ;   in Loop: Header=BB10_1650 Depth=3
	v_bfe_u32 v28, v29, 16, 1
	s_delay_alu instid0(VALU_DEP_1)
	v_add3_u32 v28, v29, v28, 0x7fff
                                        ; implicit-def: $vgpr29
; %bb.1700:                             ;   in Loop: Header=BB10_1650 Depth=3
	s_and_not1_saveexec_b32 s14, s14
; %bb.1701:                             ;   in Loop: Header=BB10_1650 Depth=3
	v_and_b32_e32 v28, 0xffff, v29
	v_or_b32_e32 v54, 0x10000, v29
	s_delay_alu instid0(VALU_DEP_2) | instskip(NEXT) | instid1(VALU_DEP_2)
	v_cmp_eq_u32_e32 vcc_lo, 0, v28
	v_cndmask_b32_e32 v28, v54, v29, vcc_lo
; %bb.1702:                             ;   in Loop: Header=BB10_1650 Depth=3
	s_or_b32 exec_lo, exec_lo, s14
	v_and_b32_e32 v27, 0xffff0000, v27
	v_and_b32_e32 v10, 0xffff0000, v10
	s_delay_alu instid0(VALU_DEP_1) | instskip(NEXT) | instid1(VALU_DEP_1)
	v_add_f32_e32 v27, v27, v10
	v_and_b32_e32 v10, 0x7f800000, v27
	s_delay_alu instid0(VALU_DEP_1) | instskip(SKIP_1) | instid1(SALU_CYCLE_1)
	v_cmp_ne_u32_e32 vcc_lo, 0x7f800000, v10
                                        ; implicit-def: $vgpr10
	s_and_saveexec_b32 s14, vcc_lo
	s_xor_b32 s14, exec_lo, s14
; %bb.1703:                             ;   in Loop: Header=BB10_1650 Depth=3
	v_bfe_u32 v10, v27, 16, 1
	s_delay_alu instid0(VALU_DEP_1)
	v_add3_u32 v10, v27, v10, 0x7fff
                                        ; implicit-def: $vgpr27
; %bb.1704:                             ;   in Loop: Header=BB10_1650 Depth=3
	s_and_not1_saveexec_b32 s14, s14
; %bb.1705:                             ;   in Loop: Header=BB10_1650 Depth=3
	v_and_b32_e32 v10, 0xffff, v27
	v_or_b32_e32 v29, 0x10000, v27
	s_delay_alu instid0(VALU_DEP_2) | instskip(NEXT) | instid1(VALU_DEP_2)
	v_cmp_eq_u32_e32 vcc_lo, 0, v10
	v_cndmask_b32_e32 v10, v29, v27, vcc_lo
; %bb.1706:                             ;   in Loop: Header=BB10_1650 Depth=3
	s_or_b32 exec_lo, exec_lo, s14
	v_and_b32_e32 v26, 0xffff0000, v26
	v_lshlrev_b32_e32 v27, 16, v11
	s_delay_alu instid0(VALU_DEP_1) | instskip(NEXT) | instid1(VALU_DEP_1)
	v_add_f32_e32 v27, v26, v27
	v_and_b32_e32 v26, 0x7f800000, v27
	s_delay_alu instid0(VALU_DEP_1) | instskip(SKIP_1) | instid1(SALU_CYCLE_1)
	v_cmp_ne_u32_e32 vcc_lo, 0x7f800000, v26
                                        ; implicit-def: $vgpr26
	s_and_saveexec_b32 s14, vcc_lo
	s_xor_b32 s14, exec_lo, s14
; %bb.1707:                             ;   in Loop: Header=BB10_1650 Depth=3
	v_bfe_u32 v26, v27, 16, 1
	s_delay_alu instid0(VALU_DEP_1)
	v_add3_u32 v26, v27, v26, 0x7fff
                                        ; implicit-def: $vgpr27
; %bb.1708:                             ;   in Loop: Header=BB10_1650 Depth=3
	s_and_not1_saveexec_b32 s14, s14
; %bb.1709:                             ;   in Loop: Header=BB10_1650 Depth=3
	v_and_b32_e32 v26, 0xffff, v27
	v_or_b32_e32 v29, 0x10000, v27
	s_delay_alu instid0(VALU_DEP_2) | instskip(NEXT) | instid1(VALU_DEP_2)
	v_cmp_eq_u32_e32 vcc_lo, 0, v26
	v_cndmask_b32_e32 v26, v29, v27, vcc_lo
; %bb.1710:                             ;   in Loop: Header=BB10_1650 Depth=3
	s_or_b32 exec_lo, exec_lo, s14
	v_and_b32_e32 v1, 0xffff0000, v1
	v_and_b32_e32 v11, 0xffff0000, v11
	s_delay_alu instid0(VALU_DEP_1) | instskip(NEXT) | instid1(VALU_DEP_1)
	v_add_f32_e32 v11, v1, v11
	v_and_b32_e32 v1, 0x7f800000, v11
	s_delay_alu instid0(VALU_DEP_1) | instskip(SKIP_1) | instid1(SALU_CYCLE_1)
	v_cmp_ne_u32_e32 vcc_lo, 0x7f800000, v1
                                        ; implicit-def: $vgpr1
	s_and_saveexec_b32 s14, vcc_lo
	s_xor_b32 s14, exec_lo, s14
; %bb.1711:                             ;   in Loop: Header=BB10_1650 Depth=3
	v_bfe_u32 v1, v11, 16, 1
	s_delay_alu instid0(VALU_DEP_1)
	v_add3_u32 v1, v11, v1, 0x7fff
                                        ; implicit-def: $vgpr11
; %bb.1712:                             ;   in Loop: Header=BB10_1650 Depth=3
	s_and_not1_saveexec_b32 s14, s14
; %bb.1713:                             ;   in Loop: Header=BB10_1650 Depth=3
	v_and_b32_e32 v1, 0xffff, v11
	v_or_b32_e32 v27, 0x10000, v11
	s_delay_alu instid0(VALU_DEP_2) | instskip(NEXT) | instid1(VALU_DEP_2)
	v_cmp_eq_u32_e32 vcc_lo, 0, v1
	v_cndmask_b32_e32 v1, v27, v11, vcc_lo
; %bb.1714:                             ;   in Loop: Header=BB10_1650 Depth=3
	s_or_b32 exec_lo, exec_lo, s14
	v_dual_lshrrev_b32 v11, 16, v31 :: v_dual_lshrrev_b32 v25, 16, v25
	v_dual_lshrrev_b32 v27, 16, v28 :: v_dual_lshrrev_b32 v26, 16, v26
	s_mov_b64 s[40:41], 0
	s_delay_alu instid0(VALU_DEP_2) | instskip(NEXT) | instid1(VALU_DEP_3)
	v_and_or_b32 v9, 0xffff0000, v9, v11
	v_and_or_b32 v8, 0xffff0000, v8, v25
	s_delay_alu instid0(VALU_DEP_3)
	v_and_or_b32 v10, 0xffff0000, v10, v27
	v_and_or_b32 v11, 0xffff0000, v1, v26
	s_mov_b32 s73, -1
.LBB10_1715:                            ;   Parent Loop BB10_47 Depth=1
                                        ;     Parent Loop BB10_1307 Depth=2
                                        ;       Parent Loop BB10_1650 Depth=3
                                        ; =>      This Inner Loop Header: Depth=4
	s_cmp_eq_u32 s40, 1
	s_cselect_b32 vcc_lo, -1, 0
	s_cmp_eq_u32 s40, 0
	s_wait_xcnt 0x0
	v_dual_cndmask_b32 v27, v13, v15 :: v_dual_cndmask_b32 v26, v12, v14
	s_cselect_b32 s14, -1, 0
	s_and_b32 s15, exec_lo, s73
	s_mov_b64 s[40:41], 1
	s_mov_b32 s73, 0
	v_add_nc_u64_e32 v[28:29], 0x200, v[26:27]
	global_store_b128 v[26:27], v[8:11], off th:TH_STORE_NT
	v_dual_cndmask_b32 v15, v15, v29 :: v_dual_cndmask_b32 v14, v14, v28
	v_dual_cndmask_b32 v13, v13, v29, s14 :: v_dual_cndmask_b32 v12, v12, v28, s14
	s_mov_b32 vcc_lo, s15
	s_cbranch_vccnz .LBB10_1715
; %bb.1716:                             ;   in Loop: Header=BB10_1650 Depth=3
	s_wait_xcnt 0x0
	v_add_nc_u64_e32 v[8:9], 0x200, v[98:99]
	v_dual_sub_nc_u32 v23, v23, v70 :: v_dual_sub_nc_u32 v22, v22, v52
	v_add_nc_u64_e32 v[12:13], v[12:13], v[98:99]
	v_add_nc_u64_e32 v[14:15], v[14:15], v[98:99]
	s_delay_alu instid0(VALU_DEP_3) | instskip(SKIP_3) | instid1(SALU_CYCLE_1)
	v_cmp_gt_i32_e32 vcc_lo, 16, v23
	v_add_nc_u64_e32 v[16:17], v[16:17], v[8:9]
	v_add_nc_u64_e32 v[18:19], v[18:19], v[8:9]
	s_or_b32 s72, vcc_lo, s72
	s_and_not1_b32 exec_lo, exec_lo, s72
	s_cbranch_execnz .LBB10_1650
; %bb.1717:                             ;   in Loop: Header=BB10_1307 Depth=2
	s_or_b32 exec_lo, exec_lo, s72
.LBB10_1718:                            ;   in Loop: Header=BB10_1307 Depth=2
	s_delay_alu instid0(SALU_CYCLE_1) | instskip(NEXT) | instid1(VALU_DEP_2)
	s_or_b32 exec_lo, exec_lo, s63
	v_cmp_lt_i32_e32 vcc_lo, 0, v22
	v_dual_cndmask_b32 v9, 0, v52, vcc_lo :: v_dual_bitop2_b32 v1, 14, v43 bitop3:0x40
	s_delay_alu instid0(VALU_DEP_1) | instskip(NEXT) | instid1(VALU_DEP_1)
	v_dual_sub_nc_u32 v8, v21, v1 :: v_dual_cndmask_b32 v17, v21, v1, s13
	v_dual_cndmask_b32 v1, 0, v8, s13 :: v_dual_sub_nc_u32 v8, v9, v22
	s_delay_alu instid0(VALU_DEP_2) | instskip(NEXT) | instid1(VALU_DEP_2)
	v_cmp_ne_u32_e32 vcc_lo, 0, v17
	v_add3_u32 v16, v20, v4, v1
	s_delay_alu instid0(VALU_DEP_3)
	v_lshl_add_u32 v18, v8, 5, v5
	s_and_b32 s13, vcc_lo, exec_lo
.LBB10_1719:                            ;   in Loop: Header=BB10_1307 Depth=2
	s_or_b32 exec_lo, exec_lo, s62
	s_and_saveexec_b32 s15, s13
	s_cbranch_execz .LBB10_1866
.LBB10_1720:                            ;   in Loop: Header=BB10_1307 Depth=2
	v_dual_ashrrev_i32 v1, 31, v18 :: v_dual_ashrrev_i32 v4, 31, v17
	s_mov_b32 s13, exec_lo
	s_delay_alu instid0(VALU_DEP_1) | instskip(NEXT) | instid1(VALU_DEP_1)
	v_dual_lshrrev_b32 v1, 27, v1 :: v_dual_lshrrev_b32 v4, 22, v4
	v_dual_add_nc_u32 v1, v18, v1 :: v_dual_add_nc_u32 v4, v17, v4
	s_delay_alu instid0(VALU_DEP_1) | instskip(NEXT) | instid1(VALU_DEP_1)
	v_dual_ashrrev_i32 v19, 5, v1 :: v_dual_ashrrev_i32 v21, 10, v4
	v_sub_nc_u32_e32 v20, v21, v19
	s_delay_alu instid0(VALU_DEP_1)
	v_cmpx_lt_i32_e32 0, v20
	s_cbranch_execz .LBB10_1852
; %bb.1721:                             ;   in Loop: Header=BB10_1307 Depth=2
	v_and_b32_e32 v1, 0x7fffffe0, v1
	s_trap 2
	ds_load_b64 v[4:5], v0
	ds_load_b32 v22, v0
	s_mov_b32 s14, 0
	v_dual_lshlrev_b32 v8, 10, v19 :: v_dual_sub_nc_u32 v1, v18, v1
	s_delay_alu instid0(VALU_DEP_1) | instskip(NEXT) | instid1(VALU_DEP_1)
	v_lshlrev_b32_e32 v1, 1, v1
	v_add3_u32 v14, v1, v16, v8
	s_delay_alu instid0(VALU_DEP_1) | instskip(SKIP_2) | instid1(VALU_DEP_2)
	v_ashrrev_i32_e32 v15, 31, v14
	s_wait_dscnt 0x0
	v_lshlrev_b32_e32 v22, 16, v22
	v_add_nc_u64_e32 v[8:9], v[14:15], v[58:59]
	v_add_nc_u64_e32 v[10:11], v[14:15], v[60:61]
	;; [unrolled: 1-line block ×4, first 2 shown]
	s_branch .LBB10_1723
.LBB10_1722:                            ;   in Loop: Header=BB10_1723 Depth=3
	s_or_b32 exec_lo, exec_lo, s40
	v_dual_lshrrev_b32 v28, 16, v28 :: v_dual_lshrrev_b32 v27, 16, v27
	v_dual_lshrrev_b32 v4, 16, v4 :: v_dual_lshrrev_b32 v1, 16, v1
	v_dual_lshrrev_b32 v23, 16, v23 :: v_dual_sub_nc_u32 v20, v20, v52
	v_dual_lshrrev_b32 v54, 16, v54 :: v_dual_lshrrev_b32 v29, 16, v29
	v_dual_lshrrev_b32 v24, 16, v24 :: v_dual_lshrrev_b32 v5, 16, v5
	;; [unrolled: 1-line block ×5, first 2 shown]
	v_lshrrev_b32_e32 v31, 16, v31
	s_clause 0xf
	flat_store_b16 v[8:9], v4 th:TH_STORE_NT
	flat_store_b16 v[8:9], v5 offset:64 th:TH_STORE_NT
	flat_store_b16 v[8:9], v1 offset:128 th:TH_STORE_NT
	;; [unrolled: 1-line block ×15, first 2 shown]
	s_clause 0xf
	flat_store_b16 v[10:11], v4 th:TH_STORE_NT
	flat_store_b16 v[10:11], v5 offset:64 th:TH_STORE_NT
	flat_store_b16 v[10:11], v1 offset:128 th:TH_STORE_NT
	;; [unrolled: 1-line block ×15, first 2 shown]
	v_add_nc_u64_e32 v[12:13], v[12:13], v[80:81]
	v_add_nc_u64_e32 v[14:15], v[14:15], v[80:81]
	s_wait_xcnt 0x10
	v_add_nc_u64_e32 v[8:9], v[8:9], v[80:81]
	v_cmp_gt_i32_e32 vcc_lo, 1, v20
	s_wait_xcnt 0x0
	v_add_nc_u64_e32 v[10:11], v[10:11], v[80:81]
	s_or_b32 s14, vcc_lo, s14
	s_delay_alu instid0(SALU_CYCLE_1)
	s_and_not1_b32 exec_lo, exec_lo, s14
	s_cbranch_execz .LBB10_1851
.LBB10_1723:                            ;   Parent Loop BB10_47 Depth=1
                                        ;     Parent Loop BB10_1307 Depth=2
                                        ; =>    This Inner Loop Header: Depth=3
	flat_load_u16 v1, v[12:13] th:TH_LOAD_NT
	s_wait_loadcnt_dscnt 0x0
	v_lshlrev_b32_e32 v1, 16, v1
	s_delay_alu instid0(VALU_DEP_1) | instskip(NEXT) | instid1(VALU_DEP_1)
	v_mul_f32_e32 v1, v22, v1
	v_and_b32_e32 v4, 0x7f800000, v1
	s_delay_alu instid0(VALU_DEP_1) | instskip(SKIP_2) | instid1(SALU_CYCLE_1)
	v_cmp_ne_u32_e32 vcc_lo, 0x7f800000, v4
                                        ; implicit-def: $vgpr4
	s_wait_xcnt 0x0
	s_and_saveexec_b32 s40, vcc_lo
	s_xor_b32 s40, exec_lo, s40
; %bb.1724:                             ;   in Loop: Header=BB10_1723 Depth=3
	v_bfe_u32 v4, v1, 16, 1
	s_delay_alu instid0(VALU_DEP_1)
	v_add3_u32 v4, v1, v4, 0x7fff
                                        ; implicit-def: $vgpr1
; %bb.1725:                             ;   in Loop: Header=BB10_1723 Depth=3
	s_and_not1_saveexec_b32 s40, s40
; %bb.1726:                             ;   in Loop: Header=BB10_1723 Depth=3
	v_and_b32_e32 v4, 0xffff, v1
	v_or_b32_e32 v5, 0x10000, v1
	s_delay_alu instid0(VALU_DEP_2) | instskip(NEXT) | instid1(VALU_DEP_2)
	v_cmp_eq_u32_e32 vcc_lo, 0, v4
	v_cndmask_b32_e32 v4, v5, v1, vcc_lo
; %bb.1727:                             ;   in Loop: Header=BB10_1723 Depth=3
	s_or_b32 exec_lo, exec_lo, s40
	flat_load_u16 v1, v[12:13] offset:64 th:TH_LOAD_NT
	s_wait_loadcnt_dscnt 0x0
	v_lshlrev_b32_e32 v1, 16, v1
	s_delay_alu instid0(VALU_DEP_1) | instskip(NEXT) | instid1(VALU_DEP_1)
	v_mul_f32_e32 v1, v22, v1
	v_and_b32_e32 v5, 0x7f800000, v1
	s_delay_alu instid0(VALU_DEP_1) | instskip(SKIP_2) | instid1(SALU_CYCLE_1)
	v_cmp_ne_u32_e32 vcc_lo, 0x7f800000, v5
                                        ; implicit-def: $vgpr5
	s_wait_xcnt 0x0
	s_and_saveexec_b32 s40, vcc_lo
	s_xor_b32 s40, exec_lo, s40
; %bb.1728:                             ;   in Loop: Header=BB10_1723 Depth=3
	v_bfe_u32 v5, v1, 16, 1
	s_delay_alu instid0(VALU_DEP_1)
	v_add3_u32 v5, v1, v5, 0x7fff
                                        ; implicit-def: $vgpr1
; %bb.1729:                             ;   in Loop: Header=BB10_1723 Depth=3
	s_and_not1_saveexec_b32 s40, s40
; %bb.1730:                             ;   in Loop: Header=BB10_1723 Depth=3
	v_and_b32_e32 v5, 0xffff, v1
	v_or_b32_e32 v23, 0x10000, v1
	s_delay_alu instid0(VALU_DEP_2) | instskip(NEXT) | instid1(VALU_DEP_2)
	v_cmp_eq_u32_e32 vcc_lo, 0, v5
	v_cndmask_b32_e32 v5, v23, v1, vcc_lo
; %bb.1731:                             ;   in Loop: Header=BB10_1723 Depth=3
	s_or_b32 exec_lo, exec_lo, s40
	flat_load_u16 v1, v[12:13] offset:128 th:TH_LOAD_NT
	s_wait_loadcnt_dscnt 0x0
	v_lshlrev_b32_e32 v1, 16, v1
	s_delay_alu instid0(VALU_DEP_1) | instskip(NEXT) | instid1(VALU_DEP_1)
	v_mul_f32_e32 v1, v22, v1
	v_and_b32_e32 v23, 0x7f800000, v1
	s_delay_alu instid0(VALU_DEP_1) | instskip(SKIP_2) | instid1(SALU_CYCLE_1)
	v_cmp_ne_u32_e32 vcc_lo, 0x7f800000, v23
                                        ; implicit-def: $vgpr23
	s_wait_xcnt 0x0
	s_and_saveexec_b32 s40, vcc_lo
	s_xor_b32 s40, exec_lo, s40
; %bb.1732:                             ;   in Loop: Header=BB10_1723 Depth=3
	v_bfe_u32 v23, v1, 16, 1
	s_delay_alu instid0(VALU_DEP_1)
	v_add3_u32 v23, v1, v23, 0x7fff
                                        ; implicit-def: $vgpr1
; %bb.1733:                             ;   in Loop: Header=BB10_1723 Depth=3
	s_and_not1_saveexec_b32 s40, s40
; %bb.1734:                             ;   in Loop: Header=BB10_1723 Depth=3
	v_and_b32_e32 v23, 0xffff, v1
	v_or_b32_e32 v24, 0x10000, v1
	s_delay_alu instid0(VALU_DEP_2) | instskip(NEXT) | instid1(VALU_DEP_2)
	v_cmp_eq_u32_e32 vcc_lo, 0, v23
	v_cndmask_b32_e32 v23, v24, v1, vcc_lo
; %bb.1735:                             ;   in Loop: Header=BB10_1723 Depth=3
	s_or_b32 exec_lo, exec_lo, s40
	flat_load_u16 v1, v[12:13] offset:192 th:TH_LOAD_NT
	s_wait_loadcnt_dscnt 0x0
	v_lshlrev_b32_e32 v1, 16, v1
	s_delay_alu instid0(VALU_DEP_1) | instskip(NEXT) | instid1(VALU_DEP_1)
	v_mul_f32_e32 v1, v22, v1
	v_and_b32_e32 v24, 0x7f800000, v1
	s_delay_alu instid0(VALU_DEP_1) | instskip(SKIP_2) | instid1(SALU_CYCLE_1)
	v_cmp_ne_u32_e32 vcc_lo, 0x7f800000, v24
                                        ; implicit-def: $vgpr24
	s_wait_xcnt 0x0
	s_and_saveexec_b32 s40, vcc_lo
	s_xor_b32 s40, exec_lo, s40
; %bb.1736:                             ;   in Loop: Header=BB10_1723 Depth=3
	v_bfe_u32 v24, v1, 16, 1
	s_delay_alu instid0(VALU_DEP_1)
	v_add3_u32 v24, v1, v24, 0x7fff
                                        ; implicit-def: $vgpr1
; %bb.1737:                             ;   in Loop: Header=BB10_1723 Depth=3
	s_and_not1_saveexec_b32 s40, s40
; %bb.1738:                             ;   in Loop: Header=BB10_1723 Depth=3
	v_and_b32_e32 v24, 0xffff, v1
	v_or_b32_e32 v25, 0x10000, v1
	s_delay_alu instid0(VALU_DEP_2) | instskip(NEXT) | instid1(VALU_DEP_2)
	v_cmp_eq_u32_e32 vcc_lo, 0, v24
	v_cndmask_b32_e32 v24, v25, v1, vcc_lo
; %bb.1739:                             ;   in Loop: Header=BB10_1723 Depth=3
	s_or_b32 exec_lo, exec_lo, s40
	flat_load_u16 v1, v[12:13] offset:256 th:TH_LOAD_NT
	s_wait_loadcnt_dscnt 0x0
	v_lshlrev_b32_e32 v1, 16, v1
	s_delay_alu instid0(VALU_DEP_1) | instskip(NEXT) | instid1(VALU_DEP_1)
	v_mul_f32_e32 v1, v22, v1
	v_and_b32_e32 v25, 0x7f800000, v1
	s_delay_alu instid0(VALU_DEP_1) | instskip(SKIP_2) | instid1(SALU_CYCLE_1)
	v_cmp_ne_u32_e32 vcc_lo, 0x7f800000, v25
                                        ; implicit-def: $vgpr25
	s_wait_xcnt 0x0
	s_and_saveexec_b32 s40, vcc_lo
	s_xor_b32 s40, exec_lo, s40
; %bb.1740:                             ;   in Loop: Header=BB10_1723 Depth=3
	v_bfe_u32 v25, v1, 16, 1
	s_delay_alu instid0(VALU_DEP_1)
	v_add3_u32 v25, v1, v25, 0x7fff
                                        ; implicit-def: $vgpr1
; %bb.1741:                             ;   in Loop: Header=BB10_1723 Depth=3
	s_and_not1_saveexec_b32 s40, s40
; %bb.1742:                             ;   in Loop: Header=BB10_1723 Depth=3
	v_and_b32_e32 v25, 0xffff, v1
	v_or_b32_e32 v26, 0x10000, v1
	s_delay_alu instid0(VALU_DEP_2) | instskip(NEXT) | instid1(VALU_DEP_2)
	v_cmp_eq_u32_e32 vcc_lo, 0, v25
	v_cndmask_b32_e32 v25, v26, v1, vcc_lo
; %bb.1743:                             ;   in Loop: Header=BB10_1723 Depth=3
	s_or_b32 exec_lo, exec_lo, s40
	flat_load_u16 v1, v[12:13] offset:320 th:TH_LOAD_NT
	s_wait_loadcnt_dscnt 0x0
	v_lshlrev_b32_e32 v1, 16, v1
	s_delay_alu instid0(VALU_DEP_1) | instskip(NEXT) | instid1(VALU_DEP_1)
	v_mul_f32_e32 v1, v22, v1
	v_and_b32_e32 v26, 0x7f800000, v1
	s_delay_alu instid0(VALU_DEP_1) | instskip(SKIP_2) | instid1(SALU_CYCLE_1)
	v_cmp_ne_u32_e32 vcc_lo, 0x7f800000, v26
                                        ; implicit-def: $vgpr26
	s_wait_xcnt 0x0
	s_and_saveexec_b32 s40, vcc_lo
	s_xor_b32 s40, exec_lo, s40
; %bb.1744:                             ;   in Loop: Header=BB10_1723 Depth=3
	v_bfe_u32 v26, v1, 16, 1
	s_delay_alu instid0(VALU_DEP_1)
	v_add3_u32 v26, v1, v26, 0x7fff
                                        ; implicit-def: $vgpr1
; %bb.1745:                             ;   in Loop: Header=BB10_1723 Depth=3
	s_and_not1_saveexec_b32 s40, s40
; %bb.1746:                             ;   in Loop: Header=BB10_1723 Depth=3
	v_and_b32_e32 v26, 0xffff, v1
	v_or_b32_e32 v27, 0x10000, v1
	s_delay_alu instid0(VALU_DEP_2) | instskip(NEXT) | instid1(VALU_DEP_2)
	v_cmp_eq_u32_e32 vcc_lo, 0, v26
	v_cndmask_b32_e32 v26, v27, v1, vcc_lo
; %bb.1747:                             ;   in Loop: Header=BB10_1723 Depth=3
	s_or_b32 exec_lo, exec_lo, s40
	flat_load_u16 v1, v[12:13] offset:384 th:TH_LOAD_NT
	s_wait_loadcnt_dscnt 0x0
	v_lshlrev_b32_e32 v1, 16, v1
	s_delay_alu instid0(VALU_DEP_1) | instskip(NEXT) | instid1(VALU_DEP_1)
	v_mul_f32_e32 v1, v22, v1
	v_and_b32_e32 v27, 0x7f800000, v1
	s_delay_alu instid0(VALU_DEP_1) | instskip(SKIP_2) | instid1(SALU_CYCLE_1)
	v_cmp_ne_u32_e32 vcc_lo, 0x7f800000, v27
                                        ; implicit-def: $vgpr27
	s_wait_xcnt 0x0
	s_and_saveexec_b32 s40, vcc_lo
	s_xor_b32 s40, exec_lo, s40
; %bb.1748:                             ;   in Loop: Header=BB10_1723 Depth=3
	v_bfe_u32 v27, v1, 16, 1
	s_delay_alu instid0(VALU_DEP_1)
	v_add3_u32 v27, v1, v27, 0x7fff
                                        ; implicit-def: $vgpr1
; %bb.1749:                             ;   in Loop: Header=BB10_1723 Depth=3
	s_and_not1_saveexec_b32 s40, s40
; %bb.1750:                             ;   in Loop: Header=BB10_1723 Depth=3
	v_and_b32_e32 v27, 0xffff, v1
	v_or_b32_e32 v28, 0x10000, v1
	s_delay_alu instid0(VALU_DEP_2) | instskip(NEXT) | instid1(VALU_DEP_2)
	v_cmp_eq_u32_e32 vcc_lo, 0, v27
	v_cndmask_b32_e32 v27, v28, v1, vcc_lo
; %bb.1751:                             ;   in Loop: Header=BB10_1723 Depth=3
	s_or_b32 exec_lo, exec_lo, s40
	flat_load_u16 v1, v[12:13] offset:448 th:TH_LOAD_NT
	s_wait_loadcnt_dscnt 0x0
	v_lshlrev_b32_e32 v1, 16, v1
	s_delay_alu instid0(VALU_DEP_1) | instskip(NEXT) | instid1(VALU_DEP_1)
	v_mul_f32_e32 v1, v22, v1
	v_and_b32_e32 v28, 0x7f800000, v1
	s_delay_alu instid0(VALU_DEP_1) | instskip(SKIP_2) | instid1(SALU_CYCLE_1)
	v_cmp_ne_u32_e32 vcc_lo, 0x7f800000, v28
                                        ; implicit-def: $vgpr28
	s_wait_xcnt 0x0
	s_and_saveexec_b32 s40, vcc_lo
	s_xor_b32 s40, exec_lo, s40
; %bb.1752:                             ;   in Loop: Header=BB10_1723 Depth=3
	v_bfe_u32 v28, v1, 16, 1
	s_delay_alu instid0(VALU_DEP_1)
	v_add3_u32 v28, v1, v28, 0x7fff
                                        ; implicit-def: $vgpr1
; %bb.1753:                             ;   in Loop: Header=BB10_1723 Depth=3
	s_and_not1_saveexec_b32 s40, s40
; %bb.1754:                             ;   in Loop: Header=BB10_1723 Depth=3
	v_and_b32_e32 v28, 0xffff, v1
	v_or_b32_e32 v29, 0x10000, v1
	s_delay_alu instid0(VALU_DEP_2) | instskip(NEXT) | instid1(VALU_DEP_2)
	v_cmp_eq_u32_e32 vcc_lo, 0, v28
	v_cndmask_b32_e32 v28, v29, v1, vcc_lo
; %bb.1755:                             ;   in Loop: Header=BB10_1723 Depth=3
	s_or_b32 exec_lo, exec_lo, s40
	flat_load_u16 v1, v[12:13] offset:512 th:TH_LOAD_NT
	s_wait_loadcnt_dscnt 0x0
	v_lshlrev_b32_e32 v1, 16, v1
	s_delay_alu instid0(VALU_DEP_1) | instskip(NEXT) | instid1(VALU_DEP_1)
	v_mul_f32_e32 v1, v22, v1
	v_and_b32_e32 v29, 0x7f800000, v1
	s_delay_alu instid0(VALU_DEP_1) | instskip(SKIP_2) | instid1(SALU_CYCLE_1)
	v_cmp_ne_u32_e32 vcc_lo, 0x7f800000, v29
                                        ; implicit-def: $vgpr29
	s_wait_xcnt 0x0
	s_and_saveexec_b32 s40, vcc_lo
	s_xor_b32 s40, exec_lo, s40
; %bb.1756:                             ;   in Loop: Header=BB10_1723 Depth=3
	v_bfe_u32 v29, v1, 16, 1
	s_delay_alu instid0(VALU_DEP_1)
	v_add3_u32 v29, v1, v29, 0x7fff
                                        ; implicit-def: $vgpr1
; %bb.1757:                             ;   in Loop: Header=BB10_1723 Depth=3
	s_and_not1_saveexec_b32 s40, s40
; %bb.1758:                             ;   in Loop: Header=BB10_1723 Depth=3
	v_and_b32_e32 v29, 0xffff, v1
	v_or_b32_e32 v31, 0x10000, v1
	s_delay_alu instid0(VALU_DEP_2) | instskip(NEXT) | instid1(VALU_DEP_2)
	v_cmp_eq_u32_e32 vcc_lo, 0, v29
	v_cndmask_b32_e32 v29, v31, v1, vcc_lo
; %bb.1759:                             ;   in Loop: Header=BB10_1723 Depth=3
	s_or_b32 exec_lo, exec_lo, s40
	flat_load_u16 v1, v[12:13] offset:576 th:TH_LOAD_NT
	s_mov_b32 s40, exec_lo
                                        ; implicit-def: $vgpr64
	s_wait_loadcnt_dscnt 0x0
	v_lshlrev_b32_e32 v1, 16, v1
	s_delay_alu instid0(VALU_DEP_1) | instskip(NEXT) | instid1(VALU_DEP_1)
	v_mul_f32_e32 v1, v22, v1
	v_and_b32_e32 v31, 0x7f800000, v1
	s_wait_xcnt 0x0
	s_delay_alu instid0(VALU_DEP_1)
	v_cmpx_ne_u32_e32 0x7f800000, v31
	s_xor_b32 s40, exec_lo, s40
; %bb.1760:                             ;   in Loop: Header=BB10_1723 Depth=3
	v_bfe_u32 v31, v1, 16, 1
	s_delay_alu instid0(VALU_DEP_1)
	v_add3_u32 v64, v1, v31, 0x7fff
                                        ; implicit-def: $vgpr1
; %bb.1761:                             ;   in Loop: Header=BB10_1723 Depth=3
	s_and_not1_saveexec_b32 s40, s40
; %bb.1762:                             ;   in Loop: Header=BB10_1723 Depth=3
	v_and_b32_e32 v31, 0xffff, v1
	v_or_b32_e32 v54, 0x10000, v1
	s_delay_alu instid0(VALU_DEP_2) | instskip(NEXT) | instid1(VALU_DEP_2)
	v_cmp_eq_u32_e32 vcc_lo, 0, v31
	v_cndmask_b32_e32 v64, v54, v1, vcc_lo
; %bb.1763:                             ;   in Loop: Header=BB10_1723 Depth=3
	s_or_b32 exec_lo, exec_lo, s40
	flat_load_u16 v1, v[12:13] offset:640 th:TH_LOAD_NT
	s_mov_b32 s40, exec_lo
                                        ; implicit-def: $vgpr65
	s_wait_loadcnt_dscnt 0x0
	v_lshlrev_b32_e32 v1, 16, v1
	s_delay_alu instid0(VALU_DEP_1) | instskip(NEXT) | instid1(VALU_DEP_1)
	v_mul_f32_e32 v1, v22, v1
	v_and_b32_e32 v31, 0x7f800000, v1
	s_wait_xcnt 0x0
	s_delay_alu instid0(VALU_DEP_1)
	v_cmpx_ne_u32_e32 0x7f800000, v31
	s_xor_b32 s40, exec_lo, s40
; %bb.1764:                             ;   in Loop: Header=BB10_1723 Depth=3
	v_bfe_u32 v31, v1, 16, 1
	s_delay_alu instid0(VALU_DEP_1)
	v_add3_u32 v65, v1, v31, 0x7fff
                                        ; implicit-def: $vgpr1
; %bb.1765:                             ;   in Loop: Header=BB10_1723 Depth=3
	s_and_not1_saveexec_b32 s40, s40
; %bb.1766:                             ;   in Loop: Header=BB10_1723 Depth=3
	v_and_b32_e32 v31, 0xffff, v1
	v_or_b32_e32 v54, 0x10000, v1
	s_delay_alu instid0(VALU_DEP_2) | instskip(NEXT) | instid1(VALU_DEP_2)
	v_cmp_eq_u32_e32 vcc_lo, 0, v31
	v_cndmask_b32_e32 v65, v54, v1, vcc_lo
; %bb.1767:                             ;   in Loop: Header=BB10_1723 Depth=3
	s_or_b32 exec_lo, exec_lo, s40
	flat_load_u16 v1, v[12:13] offset:704 th:TH_LOAD_NT
	s_mov_b32 s40, exec_lo
                                        ; implicit-def: $vgpr66
	s_wait_loadcnt_dscnt 0x0
	v_lshlrev_b32_e32 v1, 16, v1
	s_delay_alu instid0(VALU_DEP_1) | instskip(NEXT) | instid1(VALU_DEP_1)
	v_mul_f32_e32 v1, v22, v1
	v_and_b32_e32 v31, 0x7f800000, v1
	s_wait_xcnt 0x0
	s_delay_alu instid0(VALU_DEP_1)
	v_cmpx_ne_u32_e32 0x7f800000, v31
	s_xor_b32 s40, exec_lo, s40
; %bb.1768:                             ;   in Loop: Header=BB10_1723 Depth=3
	v_bfe_u32 v31, v1, 16, 1
	s_delay_alu instid0(VALU_DEP_1)
	v_add3_u32 v66, v1, v31, 0x7fff
                                        ; implicit-def: $vgpr1
; %bb.1769:                             ;   in Loop: Header=BB10_1723 Depth=3
	s_and_not1_saveexec_b32 s40, s40
; %bb.1770:                             ;   in Loop: Header=BB10_1723 Depth=3
	v_and_b32_e32 v31, 0xffff, v1
	v_or_b32_e32 v54, 0x10000, v1
	s_delay_alu instid0(VALU_DEP_2) | instskip(NEXT) | instid1(VALU_DEP_2)
	v_cmp_eq_u32_e32 vcc_lo, 0, v31
	v_cndmask_b32_e32 v66, v54, v1, vcc_lo
; %bb.1771:                             ;   in Loop: Header=BB10_1723 Depth=3
	s_or_b32 exec_lo, exec_lo, s40
	flat_load_u16 v1, v[12:13] offset:768 th:TH_LOAD_NT
	s_mov_b32 s40, exec_lo
                                        ; implicit-def: $vgpr67
	s_wait_loadcnt_dscnt 0x0
	v_lshlrev_b32_e32 v1, 16, v1
	s_delay_alu instid0(VALU_DEP_1) | instskip(NEXT) | instid1(VALU_DEP_1)
	v_mul_f32_e32 v1, v22, v1
	v_and_b32_e32 v31, 0x7f800000, v1
	s_wait_xcnt 0x0
	s_delay_alu instid0(VALU_DEP_1)
	v_cmpx_ne_u32_e32 0x7f800000, v31
	s_xor_b32 s40, exec_lo, s40
; %bb.1772:                             ;   in Loop: Header=BB10_1723 Depth=3
	v_bfe_u32 v31, v1, 16, 1
	s_delay_alu instid0(VALU_DEP_1)
	v_add3_u32 v67, v1, v31, 0x7fff
                                        ; implicit-def: $vgpr1
; %bb.1773:                             ;   in Loop: Header=BB10_1723 Depth=3
	s_and_not1_saveexec_b32 s40, s40
; %bb.1774:                             ;   in Loop: Header=BB10_1723 Depth=3
	v_and_b32_e32 v31, 0xffff, v1
	v_or_b32_e32 v54, 0x10000, v1
	s_delay_alu instid0(VALU_DEP_2) | instskip(NEXT) | instid1(VALU_DEP_2)
	v_cmp_eq_u32_e32 vcc_lo, 0, v31
	v_cndmask_b32_e32 v67, v54, v1, vcc_lo
; %bb.1775:                             ;   in Loop: Header=BB10_1723 Depth=3
	s_or_b32 exec_lo, exec_lo, s40
	flat_load_u16 v1, v[12:13] offset:832 th:TH_LOAD_NT
	s_mov_b32 s40, exec_lo
                                        ; implicit-def: $vgpr118
	s_wait_loadcnt_dscnt 0x0
	v_lshlrev_b32_e32 v1, 16, v1
	s_delay_alu instid0(VALU_DEP_1) | instskip(NEXT) | instid1(VALU_DEP_1)
	v_mul_f32_e32 v1, v22, v1
	v_and_b32_e32 v31, 0x7f800000, v1
	s_wait_xcnt 0x0
	s_delay_alu instid0(VALU_DEP_1)
	v_cmpx_ne_u32_e32 0x7f800000, v31
	s_xor_b32 s40, exec_lo, s40
; %bb.1776:                             ;   in Loop: Header=BB10_1723 Depth=3
	v_bfe_u32 v31, v1, 16, 1
	s_delay_alu instid0(VALU_DEP_1)
	v_add3_u32 v118, v1, v31, 0x7fff
                                        ; implicit-def: $vgpr1
; %bb.1777:                             ;   in Loop: Header=BB10_1723 Depth=3
	s_and_not1_saveexec_b32 s40, s40
; %bb.1778:                             ;   in Loop: Header=BB10_1723 Depth=3
	v_and_b32_e32 v31, 0xffff, v1
	v_or_b32_e32 v54, 0x10000, v1
	s_delay_alu instid0(VALU_DEP_2) | instskip(NEXT) | instid1(VALU_DEP_2)
	v_cmp_eq_u32_e32 vcc_lo, 0, v31
	v_cndmask_b32_e32 v118, v54, v1, vcc_lo
; %bb.1779:                             ;   in Loop: Header=BB10_1723 Depth=3
	s_or_b32 exec_lo, exec_lo, s40
	flat_load_u16 v1, v[12:13] offset:896 th:TH_LOAD_NT
	s_mov_b32 s40, exec_lo
                                        ; implicit-def: $vgpr119
	s_wait_loadcnt_dscnt 0x0
	v_lshlrev_b32_e32 v1, 16, v1
	s_delay_alu instid0(VALU_DEP_1) | instskip(NEXT) | instid1(VALU_DEP_1)
	v_mul_f32_e32 v1, v22, v1
	v_and_b32_e32 v31, 0x7f800000, v1
	s_wait_xcnt 0x0
	s_delay_alu instid0(VALU_DEP_1)
	v_cmpx_ne_u32_e32 0x7f800000, v31
	s_xor_b32 s40, exec_lo, s40
; %bb.1780:                             ;   in Loop: Header=BB10_1723 Depth=3
	v_bfe_u32 v31, v1, 16, 1
	s_delay_alu instid0(VALU_DEP_1)
	v_add3_u32 v119, v1, v31, 0x7fff
                                        ; implicit-def: $vgpr1
; %bb.1781:                             ;   in Loop: Header=BB10_1723 Depth=3
	s_and_not1_saveexec_b32 s40, s40
; %bb.1782:                             ;   in Loop: Header=BB10_1723 Depth=3
	v_and_b32_e32 v31, 0xffff, v1
	v_or_b32_e32 v54, 0x10000, v1
	s_delay_alu instid0(VALU_DEP_2) | instskip(NEXT) | instid1(VALU_DEP_2)
	v_cmp_eq_u32_e32 vcc_lo, 0, v31
	v_cndmask_b32_e32 v119, v54, v1, vcc_lo
; %bb.1783:                             ;   in Loop: Header=BB10_1723 Depth=3
	s_or_b32 exec_lo, exec_lo, s40
	flat_load_u16 v1, v[12:13] offset:960 th:TH_LOAD_NT
	s_mov_b32 s40, exec_lo
                                        ; implicit-def: $vgpr45
	s_wait_loadcnt_dscnt 0x0
	v_lshlrev_b32_e32 v1, 16, v1
	s_delay_alu instid0(VALU_DEP_1) | instskip(NEXT) | instid1(VALU_DEP_1)
	v_mul_f32_e32 v1, v22, v1
	v_and_b32_e32 v31, 0x7f800000, v1
	s_wait_xcnt 0x0
	s_delay_alu instid0(VALU_DEP_1)
	v_cmpx_ne_u32_e32 0x7f800000, v31
	s_xor_b32 s40, exec_lo, s40
; %bb.1784:                             ;   in Loop: Header=BB10_1723 Depth=3
	v_bfe_u32 v31, v1, 16, 1
	s_delay_alu instid0(VALU_DEP_1)
	v_add3_u32 v45, v1, v31, 0x7fff
                                        ; implicit-def: $vgpr1
; %bb.1785:                             ;   in Loop: Header=BB10_1723 Depth=3
	s_and_not1_saveexec_b32 s40, s40
; %bb.1786:                             ;   in Loop: Header=BB10_1723 Depth=3
	v_and_b32_e32 v31, 0xffff, v1
	v_or_b32_e32 v54, 0x10000, v1
	s_delay_alu instid0(VALU_DEP_2) | instskip(NEXT) | instid1(VALU_DEP_2)
	v_cmp_eq_u32_e32 vcc_lo, 0, v31
	v_cndmask_b32_e32 v45, v54, v1, vcc_lo
; %bb.1787:                             ;   in Loop: Header=BB10_1723 Depth=3
	s_or_b32 exec_lo, exec_lo, s40
	s_clause 0xf
	flat_load_u16 v112, v[14:15] th:TH_LOAD_NT
	flat_load_u16 v1, v[14:15] offset:128 th:TH_LOAD_NT
	flat_load_u16 v84, v[14:15] offset:192 th:TH_LOAD_NT
	;; [unrolled: 1-line block ×15, first 2 shown]
	v_and_b32_e32 v4, 0xffff0000, v4
	s_wait_loadcnt_dscnt 0xf0f
	v_lshlrev_b32_e32 v112, 16, v112
	s_delay_alu instid0(VALU_DEP_1) | instskip(NEXT) | instid1(VALU_DEP_1)
	v_add_f32_e32 v75, v4, v112
	v_and_b32_e32 v4, 0x7f800000, v75
	s_delay_alu instid0(VALU_DEP_1) | instskip(SKIP_2) | instid1(SALU_CYCLE_1)
	v_cmp_ne_u32_e32 vcc_lo, 0x7f800000, v4
                                        ; implicit-def: $vgpr4
	s_wait_xcnt 0x0
	s_and_saveexec_b32 s40, vcc_lo
	s_xor_b32 s40, exec_lo, s40
; %bb.1788:                             ;   in Loop: Header=BB10_1723 Depth=3
	v_bfe_u32 v4, v75, 16, 1
	s_delay_alu instid0(VALU_DEP_1)
	v_add3_u32 v4, v75, v4, 0x7fff
                                        ; implicit-def: $vgpr75
; %bb.1789:                             ;   in Loop: Header=BB10_1723 Depth=3
	s_and_not1_saveexec_b32 s40, s40
; %bb.1790:                             ;   in Loop: Header=BB10_1723 Depth=3
	v_and_b32_e32 v4, 0xffff, v75
	v_or_b32_e32 v112, 0x10000, v75
	s_delay_alu instid0(VALU_DEP_2) | instskip(NEXT) | instid1(VALU_DEP_2)
	v_cmp_eq_u32_e32 vcc_lo, 0, v4
	v_cndmask_b32_e32 v4, v112, v75, vcc_lo
; %bb.1791:                             ;   in Loop: Header=BB10_1723 Depth=3
	s_or_b32 exec_lo, exec_lo, s40
	v_and_b32_e32 v5, 0xffff0000, v5
	s_wait_loadcnt_dscnt 0x808
	v_lshlrev_b32_e32 v85, 16, v85
	s_delay_alu instid0(VALU_DEP_1) | instskip(NEXT) | instid1(VALU_DEP_1)
	v_add_f32_e32 v85, v5, v85
	v_and_b32_e32 v5, 0x7f800000, v85
	s_delay_alu instid0(VALU_DEP_1) | instskip(SKIP_1) | instid1(SALU_CYCLE_1)
	v_cmp_ne_u32_e32 vcc_lo, 0x7f800000, v5
                                        ; implicit-def: $vgpr5
	s_and_saveexec_b32 s40, vcc_lo
	s_xor_b32 s40, exec_lo, s40
; %bb.1792:                             ;   in Loop: Header=BB10_1723 Depth=3
	v_bfe_u32 v5, v85, 16, 1
	s_delay_alu instid0(VALU_DEP_1)
	v_add3_u32 v5, v85, v5, 0x7fff
                                        ; implicit-def: $vgpr85
; %bb.1793:                             ;   in Loop: Header=BB10_1723 Depth=3
	s_and_not1_saveexec_b32 s40, s40
; %bb.1794:                             ;   in Loop: Header=BB10_1723 Depth=3
	v_and_b32_e32 v5, 0xffff, v85
	v_or_b32_e32 v112, 0x10000, v85
	s_delay_alu instid0(VALU_DEP_2) | instskip(NEXT) | instid1(VALU_DEP_2)
	v_cmp_eq_u32_e32 vcc_lo, 0, v5
	v_cndmask_b32_e32 v5, v112, v85, vcc_lo
; %bb.1795:                             ;   in Loop: Header=BB10_1723 Depth=3
	s_or_b32 exec_lo, exec_lo, s40
	v_and_b32_e32 v23, 0xffff0000, v23
	v_lshlrev_b32_e32 v1, 16, v1
	s_delay_alu instid0(VALU_DEP_1) | instskip(NEXT) | instid1(VALU_DEP_1)
	v_add_f32_e32 v23, v23, v1
	v_and_b32_e32 v1, 0x7f800000, v23
	s_delay_alu instid0(VALU_DEP_1) | instskip(SKIP_1) | instid1(SALU_CYCLE_1)
	v_cmp_ne_u32_e32 vcc_lo, 0x7f800000, v1
                                        ; implicit-def: $vgpr1
	s_and_saveexec_b32 s40, vcc_lo
	s_xor_b32 s40, exec_lo, s40
; %bb.1796:                             ;   in Loop: Header=BB10_1723 Depth=3
	v_bfe_u32 v1, v23, 16, 1
	s_delay_alu instid0(VALU_DEP_1)
	v_add3_u32 v1, v23, v1, 0x7fff
                                        ; implicit-def: $vgpr23
; %bb.1797:                             ;   in Loop: Header=BB10_1723 Depth=3
	s_and_not1_saveexec_b32 s40, s40
; %bb.1798:                             ;   in Loop: Header=BB10_1723 Depth=3
	v_and_b32_e32 v1, 0xffff, v23
	v_or_b32_e32 v85, 0x10000, v23
	s_delay_alu instid0(VALU_DEP_2) | instskip(NEXT) | instid1(VALU_DEP_2)
	v_cmp_eq_u32_e32 vcc_lo, 0, v1
	v_cndmask_b32_e32 v1, v85, v23, vcc_lo
; %bb.1799:                             ;   in Loop: Header=BB10_1723 Depth=3
	s_or_b32 exec_lo, exec_lo, s40
	v_and_b32_e32 v23, 0xffff0000, v24
	v_lshlrev_b32_e32 v24, 16, v84
	s_delay_alu instid0(VALU_DEP_1) | instskip(NEXT) | instid1(VALU_DEP_1)
	v_add_f32_e32 v24, v23, v24
	v_and_b32_e32 v23, 0x7f800000, v24
	s_delay_alu instid0(VALU_DEP_1) | instskip(SKIP_1) | instid1(SALU_CYCLE_1)
	v_cmp_ne_u32_e32 vcc_lo, 0x7f800000, v23
                                        ; implicit-def: $vgpr23
	s_and_saveexec_b32 s40, vcc_lo
	s_xor_b32 s40, exec_lo, s40
; %bb.1800:                             ;   in Loop: Header=BB10_1723 Depth=3
	v_bfe_u32 v23, v24, 16, 1
	s_delay_alu instid0(VALU_DEP_1)
	v_add3_u32 v23, v24, v23, 0x7fff
                                        ; implicit-def: $vgpr24
; %bb.1801:                             ;   in Loop: Header=BB10_1723 Depth=3
	s_and_not1_saveexec_b32 s40, s40
; %bb.1802:                             ;   in Loop: Header=BB10_1723 Depth=3
	v_and_b32_e32 v23, 0xffff, v24
	v_or_b32_e32 v84, 0x10000, v24
	s_delay_alu instid0(VALU_DEP_2) | instskip(NEXT) | instid1(VALU_DEP_2)
	v_cmp_eq_u32_e32 vcc_lo, 0, v23
	v_cndmask_b32_e32 v23, v84, v24, vcc_lo
; %bb.1803:                             ;   in Loop: Header=BB10_1723 Depth=3
	s_or_b32 exec_lo, exec_lo, s40
	v_and_b32_e32 v24, 0xffff0000, v25
	v_lshlrev_b32_e32 v25, 16, v74
	s_delay_alu instid0(VALU_DEP_1) | instskip(NEXT) | instid1(VALU_DEP_1)
	v_add_f32_e32 v25, v24, v25
	v_and_b32_e32 v24, 0x7f800000, v25
	s_delay_alu instid0(VALU_DEP_1) | instskip(SKIP_1) | instid1(SALU_CYCLE_1)
	v_cmp_ne_u32_e32 vcc_lo, 0x7f800000, v24
                                        ; implicit-def: $vgpr24
	s_and_saveexec_b32 s40, vcc_lo
	s_xor_b32 s40, exec_lo, s40
; %bb.1804:                             ;   in Loop: Header=BB10_1723 Depth=3
	v_bfe_u32 v24, v25, 16, 1
	s_delay_alu instid0(VALU_DEP_1)
	v_add3_u32 v24, v25, v24, 0x7fff
                                        ; implicit-def: $vgpr25
; %bb.1805:                             ;   in Loop: Header=BB10_1723 Depth=3
	s_and_not1_saveexec_b32 s40, s40
; %bb.1806:                             ;   in Loop: Header=BB10_1723 Depth=3
	v_and_b32_e32 v24, 0xffff, v25
	v_or_b32_e32 v84, 0x10000, v25
	s_delay_alu instid0(VALU_DEP_2) | instskip(NEXT) | instid1(VALU_DEP_2)
	v_cmp_eq_u32_e32 vcc_lo, 0, v24
	v_cndmask_b32_e32 v24, v84, v25, vcc_lo
; %bb.1807:                             ;   in Loop: Header=BB10_1723 Depth=3
	s_or_b32 exec_lo, exec_lo, s40
	v_and_b32_e32 v25, 0xffff0000, v26
	v_lshlrev_b32_e32 v26, 16, v41
	s_delay_alu instid0(VALU_DEP_1) | instskip(NEXT) | instid1(VALU_DEP_1)
	v_add_f32_e32 v26, v25, v26
	v_and_b32_e32 v25, 0x7f800000, v26
	s_delay_alu instid0(VALU_DEP_1) | instskip(SKIP_1) | instid1(SALU_CYCLE_1)
	v_cmp_ne_u32_e32 vcc_lo, 0x7f800000, v25
                                        ; implicit-def: $vgpr25
	s_and_saveexec_b32 s40, vcc_lo
	s_xor_b32 s40, exec_lo, s40
; %bb.1808:                             ;   in Loop: Header=BB10_1723 Depth=3
	v_bfe_u32 v25, v26, 16, 1
	s_delay_alu instid0(VALU_DEP_1)
	v_add3_u32 v25, v26, v25, 0x7fff
                                        ; implicit-def: $vgpr26
; %bb.1809:                             ;   in Loop: Header=BB10_1723 Depth=3
	s_and_not1_saveexec_b32 s40, s40
; %bb.1810:                             ;   in Loop: Header=BB10_1723 Depth=3
	v_and_b32_e32 v25, 0xffff, v26
	v_or_b32_e32 v84, 0x10000, v26
	s_delay_alu instid0(VALU_DEP_2) | instskip(NEXT) | instid1(VALU_DEP_2)
	v_cmp_eq_u32_e32 vcc_lo, 0, v25
	v_cndmask_b32_e32 v25, v84, v26, vcc_lo
; %bb.1811:                             ;   in Loop: Header=BB10_1723 Depth=3
	s_or_b32 exec_lo, exec_lo, s40
	v_and_b32_e32 v26, 0xffff0000, v27
	v_lshlrev_b32_e32 v27, 16, v40
	s_delay_alu instid0(VALU_DEP_1) | instskip(NEXT) | instid1(VALU_DEP_1)
	v_add_f32_e32 v27, v26, v27
	v_and_b32_e32 v26, 0x7f800000, v27
	s_delay_alu instid0(VALU_DEP_1) | instskip(SKIP_1) | instid1(SALU_CYCLE_1)
	v_cmp_ne_u32_e32 vcc_lo, 0x7f800000, v26
                                        ; implicit-def: $vgpr26
	s_and_saveexec_b32 s40, vcc_lo
	s_xor_b32 s40, exec_lo, s40
; %bb.1812:                             ;   in Loop: Header=BB10_1723 Depth=3
	v_bfe_u32 v26, v27, 16, 1
	s_delay_alu instid0(VALU_DEP_1)
	v_add3_u32 v26, v27, v26, 0x7fff
                                        ; implicit-def: $vgpr27
; %bb.1813:                             ;   in Loop: Header=BB10_1723 Depth=3
	s_and_not1_saveexec_b32 s40, s40
; %bb.1814:                             ;   in Loop: Header=BB10_1723 Depth=3
	v_and_b32_e32 v26, 0xffff, v27
	v_or_b32_e32 v84, 0x10000, v27
	s_delay_alu instid0(VALU_DEP_2) | instskip(NEXT) | instid1(VALU_DEP_2)
	v_cmp_eq_u32_e32 vcc_lo, 0, v26
	v_cndmask_b32_e32 v26, v84, v27, vcc_lo
; %bb.1815:                             ;   in Loop: Header=BB10_1723 Depth=3
	s_or_b32 exec_lo, exec_lo, s40
	v_and_b32_e32 v27, 0xffff0000, v28
	v_lshlrev_b32_e32 v28, 16, v115
	s_delay_alu instid0(VALU_DEP_1) | instskip(NEXT) | instid1(VALU_DEP_1)
	v_add_f32_e32 v28, v27, v28
	v_and_b32_e32 v27, 0x7f800000, v28
	s_delay_alu instid0(VALU_DEP_1) | instskip(SKIP_1) | instid1(SALU_CYCLE_1)
	v_cmp_ne_u32_e32 vcc_lo, 0x7f800000, v27
                                        ; implicit-def: $vgpr27
	s_and_saveexec_b32 s40, vcc_lo
	s_xor_b32 s40, exec_lo, s40
; %bb.1816:                             ;   in Loop: Header=BB10_1723 Depth=3
	v_bfe_u32 v27, v28, 16, 1
	s_delay_alu instid0(VALU_DEP_1)
	v_add3_u32 v27, v28, v27, 0x7fff
                                        ; implicit-def: $vgpr28
; %bb.1817:                             ;   in Loop: Header=BB10_1723 Depth=3
	s_and_not1_saveexec_b32 s40, s40
; %bb.1818:                             ;   in Loop: Header=BB10_1723 Depth=3
	v_and_b32_e32 v27, 0xffff, v28
	v_or_b32_e32 v84, 0x10000, v28
	s_delay_alu instid0(VALU_DEP_2) | instskip(NEXT) | instid1(VALU_DEP_2)
	v_cmp_eq_u32_e32 vcc_lo, 0, v27
	v_cndmask_b32_e32 v27, v84, v28, vcc_lo
; %bb.1819:                             ;   in Loop: Header=BB10_1723 Depth=3
	s_or_b32 exec_lo, exec_lo, s40
	v_and_b32_e32 v28, 0xffff0000, v29
	s_wait_loadcnt_dscnt 0x707
	v_lshlrev_b32_e32 v29, 16, v114
	s_delay_alu instid0(VALU_DEP_1) | instskip(NEXT) | instid1(VALU_DEP_1)
	v_add_f32_e32 v29, v28, v29
	v_and_b32_e32 v28, 0x7f800000, v29
	s_delay_alu instid0(VALU_DEP_1) | instskip(SKIP_1) | instid1(SALU_CYCLE_1)
	v_cmp_ne_u32_e32 vcc_lo, 0x7f800000, v28
                                        ; implicit-def: $vgpr28
	s_and_saveexec_b32 s40, vcc_lo
	s_xor_b32 s40, exec_lo, s40
; %bb.1820:                             ;   in Loop: Header=BB10_1723 Depth=3
	v_bfe_u32 v28, v29, 16, 1
	s_delay_alu instid0(VALU_DEP_1)
	v_add3_u32 v28, v29, v28, 0x7fff
                                        ; implicit-def: $vgpr29
; %bb.1821:                             ;   in Loop: Header=BB10_1723 Depth=3
	s_and_not1_saveexec_b32 s40, s40
; %bb.1822:                             ;   in Loop: Header=BB10_1723 Depth=3
	v_and_b32_e32 v28, 0xffff, v29
	v_or_b32_e32 v84, 0x10000, v29
	s_delay_alu instid0(VALU_DEP_2) | instskip(NEXT) | instid1(VALU_DEP_2)
	v_cmp_eq_u32_e32 vcc_lo, 0, v28
	v_cndmask_b32_e32 v28, v84, v29, vcc_lo
; %bb.1823:                             ;   in Loop: Header=BB10_1723 Depth=3
	s_or_b32 exec_lo, exec_lo, s40
	v_and_b32_e32 v29, 0xffff0000, v64
	s_wait_loadcnt_dscnt 0x606
	v_lshlrev_b32_e32 v55, 16, v55
	s_delay_alu instid0(VALU_DEP_1) | instskip(NEXT) | instid1(VALU_DEP_1)
	v_add_f32_e32 v55, v29, v55
	v_and_b32_e32 v29, 0x7f800000, v55
	s_delay_alu instid0(VALU_DEP_1) | instskip(SKIP_1) | instid1(SALU_CYCLE_1)
	v_cmp_ne_u32_e32 vcc_lo, 0x7f800000, v29
                                        ; implicit-def: $vgpr29
	s_and_saveexec_b32 s40, vcc_lo
	s_xor_b32 s40, exec_lo, s40
; %bb.1824:                             ;   in Loop: Header=BB10_1723 Depth=3
	v_bfe_u32 v29, v55, 16, 1
	s_delay_alu instid0(VALU_DEP_1)
	v_add3_u32 v29, v55, v29, 0x7fff
                                        ; implicit-def: $vgpr55
; %bb.1825:                             ;   in Loop: Header=BB10_1723 Depth=3
	s_and_not1_saveexec_b32 s40, s40
; %bb.1826:                             ;   in Loop: Header=BB10_1723 Depth=3
	v_and_b32_e32 v29, 0xffff, v55
	v_or_b32_e32 v64, 0x10000, v55
	s_delay_alu instid0(VALU_DEP_2) | instskip(NEXT) | instid1(VALU_DEP_2)
	v_cmp_eq_u32_e32 vcc_lo, 0, v29
	v_cndmask_b32_e32 v29, v64, v55, vcc_lo
; %bb.1827:                             ;   in Loop: Header=BB10_1723 Depth=3
	s_or_b32 exec_lo, exec_lo, s40
	v_and_b32_e32 v55, 0xffff0000, v65
	s_wait_loadcnt_dscnt 0x505
	v_lshlrev_b32_e32 v54, 16, v54
	s_delay_alu instid0(VALU_DEP_1) | instskip(NEXT) | instid1(VALU_DEP_1)
	v_add_f32_e32 v55, v55, v54
	v_and_b32_e32 v54, 0x7f800000, v55
	s_delay_alu instid0(VALU_DEP_1) | instskip(SKIP_1) | instid1(SALU_CYCLE_1)
	v_cmp_ne_u32_e32 vcc_lo, 0x7f800000, v54
                                        ; implicit-def: $vgpr54
	s_and_saveexec_b32 s40, vcc_lo
	s_xor_b32 s40, exec_lo, s40
; %bb.1828:                             ;   in Loop: Header=BB10_1723 Depth=3
	v_bfe_u32 v54, v55, 16, 1
	s_delay_alu instid0(VALU_DEP_1)
	v_add3_u32 v54, v55, v54, 0x7fff
                                        ; implicit-def: $vgpr55
; %bb.1829:                             ;   in Loop: Header=BB10_1723 Depth=3
	s_and_not1_saveexec_b32 s40, s40
; %bb.1830:                             ;   in Loop: Header=BB10_1723 Depth=3
	v_and_b32_e32 v54, 0xffff, v55
	v_or_b32_e32 v64, 0x10000, v55
	s_delay_alu instid0(VALU_DEP_2) | instskip(NEXT) | instid1(VALU_DEP_2)
	v_cmp_eq_u32_e32 vcc_lo, 0, v54
	v_cndmask_b32_e32 v54, v64, v55, vcc_lo
; %bb.1831:                             ;   in Loop: Header=BB10_1723 Depth=3
	s_or_b32 exec_lo, exec_lo, s40
	v_and_b32_e32 v55, 0xffff0000, v66
	s_wait_loadcnt_dscnt 0x404
	v_lshlrev_b32_e32 v64, 16, v73
	s_delay_alu instid0(VALU_DEP_1) | instskip(NEXT) | instid1(VALU_DEP_1)
	v_add_f32_e32 v64, v55, v64
	v_and_b32_e32 v55, 0x7f800000, v64
	s_delay_alu instid0(VALU_DEP_1) | instskip(SKIP_1) | instid1(SALU_CYCLE_1)
	v_cmp_ne_u32_e32 vcc_lo, 0x7f800000, v55
                                        ; implicit-def: $vgpr55
	s_and_saveexec_b32 s40, vcc_lo
	s_xor_b32 s40, exec_lo, s40
; %bb.1832:                             ;   in Loop: Header=BB10_1723 Depth=3
	v_bfe_u32 v55, v64, 16, 1
	s_delay_alu instid0(VALU_DEP_1)
	v_add3_u32 v55, v64, v55, 0x7fff
                                        ; implicit-def: $vgpr64
; %bb.1833:                             ;   in Loop: Header=BB10_1723 Depth=3
	s_and_not1_saveexec_b32 s40, s40
; %bb.1834:                             ;   in Loop: Header=BB10_1723 Depth=3
	v_and_b32_e32 v55, 0xffff, v64
	v_or_b32_e32 v65, 0x10000, v64
	s_delay_alu instid0(VALU_DEP_2) | instskip(NEXT) | instid1(VALU_DEP_2)
	v_cmp_eq_u32_e32 vcc_lo, 0, v55
	v_cndmask_b32_e32 v55, v65, v64, vcc_lo
; %bb.1835:                             ;   in Loop: Header=BB10_1723 Depth=3
	s_or_b32 exec_lo, exec_lo, s40
	v_and_b32_e32 v64, 0xffff0000, v67
	s_wait_loadcnt_dscnt 0x303
	v_lshlrev_b32_e32 v65, 16, v72
	s_delay_alu instid0(VALU_DEP_1) | instskip(NEXT) | instid1(VALU_DEP_1)
	v_add_f32_e32 v65, v64, v65
	v_and_b32_e32 v64, 0x7f800000, v65
	s_delay_alu instid0(VALU_DEP_1) | instskip(SKIP_1) | instid1(SALU_CYCLE_1)
	v_cmp_ne_u32_e32 vcc_lo, 0x7f800000, v64
                                        ; implicit-def: $vgpr64
	s_and_saveexec_b32 s40, vcc_lo
	s_xor_b32 s40, exec_lo, s40
; %bb.1836:                             ;   in Loop: Header=BB10_1723 Depth=3
	v_bfe_u32 v64, v65, 16, 1
	s_delay_alu instid0(VALU_DEP_1)
	v_add3_u32 v64, v65, v64, 0x7fff
                                        ; implicit-def: $vgpr65
; %bb.1837:                             ;   in Loop: Header=BB10_1723 Depth=3
	s_and_not1_saveexec_b32 s40, s40
; %bb.1838:                             ;   in Loop: Header=BB10_1723 Depth=3
	v_and_b32_e32 v64, 0xffff, v65
	v_or_b32_e32 v66, 0x10000, v65
	s_delay_alu instid0(VALU_DEP_2) | instskip(NEXT) | instid1(VALU_DEP_2)
	v_cmp_eq_u32_e32 vcc_lo, 0, v64
	v_cndmask_b32_e32 v64, v66, v65, vcc_lo
; %bb.1839:                             ;   in Loop: Header=BB10_1723 Depth=3
	s_or_b32 exec_lo, exec_lo, s40
	v_and_b32_e32 v65, 0xffff0000, v118
	s_wait_loadcnt_dscnt 0x202
	v_lshlrev_b32_e32 v66, 16, v63
	s_delay_alu instid0(VALU_DEP_1) | instskip(NEXT) | instid1(VALU_DEP_1)
	v_add_f32_e32 v66, v65, v66
	v_and_b32_e32 v65, 0x7f800000, v66
	s_delay_alu instid0(VALU_DEP_1) | instskip(SKIP_1) | instid1(SALU_CYCLE_1)
	v_cmp_ne_u32_e32 vcc_lo, 0x7f800000, v65
                                        ; implicit-def: $vgpr65
	s_and_saveexec_b32 s40, vcc_lo
	s_xor_b32 s40, exec_lo, s40
; %bb.1840:                             ;   in Loop: Header=BB10_1723 Depth=3
	v_bfe_u32 v65, v66, 16, 1
	s_delay_alu instid0(VALU_DEP_1)
	v_add3_u32 v65, v66, v65, 0x7fff
                                        ; implicit-def: $vgpr66
; %bb.1841:                             ;   in Loop: Header=BB10_1723 Depth=3
	s_and_not1_saveexec_b32 s40, s40
; %bb.1842:                             ;   in Loop: Header=BB10_1723 Depth=3
	v_and_b32_e32 v65, 0xffff, v66
	v_or_b32_e32 v67, 0x10000, v66
	s_delay_alu instid0(VALU_DEP_2) | instskip(NEXT) | instid1(VALU_DEP_2)
	v_cmp_eq_u32_e32 vcc_lo, 0, v65
	v_cndmask_b32_e32 v65, v67, v66, vcc_lo
; %bb.1843:                             ;   in Loop: Header=BB10_1723 Depth=3
	s_or_b32 exec_lo, exec_lo, s40
	v_and_b32_e32 v66, 0xffff0000, v119
	s_wait_loadcnt_dscnt 0x101
	v_lshlrev_b32_e32 v67, 16, v62
	s_delay_alu instid0(VALU_DEP_1) | instskip(NEXT) | instid1(VALU_DEP_1)
	v_add_f32_e32 v67, v66, v67
	v_and_b32_e32 v66, 0x7f800000, v67
	s_delay_alu instid0(VALU_DEP_1) | instskip(SKIP_1) | instid1(SALU_CYCLE_1)
	v_cmp_ne_u32_e32 vcc_lo, 0x7f800000, v66
                                        ; implicit-def: $vgpr66
	s_and_saveexec_b32 s40, vcc_lo
	s_xor_b32 s40, exec_lo, s40
; %bb.1844:                             ;   in Loop: Header=BB10_1723 Depth=3
	v_bfe_u32 v66, v67, 16, 1
	s_delay_alu instid0(VALU_DEP_1)
	v_add3_u32 v66, v67, v66, 0x7fff
                                        ; implicit-def: $vgpr67
; %bb.1845:                             ;   in Loop: Header=BB10_1723 Depth=3
	s_and_not1_saveexec_b32 s40, s40
; %bb.1846:                             ;   in Loop: Header=BB10_1723 Depth=3
	v_and_b32_e32 v66, 0xffff, v67
	v_or_b32_e32 v84, 0x10000, v67
	s_delay_alu instid0(VALU_DEP_2) | instskip(NEXT) | instid1(VALU_DEP_2)
	v_cmp_eq_u32_e32 vcc_lo, 0, v66
	v_cndmask_b32_e32 v66, v84, v67, vcc_lo
; %bb.1847:                             ;   in Loop: Header=BB10_1723 Depth=3
	s_or_b32 exec_lo, exec_lo, s40
	v_and_b32_e32 v67, 0xffff0000, v45
	s_wait_loadcnt_dscnt 0x0
	v_lshlrev_b32_e32 v31, 16, v31
	s_delay_alu instid0(VALU_DEP_1) | instskip(NEXT) | instid1(VALU_DEP_1)
	v_add_f32_e32 v67, v67, v31
	v_and_b32_e32 v31, 0x7f800000, v67
	s_delay_alu instid0(VALU_DEP_1) | instskip(SKIP_1) | instid1(SALU_CYCLE_1)
	v_cmp_ne_u32_e32 vcc_lo, 0x7f800000, v31
                                        ; implicit-def: $vgpr31
	s_and_saveexec_b32 s40, vcc_lo
	s_xor_b32 s40, exec_lo, s40
; %bb.1848:                             ;   in Loop: Header=BB10_1723 Depth=3
	v_bfe_u32 v31, v67, 16, 1
	s_delay_alu instid0(VALU_DEP_1)
	v_add3_u32 v31, v67, v31, 0x7fff
                                        ; implicit-def: $vgpr67
; %bb.1849:                             ;   in Loop: Header=BB10_1723 Depth=3
	s_and_not1_saveexec_b32 s40, s40
	s_cbranch_execz .LBB10_1722
; %bb.1850:                             ;   in Loop: Header=BB10_1723 Depth=3
	v_and_b32_e32 v31, 0xffff, v67
	v_or_b32_e32 v84, 0x10000, v67
	s_delay_alu instid0(VALU_DEP_2) | instskip(NEXT) | instid1(VALU_DEP_2)
	v_cmp_eq_u32_e32 vcc_lo, 0, v31
	v_cndmask_b32_e32 v31, v84, v67, vcc_lo
	s_branch .LBB10_1722
.LBB10_1851:                            ;   in Loop: Header=BB10_1307 Depth=2
	s_or_b32 exec_lo, exec_lo, s14
.LBB10_1852:                            ;   in Loop: Header=BB10_1307 Depth=2
	s_delay_alu instid0(SALU_CYCLE_1) | instskip(SKIP_1) | instid1(VALU_DEP_1)
	s_or_b32 exec_lo, exec_lo, s13
	v_lshlrev_b32_e32 v1, 10, v21
	v_cmp_ne_u32_e32 vcc_lo, v17, v1
	s_and_b32 exec_lo, exec_lo, vcc_lo
	s_cbranch_execz .LBB10_1866
; %bb.1853:                             ;   in Loop: Header=BB10_1307 Depth=2
	v_dual_lshlrev_b32 v4, 5, v19 :: v_dual_lshlrev_b32 v5, 5, v20
	s_delay_alu instid0(VALU_DEP_1) | instskip(NEXT) | instid1(VALU_DEP_1)
	v_sub_nc_u32_e32 v4, v18, v4
	v_sub_nc_u32_e32 v4, v4, v5
	s_delay_alu instid0(VALU_DEP_1) | instskip(NEXT) | instid1(VALU_DEP_1)
	v_ashrrev_i32_e32 v5, 31, v4
	v_lshrrev_b32_e32 v5, 27, v5
	s_delay_alu instid0(VALU_DEP_1) | instskip(NEXT) | instid1(VALU_DEP_1)
	v_add_nc_u32_e32 v5, v4, v5
	v_and_b32_e32 v8, 0x7fffffe0, v5
	s_delay_alu instid0(VALU_DEP_1) | instskip(NEXT) | instid1(VALU_DEP_1)
	v_dual_lshlrev_b32 v5, 1, v5 :: v_dual_sub_nc_u32 v4, v4, v8
	v_and_b32_e32 v5, 0xffffffc0, v5
	s_delay_alu instid0(VALU_DEP_2) | instskip(NEXT) | instid1(VALU_DEP_1)
	v_lshlrev_b32_e32 v4, 1, v4
	v_add3_u32 v4, v5, v4, v1
	s_delay_alu instid0(VALU_DEP_1) | instskip(NEXT) | instid1(VALU_DEP_1)
	v_sub_nc_u32_e32 v1, v17, v4
	v_cmp_lt_i32_e32 vcc_lo, 1, v1
	s_and_b32 exec_lo, exec_lo, vcc_lo
	s_cbranch_execz .LBB10_1866
; %bb.1854:                             ;   in Loop: Header=BB10_1307 Depth=2
	s_trap 2
	ds_load_b64 v[14:15], v0
	ds_load_b32 v17, v0
	v_add_nc_u32_e32 v4, v4, v16
	s_mov_b32 s62, 0
	s_delay_alu instid0(VALU_DEP_1) | instskip(NEXT) | instid1(VALU_DEP_1)
	v_ashrrev_i32_e32 v5, 31, v4
	v_add_nc_u64_e32 v[8:9], v[4:5], v[58:59]
	v_add_nc_u64_e32 v[10:11], v[4:5], v[60:61]
	;; [unrolled: 1-line block ×3, first 2 shown]
	s_wait_dscnt 0x1
	v_add_nc_u64_e32 v[14:15], v[14:15], v[4:5]
	s_wait_dscnt 0x0
	v_lshlrev_b32_e32 v4, 16, v17
.LBB10_1855:                            ;   Parent Loop BB10_47 Depth=1
                                        ;     Parent Loop BB10_1307 Depth=2
                                        ; =>    This Loop Header: Depth=3
                                        ;         Child Loop BB10_1864 Depth 4
	flat_load_u16 v5, v[12:13] th:TH_LOAD_NT
	s_wait_loadcnt_dscnt 0x0
	v_lshlrev_b32_e32 v5, 16, v5
	s_delay_alu instid0(VALU_DEP_1) | instskip(NEXT) | instid1(VALU_DEP_1)
	v_mul_f32_e32 v5, v4, v5
	v_and_b32_e32 v16, 0x7f800000, v5
	s_delay_alu instid0(VALU_DEP_1) | instskip(SKIP_2) | instid1(SALU_CYCLE_1)
	v_cmp_ne_u32_e32 vcc_lo, 0x7f800000, v16
                                        ; implicit-def: $vgpr16
	s_wait_xcnt 0x0
	s_and_saveexec_b32 s13, vcc_lo
	s_xor_b32 s13, exec_lo, s13
; %bb.1856:                             ;   in Loop: Header=BB10_1855 Depth=3
	v_bfe_u32 v16, v5, 16, 1
	s_delay_alu instid0(VALU_DEP_1)
	v_add3_u32 v16, v5, v16, 0x7fff
                                        ; implicit-def: $vgpr5
; %bb.1857:                             ;   in Loop: Header=BB10_1855 Depth=3
	s_and_not1_saveexec_b32 s13, s13
; %bb.1858:                             ;   in Loop: Header=BB10_1855 Depth=3
	v_and_b32_e32 v16, 0xffff, v5
	v_or_b32_e32 v17, 0x10000, v5
	s_delay_alu instid0(VALU_DEP_2) | instskip(NEXT) | instid1(VALU_DEP_2)
	v_cmp_eq_u32_e32 vcc_lo, 0, v16
	v_cndmask_b32_e32 v16, v17, v5, vcc_lo
; %bb.1859:                             ;   in Loop: Header=BB10_1855 Depth=3
	s_or_b32 exec_lo, exec_lo, s13
	flat_load_u16 v5, v[14:15] th:TH_LOAD_NT
	v_and_b32_e32 v16, 0xffff0000, v16
	s_wait_loadcnt_dscnt 0x0
	v_lshlrev_b32_e32 v5, 16, v5
	s_delay_alu instid0(VALU_DEP_1) | instskip(NEXT) | instid1(VALU_DEP_1)
	v_add_f32_e32 v5, v16, v5
	v_and_b32_e32 v16, 0x7f800000, v5
	s_delay_alu instid0(VALU_DEP_1) | instskip(SKIP_2) | instid1(SALU_CYCLE_1)
	v_cmp_ne_u32_e32 vcc_lo, 0x7f800000, v16
                                        ; implicit-def: $vgpr16
	s_wait_xcnt 0x0
	s_and_saveexec_b32 s13, vcc_lo
	s_xor_b32 s13, exec_lo, s13
; %bb.1860:                             ;   in Loop: Header=BB10_1855 Depth=3
	v_bfe_u32 v16, v5, 16, 1
	s_delay_alu instid0(VALU_DEP_1)
	v_add3_u32 v16, v5, v16, 0x7fff
                                        ; implicit-def: $vgpr5
; %bb.1861:                             ;   in Loop: Header=BB10_1855 Depth=3
	s_and_not1_saveexec_b32 s13, s13
; %bb.1862:                             ;   in Loop: Header=BB10_1855 Depth=3
	v_and_b32_e32 v16, 0xffff, v5
	v_or_b32_e32 v17, 0x10000, v5
	s_delay_alu instid0(VALU_DEP_2) | instskip(NEXT) | instid1(VALU_DEP_2)
	v_cmp_eq_u32_e32 vcc_lo, 0, v16
	v_cndmask_b32_e32 v16, v17, v5, vcc_lo
; %bb.1863:                             ;   in Loop: Header=BB10_1855 Depth=3
	s_or_b32 exec_lo, exec_lo, s13
	s_delay_alu instid0(VALU_DEP_1)
	v_lshrrev_b32_e32 v5, 16, v16
	s_mov_b64 s[40:41], 0
	s_mov_b32 s63, -1
.LBB10_1864:                            ;   Parent Loop BB10_47 Depth=1
                                        ;     Parent Loop BB10_1307 Depth=2
                                        ;       Parent Loop BB10_1855 Depth=3
                                        ; =>      This Inner Loop Header: Depth=4
	s_cmp_eq_u32 s40, 1
	s_cselect_b32 vcc_lo, -1, 0
	s_cmp_eq_u32 s40, 0
	s_wait_xcnt 0x0
	v_dual_cndmask_b32 v17, v9, v11 :: v_dual_cndmask_b32 v16, v8, v10
	s_cselect_b32 s13, -1, 0
	s_and_b32 s14, exec_lo, s63
	s_mov_b64 s[40:41], 1
	s_mov_b32 s63, 0
	v_add_nc_u64_e32 v[18:19], 64, v[16:17]
	flat_store_b16 v[16:17], v5 th:TH_STORE_NT
	v_dual_cndmask_b32 v11, v11, v19 :: v_dual_cndmask_b32 v10, v10, v18
	v_dual_cndmask_b32 v9, v9, v19, s13 :: v_dual_cndmask_b32 v8, v8, v18, s13
	s_mov_b32 vcc_lo, s14
	s_cbranch_vccnz .LBB10_1864
; %bb.1865:                             ;   in Loop: Header=BB10_1855 Depth=3
	v_sub_nc_u32_e32 v1, v1, v82
	v_add_nc_u64_e32 v[12:13], v[12:13], v[102:103]
	v_add_nc_u64_e32 v[14:15], v[14:15], v[102:103]
	;; [unrolled: 1-line block ×4, first 2 shown]
	v_cmp_gt_i32_e32 vcc_lo, 2, v1
	s_or_b32 s62, vcc_lo, s62
	s_wait_xcnt 0x0
	s_and_not1_b32 exec_lo, exec_lo, s62
	s_cbranch_execnz .LBB10_1855
.LBB10_1866:                            ;   in Loop: Header=BB10_1307 Depth=2
	s_or_b32 exec_lo, exec_lo, s15
	s_mov_b32 s13, 0
.LBB10_1867:                            ;   in Loop: Header=BB10_1307 Depth=2
	s_delay_alu instid0(SALU_CYCLE_1)
	s_and_b32 vcc_lo, exec_lo, s13
	s_cbranch_vccz .LBB10_2350
; %bb.1868:                             ;   in Loop: Header=BB10_1307 Depth=2
	s_mov_b32 s13, -1
	s_and_saveexec_b32 s14, s11
	s_cbranch_execz .LBB10_1870
; %bb.1869:                             ;   in Loop: Header=BB10_1307 Depth=2
	ds_load_b32 v1, v0 offset:720
	s_wait_dscnt 0x0
	v_and_b32_e32 v1, 15, v1
	s_delay_alu instid0(VALU_DEP_1)
	v_cmp_eq_u32_e32 vcc_lo, 0, v1
	s_or_not1_b32 s13, vcc_lo, exec_lo
.LBB10_1870:                            ;   in Loop: Header=BB10_1307 Depth=2
	s_or_b32 exec_lo, exec_lo, s14
	s_and_saveexec_b32 s14, s7
	s_cbranch_execz .LBB10_1872
; %bb.1871:                             ;   in Loop: Header=BB10_1307 Depth=2
	ds_load_b32 v1, v0 offset:784
	s_wait_dscnt 0x0
	v_and_b32_e32 v1, 15, v1
	s_delay_alu instid0(VALU_DEP_1) | instskip(SKIP_3) | instid1(SALU_CYCLE_1)
	v_cmp_eq_u32_e32 vcc_lo, 0, v1
	s_and_b32 s15, s13, vcc_lo
	s_and_not1_b32 s13, s13, exec_lo
	s_and_b32 s15, s15, exec_lo
	s_or_b32 s13, s13, s15
.LBB10_1872:                            ;   in Loop: Header=BB10_1307 Depth=2
	s_or_b32 exec_lo, exec_lo, s14
	s_xor_b32 s13, s13, -1
	v_mov_b32_e32 v14, 0
	v_cndmask_b32_e64 v1, 0, 1, s13
	s_mov_b32 s15, -1
	s_delay_alu instid0(VALU_DEP_1)
	v_cmp_ne_u32_e32 vcc_lo, 0, v1
	s_cbranch_vccz .LBB10_1874
; %bb.1873:                             ;   in Loop: Header=BB10_1307 Depth=2
	v_mov_b32_e32 v15, v0
	s_and_saveexec_b32 s13, s15
	s_cbranch_execnz .LBB10_2205
	s_branch .LBB10_2349
.LBB10_1874:                            ;   in Loop: Header=BB10_1307 Depth=2
	v_ashrrev_i32_e32 v1, 31, v43
	s_mov_b32 s13, exec_lo
	s_delay_alu instid0(VALU_DEP_1) | instskip(NEXT) | instid1(VALU_DEP_1)
	v_lshrrev_b32_e32 v1, 21, v1
	v_add_nc_u32_e32 v1, v43, v1
	s_delay_alu instid0(VALU_DEP_1) | instskip(NEXT) | instid1(VALU_DEP_1)
	v_dual_ashrrev_i32 v74, 11, v1 :: v_dual_lshrrev_b32 v1, 5, v0
	v_sub_nc_u32_e32 v45, v74, v1
	s_delay_alu instid0(VALU_DEP_1)
	v_cmpx_lt_i32_e32 0, v45
	s_cbranch_execz .LBB10_2134
; %bb.1875:                             ;   in Loop: Header=BB10_1307 Depth=2
	s_trap 2
	ds_load_b64 v[4:5], v0
	ds_load_b32 v1, v0
	scratch_load_b64 v[8:9], off, s33 offset:212 ; 8-byte Folded Reload
	s_mov_b32 s14, 0
	s_wait_dscnt 0x0
	v_lshlrev_b32_e32 v75, 16, v1
	s_wait_loadcnt 0x0
	v_add_nc_u64_e32 v[60:61], v[56:57], v[8:9]
	v_add_nc_u64_e32 v[62:63], v[4:5], v[8:9]
	;; [unrolled: 1-line block ×3, first 2 shown]
	s_branch .LBB10_1877
.LBB10_1876:                            ;   in Loop: Header=BB10_1877 Depth=3
	s_or_b32 exec_lo, exec_lo, s15
	v_dual_lshrrev_b32 v1, 16, v1 :: v_dual_lshrrev_b32 v26, 16, v26
	v_dual_lshrrev_b32 v24, 16, v24 :: v_dual_lshrrev_b32 v29, 16, v29
	v_lshrrev_b32_e32 v27, 16, v27
	s_delay_alu instid0(VALU_DEP_3)
	v_and_or_b32 v13, 0xffff0000, v13, v1
	v_lshrrev_b32_e32 v1, 16, v23
	v_and_or_b32 v14, 0xffff0000, v14, v26
	v_and_or_b32 v17, 0xffff0000, v17, v24
	;; [unrolled: 1-line block ×3, first 2 shown]
	v_dual_lshrrev_b32 v24, 16, v118 :: v_dual_lshrrev_b32 v26, 16, v76
	v_and_or_b32 v16, 0xffff0000, v16, v1
	v_dual_lshrrev_b32 v1, 16, v25 :: v_dual_lshrrev_b32 v23, 16, v28
	v_lshrrev_b32_e32 v27, 16, v64
	s_delay_alu instid0(VALU_DEP_4) | instskip(SKIP_1) | instid1(VALU_DEP_4)
	v_and_or_b32 v25, 0xffff0000, v21, v24
	v_and_or_b32 v24, 0xffff0000, v20, v26
	;; [unrolled: 1-line block ×3, first 2 shown]
	v_lshrrev_b32_e32 v1, 16, v5
	v_and_or_b32 v26, 0xffff0000, v4, v27
	v_dual_lshrrev_b32 v4, 16, v54 :: v_dual_lshrrev_b32 v5, 16, v31
	v_dual_lshrrev_b32 v20, 16, v55 :: v_dual_lshrrev_b32 v21, 16, v65
	v_and_or_b32 v12, 0xffff0000, v12, v29
	v_and_or_b32 v27, 0xffff0000, v22, v1
	v_sub_nc_u32_e32 v45, v45, v52
	v_and_or_b32 v19, 0xffff0000, v19, v23
	v_and_or_b32 v9, 0xffff0000, v9, v4
	v_and_or_b32 v8, 0xffff0000, v8, v5
	v_and_or_b32 v10, 0xffff0000, v10, v20
	v_and_or_b32 v11, 0xffff0000, v11, v21
	s_clause 0x3
	global_store_b128 v[72:73], v[24:27], off th:TH_STORE_NT
	global_store_b128 v[72:73], v[16:19], off offset:512 th:TH_STORE_NT
	global_store_b128 v[72:73], v[12:15], off offset:1024 th:TH_STORE_NT
	;; [unrolled: 1-line block ×3, first 2 shown]
	v_add_nc_u64_e32 v[60:61], v[60:61], v[86:87]
	v_add_nc_u64_e32 v[62:63], v[62:63], v[86:87]
	v_cmp_gt_i32_e32 vcc_lo, 1, v45
	s_wait_xcnt 0x0
	v_add_nc_u64_e32 v[72:73], v[72:73], v[86:87]
	s_or_b32 s14, vcc_lo, s14
	s_delay_alu instid0(SALU_CYCLE_1)
	s_and_not1_b32 exec_lo, exec_lo, s14
	s_cbranch_execz .LBB10_2133
.LBB10_1877:                            ;   Parent Loop BB10_47 Depth=1
                                        ;     Parent Loop BB10_1307 Depth=2
                                        ; =>    This Inner Loop Header: Depth=3
	global_load_b128 v[8:11], v[60:61], off th:TH_LOAD_NT
	s_mov_b32 s15, exec_lo
                                        ; implicit-def: $vgpr76
	s_wait_loadcnt 0x0
	v_lshlrev_b32_e32 v1, 16, v8
	s_delay_alu instid0(VALU_DEP_1) | instskip(NEXT) | instid1(VALU_DEP_1)
	v_mul_f32_e32 v1, v75, v1
	v_and_b32_e32 v4, 0x7f800000, v1
	s_wait_xcnt 0x0
	s_delay_alu instid0(VALU_DEP_1)
	v_cmpx_ne_u32_e32 0x7f800000, v4
	s_xor_b32 s15, exec_lo, s15
; %bb.1878:                             ;   in Loop: Header=BB10_1877 Depth=3
	v_bfe_u32 v4, v1, 16, 1
	s_delay_alu instid0(VALU_DEP_1)
	v_add3_u32 v76, v1, v4, 0x7fff
                                        ; implicit-def: $vgpr1
; %bb.1879:                             ;   in Loop: Header=BB10_1877 Depth=3
	s_and_not1_saveexec_b32 s15, s15
; %bb.1880:                             ;   in Loop: Header=BB10_1877 Depth=3
	v_and_b32_e32 v4, 0xffff, v1
	v_or_b32_e32 v5, 0x10000, v1
	s_delay_alu instid0(VALU_DEP_2) | instskip(NEXT) | instid1(VALU_DEP_2)
	v_cmp_eq_u32_e32 vcc_lo, 0, v4
	v_cndmask_b32_e32 v76, v5, v1, vcc_lo
; %bb.1881:                             ;   in Loop: Header=BB10_1877 Depth=3
	s_or_b32 exec_lo, exec_lo, s15
	v_and_b32_e32 v1, 0xffff0000, v8
	s_mov_b32 s15, exec_lo
                                        ; implicit-def: $vgpr118
	s_delay_alu instid0(VALU_DEP_1) | instskip(NEXT) | instid1(VALU_DEP_1)
	v_mul_f32_e32 v1, v75, v1
	v_and_b32_e32 v4, 0x7f800000, v1
	s_delay_alu instid0(VALU_DEP_1)
	v_cmpx_ne_u32_e32 0x7f800000, v4
	s_xor_b32 s15, exec_lo, s15
; %bb.1882:                             ;   in Loop: Header=BB10_1877 Depth=3
	v_bfe_u32 v4, v1, 16, 1
	s_delay_alu instid0(VALU_DEP_1)
	v_add3_u32 v118, v1, v4, 0x7fff
                                        ; implicit-def: $vgpr1
; %bb.1883:                             ;   in Loop: Header=BB10_1877 Depth=3
	s_and_not1_saveexec_b32 s15, s15
; %bb.1884:                             ;   in Loop: Header=BB10_1877 Depth=3
	v_and_b32_e32 v4, 0xffff, v1
	v_or_b32_e32 v5, 0x10000, v1
	s_delay_alu instid0(VALU_DEP_2) | instskip(NEXT) | instid1(VALU_DEP_2)
	v_cmp_eq_u32_e32 vcc_lo, 0, v4
	v_cndmask_b32_e32 v118, v5, v1, vcc_lo
; %bb.1885:                             ;   in Loop: Header=BB10_1877 Depth=3
	s_or_b32 exec_lo, exec_lo, s15
	v_lshlrev_b32_e32 v1, 16, v9
	s_mov_b32 s15, exec_lo
                                        ; implicit-def: $vgpr119
	s_delay_alu instid0(VALU_DEP_1) | instskip(NEXT) | instid1(VALU_DEP_1)
	v_mul_f32_e32 v1, v75, v1
	v_and_b32_e32 v4, 0x7f800000, v1
	s_delay_alu instid0(VALU_DEP_1)
	v_cmpx_ne_u32_e32 0x7f800000, v4
	s_xor_b32 s15, exec_lo, s15
; %bb.1886:                             ;   in Loop: Header=BB10_1877 Depth=3
	v_bfe_u32 v4, v1, 16, 1
	s_delay_alu instid0(VALU_DEP_1)
	v_add3_u32 v119, v1, v4, 0x7fff
                                        ; implicit-def: $vgpr1
; %bb.1887:                             ;   in Loop: Header=BB10_1877 Depth=3
	s_and_not1_saveexec_b32 s15, s15
; %bb.1888:                             ;   in Loop: Header=BB10_1877 Depth=3
	v_and_b32_e32 v4, 0xffff, v1
	v_or_b32_e32 v5, 0x10000, v1
	s_delay_alu instid0(VALU_DEP_2) | instskip(NEXT) | instid1(VALU_DEP_2)
	v_cmp_eq_u32_e32 vcc_lo, 0, v4
	v_cndmask_b32_e32 v119, v5, v1, vcc_lo
; %bb.1889:                             ;   in Loop: Header=BB10_1877 Depth=3
	s_or_b32 exec_lo, exec_lo, s15
	v_and_b32_e32 v1, 0xffff0000, v9
	s_mov_b32 s15, exec_lo
                                        ; implicit-def: $vgpr64
	s_delay_alu instid0(VALU_DEP_1) | instskip(NEXT) | instid1(VALU_DEP_1)
	v_mul_f32_e32 v1, v75, v1
	v_and_b32_e32 v4, 0x7f800000, v1
	s_delay_alu instid0(VALU_DEP_1)
	v_cmpx_ne_u32_e32 0x7f800000, v4
	s_xor_b32 s15, exec_lo, s15
; %bb.1890:                             ;   in Loop: Header=BB10_1877 Depth=3
	v_bfe_u32 v4, v1, 16, 1
	s_delay_alu instid0(VALU_DEP_1)
	v_add3_u32 v64, v1, v4, 0x7fff
                                        ; implicit-def: $vgpr1
; %bb.1891:                             ;   in Loop: Header=BB10_1877 Depth=3
	s_and_not1_saveexec_b32 s15, s15
; %bb.1892:                             ;   in Loop: Header=BB10_1877 Depth=3
	v_and_b32_e32 v4, 0xffff, v1
	v_or_b32_e32 v5, 0x10000, v1
	s_delay_alu instid0(VALU_DEP_2) | instskip(NEXT) | instid1(VALU_DEP_2)
	v_cmp_eq_u32_e32 vcc_lo, 0, v4
	v_cndmask_b32_e32 v64, v5, v1, vcc_lo
; %bb.1893:                             ;   in Loop: Header=BB10_1877 Depth=3
	s_or_b32 exec_lo, exec_lo, s15
	v_lshlrev_b32_e32 v1, 16, v10
	s_mov_b32 s15, exec_lo
                                        ; implicit-def: $vgpr65
	s_delay_alu instid0(VALU_DEP_1) | instskip(NEXT) | instid1(VALU_DEP_1)
	v_mul_f32_e32 v1, v75, v1
	v_and_b32_e32 v4, 0x7f800000, v1
	s_delay_alu instid0(VALU_DEP_1)
	v_cmpx_ne_u32_e32 0x7f800000, v4
	s_xor_b32 s15, exec_lo, s15
; %bb.1894:                             ;   in Loop: Header=BB10_1877 Depth=3
	v_bfe_u32 v4, v1, 16, 1
	s_delay_alu instid0(VALU_DEP_1)
	v_add3_u32 v65, v1, v4, 0x7fff
                                        ; implicit-def: $vgpr1
; %bb.1895:                             ;   in Loop: Header=BB10_1877 Depth=3
	s_and_not1_saveexec_b32 s15, s15
; %bb.1896:                             ;   in Loop: Header=BB10_1877 Depth=3
	v_and_b32_e32 v4, 0xffff, v1
	v_or_b32_e32 v5, 0x10000, v1
	s_delay_alu instid0(VALU_DEP_2) | instskip(NEXT) | instid1(VALU_DEP_2)
	v_cmp_eq_u32_e32 vcc_lo, 0, v4
	v_cndmask_b32_e32 v65, v5, v1, vcc_lo
; %bb.1897:                             ;   in Loop: Header=BB10_1877 Depth=3
	s_or_b32 exec_lo, exec_lo, s15
	v_and_b32_e32 v1, 0xffff0000, v10
	s_delay_alu instid0(VALU_DEP_1) | instskip(NEXT) | instid1(VALU_DEP_1)
	v_mul_f32_e32 v1, v75, v1
	v_and_b32_e32 v4, 0x7f800000, v1
	s_delay_alu instid0(VALU_DEP_1) | instskip(SKIP_1) | instid1(SALU_CYCLE_1)
	v_cmp_ne_u32_e32 vcc_lo, 0x7f800000, v4
                                        ; implicit-def: $vgpr4
	s_and_saveexec_b32 s15, vcc_lo
	s_xor_b32 s15, exec_lo, s15
; %bb.1898:                             ;   in Loop: Header=BB10_1877 Depth=3
	v_bfe_u32 v4, v1, 16, 1
	s_delay_alu instid0(VALU_DEP_1)
	v_add3_u32 v4, v1, v4, 0x7fff
                                        ; implicit-def: $vgpr1
; %bb.1899:                             ;   in Loop: Header=BB10_1877 Depth=3
	s_and_not1_saveexec_b32 s15, s15
; %bb.1900:                             ;   in Loop: Header=BB10_1877 Depth=3
	v_and_b32_e32 v4, 0xffff, v1
	v_or_b32_e32 v5, 0x10000, v1
	s_delay_alu instid0(VALU_DEP_2) | instskip(NEXT) | instid1(VALU_DEP_2)
	v_cmp_eq_u32_e32 vcc_lo, 0, v4
	v_cndmask_b32_e32 v4, v5, v1, vcc_lo
; %bb.1901:                             ;   in Loop: Header=BB10_1877 Depth=3
	s_or_b32 exec_lo, exec_lo, s15
	v_lshlrev_b32_e32 v1, 16, v11
	s_delay_alu instid0(VALU_DEP_1) | instskip(NEXT) | instid1(VALU_DEP_1)
	v_mul_f32_e32 v1, v75, v1
	v_and_b32_e32 v5, 0x7f800000, v1
	s_delay_alu instid0(VALU_DEP_1) | instskip(SKIP_1) | instid1(SALU_CYCLE_1)
	v_cmp_ne_u32_e32 vcc_lo, 0x7f800000, v5
                                        ; implicit-def: $vgpr5
	s_and_saveexec_b32 s15, vcc_lo
	s_xor_b32 s15, exec_lo, s15
; %bb.1902:                             ;   in Loop: Header=BB10_1877 Depth=3
	v_bfe_u32 v5, v1, 16, 1
	s_delay_alu instid0(VALU_DEP_1)
	v_add3_u32 v5, v1, v5, 0x7fff
                                        ; implicit-def: $vgpr1
; %bb.1903:                             ;   in Loop: Header=BB10_1877 Depth=3
	s_and_not1_saveexec_b32 s15, s15
; %bb.1904:                             ;   in Loop: Header=BB10_1877 Depth=3
	v_and_b32_e32 v5, 0xffff, v1
	v_or_b32_e32 v8, 0x10000, v1
	s_delay_alu instid0(VALU_DEP_2) | instskip(NEXT) | instid1(VALU_DEP_2)
	v_cmp_eq_u32_e32 vcc_lo, 0, v5
	v_cndmask_b32_e32 v5, v8, v1, vcc_lo
; %bb.1905:                             ;   in Loop: Header=BB10_1877 Depth=3
	s_or_b32 exec_lo, exec_lo, s15
	v_and_b32_e32 v1, 0xffff0000, v11
	s_mov_b32 s15, exec_lo
                                        ; implicit-def: $vgpr66
	s_delay_alu instid0(VALU_DEP_1) | instskip(NEXT) | instid1(VALU_DEP_1)
	v_mul_f32_e32 v1, v75, v1
	v_and_b32_e32 v8, 0x7f800000, v1
	s_delay_alu instid0(VALU_DEP_1)
	v_cmpx_ne_u32_e32 0x7f800000, v8
	s_xor_b32 s15, exec_lo, s15
; %bb.1906:                             ;   in Loop: Header=BB10_1877 Depth=3
	v_bfe_u32 v8, v1, 16, 1
	s_delay_alu instid0(VALU_DEP_1)
	v_add3_u32 v66, v1, v8, 0x7fff
                                        ; implicit-def: $vgpr1
; %bb.1907:                             ;   in Loop: Header=BB10_1877 Depth=3
	s_and_not1_saveexec_b32 s15, s15
; %bb.1908:                             ;   in Loop: Header=BB10_1877 Depth=3
	v_and_b32_e32 v8, 0xffff, v1
	v_or_b32_e32 v9, 0x10000, v1
	s_delay_alu instid0(VALU_DEP_2) | instskip(NEXT) | instid1(VALU_DEP_2)
	v_cmp_eq_u32_e32 vcc_lo, 0, v8
	v_cndmask_b32_e32 v66, v9, v1, vcc_lo
; %bb.1909:                             ;   in Loop: Header=BB10_1877 Depth=3
	s_or_b32 exec_lo, exec_lo, s15
	global_load_b128 v[8:11], v[60:61], off offset:512 th:TH_LOAD_NT
	s_mov_b32 s15, exec_lo
                                        ; implicit-def: $vgpr67
	s_wait_loadcnt 0x0
	v_lshlrev_b32_e32 v1, 16, v8
	s_delay_alu instid0(VALU_DEP_1) | instskip(NEXT) | instid1(VALU_DEP_1)
	v_mul_f32_e32 v1, v75, v1
	v_and_b32_e32 v12, 0x7f800000, v1
	s_wait_xcnt 0x0
	s_delay_alu instid0(VALU_DEP_1)
	v_cmpx_ne_u32_e32 0x7f800000, v12
	s_xor_b32 s15, exec_lo, s15
; %bb.1910:                             ;   in Loop: Header=BB10_1877 Depth=3
	v_bfe_u32 v12, v1, 16, 1
	s_delay_alu instid0(VALU_DEP_1)
	v_add3_u32 v67, v1, v12, 0x7fff
                                        ; implicit-def: $vgpr1
; %bb.1911:                             ;   in Loop: Header=BB10_1877 Depth=3
	s_and_not1_saveexec_b32 s15, s15
; %bb.1912:                             ;   in Loop: Header=BB10_1877 Depth=3
	v_and_b32_e32 v12, 0xffff, v1
	v_or_b32_e32 v13, 0x10000, v1
	s_delay_alu instid0(VALU_DEP_2) | instskip(NEXT) | instid1(VALU_DEP_2)
	v_cmp_eq_u32_e32 vcc_lo, 0, v12
	v_cndmask_b32_e32 v67, v13, v1, vcc_lo
; %bb.1913:                             ;   in Loop: Header=BB10_1877 Depth=3
	s_or_b32 exec_lo, exec_lo, s15
	v_and_b32_e32 v1, 0xffff0000, v8
	s_mov_b32 s15, exec_lo
                                        ; implicit-def: $vgpr24
	s_delay_alu instid0(VALU_DEP_1) | instskip(NEXT) | instid1(VALU_DEP_1)
	v_mul_f32_e32 v1, v75, v1
	v_and_b32_e32 v8, 0x7f800000, v1
	s_delay_alu instid0(VALU_DEP_1)
	v_cmpx_ne_u32_e32 0x7f800000, v8
	s_xor_b32 s15, exec_lo, s15
; %bb.1914:                             ;   in Loop: Header=BB10_1877 Depth=3
	v_bfe_u32 v8, v1, 16, 1
	s_delay_alu instid0(VALU_DEP_1)
	v_add3_u32 v24, v1, v8, 0x7fff
                                        ; implicit-def: $vgpr1
; %bb.1915:                             ;   in Loop: Header=BB10_1877 Depth=3
	s_and_not1_saveexec_b32 s15, s15
; %bb.1916:                             ;   in Loop: Header=BB10_1877 Depth=3
	v_and_b32_e32 v8, 0xffff, v1
	v_or_b32_e32 v12, 0x10000, v1
	s_delay_alu instid0(VALU_DEP_2) | instskip(NEXT) | instid1(VALU_DEP_2)
	v_cmp_eq_u32_e32 vcc_lo, 0, v8
	v_cndmask_b32_e32 v24, v12, v1, vcc_lo
; %bb.1917:                             ;   in Loop: Header=BB10_1877 Depth=3
	s_or_b32 exec_lo, exec_lo, s15
	v_lshlrev_b32_e32 v1, 16, v9
	s_mov_b32 s15, exec_lo
                                        ; implicit-def: $vgpr25
	s_delay_alu instid0(VALU_DEP_1) | instskip(NEXT) | instid1(VALU_DEP_1)
	v_mul_f32_e32 v1, v75, v1
	v_and_b32_e32 v8, 0x7f800000, v1
	s_delay_alu instid0(VALU_DEP_1)
	v_cmpx_ne_u32_e32 0x7f800000, v8
	s_xor_b32 s15, exec_lo, s15
; %bb.1918:                             ;   in Loop: Header=BB10_1877 Depth=3
	v_bfe_u32 v8, v1, 16, 1
	s_delay_alu instid0(VALU_DEP_1)
	v_add3_u32 v25, v1, v8, 0x7fff
                                        ; implicit-def: $vgpr1
; %bb.1919:                             ;   in Loop: Header=BB10_1877 Depth=3
	s_and_not1_saveexec_b32 s15, s15
; %bb.1920:                             ;   in Loop: Header=BB10_1877 Depth=3
	v_and_b32_e32 v8, 0xffff, v1
	v_or_b32_e32 v12, 0x10000, v1
	s_delay_alu instid0(VALU_DEP_2) | instskip(NEXT) | instid1(VALU_DEP_2)
	v_cmp_eq_u32_e32 vcc_lo, 0, v8
	v_cndmask_b32_e32 v25, v12, v1, vcc_lo
; %bb.1921:                             ;   in Loop: Header=BB10_1877 Depth=3
	s_or_b32 exec_lo, exec_lo, s15
	v_and_b32_e32 v1, 0xffff0000, v9
	s_mov_b32 s15, exec_lo
                                        ; implicit-def: $vgpr28
	s_delay_alu instid0(VALU_DEP_1) | instskip(NEXT) | instid1(VALU_DEP_1)
	v_mul_f32_e32 v1, v75, v1
	v_and_b32_e32 v8, 0x7f800000, v1
	s_delay_alu instid0(VALU_DEP_1)
	v_cmpx_ne_u32_e32 0x7f800000, v8
	s_xor_b32 s15, exec_lo, s15
; %bb.1922:                             ;   in Loop: Header=BB10_1877 Depth=3
	v_bfe_u32 v8, v1, 16, 1
	s_delay_alu instid0(VALU_DEP_1)
	v_add3_u32 v28, v1, v8, 0x7fff
                                        ; implicit-def: $vgpr1
; %bb.1923:                             ;   in Loop: Header=BB10_1877 Depth=3
	s_and_not1_saveexec_b32 s15, s15
; %bb.1924:                             ;   in Loop: Header=BB10_1877 Depth=3
	v_and_b32_e32 v8, 0xffff, v1
	v_or_b32_e32 v9, 0x10000, v1
	s_delay_alu instid0(VALU_DEP_2) | instskip(NEXT) | instid1(VALU_DEP_2)
	v_cmp_eq_u32_e32 vcc_lo, 0, v8
	v_cndmask_b32_e32 v28, v9, v1, vcc_lo
; %bb.1925:                             ;   in Loop: Header=BB10_1877 Depth=3
	s_or_b32 exec_lo, exec_lo, s15
	v_lshlrev_b32_e32 v1, 16, v10
	s_mov_b32 s15, exec_lo
                                        ; implicit-def: $vgpr29
	s_delay_alu instid0(VALU_DEP_1) | instskip(NEXT) | instid1(VALU_DEP_1)
	v_mul_f32_e32 v1, v75, v1
	v_and_b32_e32 v8, 0x7f800000, v1
	s_delay_alu instid0(VALU_DEP_1)
	v_cmpx_ne_u32_e32 0x7f800000, v8
	s_xor_b32 s15, exec_lo, s15
; %bb.1926:                             ;   in Loop: Header=BB10_1877 Depth=3
	v_bfe_u32 v8, v1, 16, 1
	s_delay_alu instid0(VALU_DEP_1)
	v_add3_u32 v29, v1, v8, 0x7fff
                                        ; implicit-def: $vgpr1
; %bb.1927:                             ;   in Loop: Header=BB10_1877 Depth=3
	s_and_not1_saveexec_b32 s15, s15
; %bb.1928:                             ;   in Loop: Header=BB10_1877 Depth=3
	v_and_b32_e32 v8, 0xffff, v1
	v_or_b32_e32 v9, 0x10000, v1
	s_delay_alu instid0(VALU_DEP_2) | instskip(NEXT) | instid1(VALU_DEP_2)
	v_cmp_eq_u32_e32 vcc_lo, 0, v8
	v_cndmask_b32_e32 v29, v9, v1, vcc_lo
; %bb.1929:                             ;   in Loop: Header=BB10_1877 Depth=3
	s_or_b32 exec_lo, exec_lo, s15
	v_and_b32_e32 v1, 0xffff0000, v10
	s_mov_b32 s15, exec_lo
                                        ; implicit-def: $vgpr123
	s_delay_alu instid0(VALU_DEP_1) | instskip(NEXT) | instid1(VALU_DEP_1)
	v_mul_f32_e32 v1, v75, v1
	v_and_b32_e32 v8, 0x7f800000, v1
	s_delay_alu instid0(VALU_DEP_1)
	v_cmpx_ne_u32_e32 0x7f800000, v8
	s_xor_b32 s15, exec_lo, s15
; %bb.1930:                             ;   in Loop: Header=BB10_1877 Depth=3
	v_bfe_u32 v8, v1, 16, 1
	s_delay_alu instid0(VALU_DEP_1)
	v_add3_u32 v123, v1, v8, 0x7fff
                                        ; implicit-def: $vgpr1
; %bb.1931:                             ;   in Loop: Header=BB10_1877 Depth=3
	s_and_not1_saveexec_b32 s15, s15
; %bb.1932:                             ;   in Loop: Header=BB10_1877 Depth=3
	v_and_b32_e32 v8, 0xffff, v1
	v_or_b32_e32 v9, 0x10000, v1
	s_delay_alu instid0(VALU_DEP_2) | instskip(NEXT) | instid1(VALU_DEP_2)
	v_cmp_eq_u32_e32 vcc_lo, 0, v8
	v_cndmask_b32_e32 v123, v9, v1, vcc_lo
; %bb.1933:                             ;   in Loop: Header=BB10_1877 Depth=3
	s_or_b32 exec_lo, exec_lo, s15
	v_lshlrev_b32_e32 v1, 16, v11
	s_mov_b32 s15, exec_lo
                                        ; implicit-def: $vgpr124
	s_delay_alu instid0(VALU_DEP_1) | instskip(NEXT) | instid1(VALU_DEP_1)
	v_mul_f32_e32 v1, v75, v1
	v_and_b32_e32 v8, 0x7f800000, v1
	s_delay_alu instid0(VALU_DEP_1)
	v_cmpx_ne_u32_e32 0x7f800000, v8
	s_xor_b32 s15, exec_lo, s15
; %bb.1934:                             ;   in Loop: Header=BB10_1877 Depth=3
	v_bfe_u32 v8, v1, 16, 1
	s_delay_alu instid0(VALU_DEP_1)
	v_add3_u32 v124, v1, v8, 0x7fff
                                        ; implicit-def: $vgpr1
; %bb.1935:                             ;   in Loop: Header=BB10_1877 Depth=3
	s_and_not1_saveexec_b32 s15, s15
; %bb.1936:                             ;   in Loop: Header=BB10_1877 Depth=3
	v_and_b32_e32 v8, 0xffff, v1
	v_or_b32_e32 v9, 0x10000, v1
	s_delay_alu instid0(VALU_DEP_2) | instskip(NEXT) | instid1(VALU_DEP_2)
	v_cmp_eq_u32_e32 vcc_lo, 0, v8
	v_cndmask_b32_e32 v124, v9, v1, vcc_lo
; %bb.1937:                             ;   in Loop: Header=BB10_1877 Depth=3
	s_or_b32 exec_lo, exec_lo, s15
	v_and_b32_e32 v1, 0xffff0000, v11
	s_mov_b32 s15, exec_lo
                                        ; implicit-def: $vgpr121
	s_delay_alu instid0(VALU_DEP_1) | instskip(NEXT) | instid1(VALU_DEP_1)
	v_mul_f32_e32 v1, v75, v1
	v_and_b32_e32 v8, 0x7f800000, v1
	s_delay_alu instid0(VALU_DEP_1)
	v_cmpx_ne_u32_e32 0x7f800000, v8
	s_xor_b32 s15, exec_lo, s15
; %bb.1938:                             ;   in Loop: Header=BB10_1877 Depth=3
	v_bfe_u32 v8, v1, 16, 1
	s_delay_alu instid0(VALU_DEP_1)
	v_add3_u32 v121, v1, v8, 0x7fff
                                        ; implicit-def: $vgpr1
; %bb.1939:                             ;   in Loop: Header=BB10_1877 Depth=3
	s_and_not1_saveexec_b32 s15, s15
; %bb.1940:                             ;   in Loop: Header=BB10_1877 Depth=3
	v_and_b32_e32 v8, 0xffff, v1
	v_or_b32_e32 v9, 0x10000, v1
	s_delay_alu instid0(VALU_DEP_2) | instskip(NEXT) | instid1(VALU_DEP_2)
	v_cmp_eq_u32_e32 vcc_lo, 0, v8
	v_cndmask_b32_e32 v121, v9, v1, vcc_lo
; %bb.1941:                             ;   in Loop: Header=BB10_1877 Depth=3
	s_or_b32 exec_lo, exec_lo, s15
	global_load_b128 v[8:11], v[60:61], off offset:1024 th:TH_LOAD_NT
	s_mov_b32 s15, exec_lo
                                        ; implicit-def: $vgpr122
	s_wait_loadcnt 0x0
	v_lshlrev_b32_e32 v1, 16, v8
	s_delay_alu instid0(VALU_DEP_1) | instskip(NEXT) | instid1(VALU_DEP_1)
	v_mul_f32_e32 v1, v75, v1
	v_and_b32_e32 v12, 0x7f800000, v1
	s_wait_xcnt 0x0
	s_delay_alu instid0(VALU_DEP_1)
	v_cmpx_ne_u32_e32 0x7f800000, v12
	s_xor_b32 s15, exec_lo, s15
; %bb.1942:                             ;   in Loop: Header=BB10_1877 Depth=3
	v_bfe_u32 v12, v1, 16, 1
	s_delay_alu instid0(VALU_DEP_1)
	v_add3_u32 v122, v1, v12, 0x7fff
                                        ; implicit-def: $vgpr1
; %bb.1943:                             ;   in Loop: Header=BB10_1877 Depth=3
	s_and_not1_saveexec_b32 s15, s15
; %bb.1944:                             ;   in Loop: Header=BB10_1877 Depth=3
	v_and_b32_e32 v12, 0xffff, v1
	v_or_b32_e32 v13, 0x10000, v1
	s_delay_alu instid0(VALU_DEP_2) | instskip(NEXT) | instid1(VALU_DEP_2)
	v_cmp_eq_u32_e32 vcc_lo, 0, v12
	v_cndmask_b32_e32 v122, v13, v1, vcc_lo
; %bb.1945:                             ;   in Loop: Header=BB10_1877 Depth=3
	s_or_b32 exec_lo, exec_lo, s15
	v_and_b32_e32 v1, 0xffff0000, v8
	s_mov_b32 s15, exec_lo
                                        ; implicit-def: $vgpr111
	s_delay_alu instid0(VALU_DEP_1) | instskip(NEXT) | instid1(VALU_DEP_1)
	v_mul_f32_e32 v1, v75, v1
	v_and_b32_e32 v8, 0x7f800000, v1
	s_delay_alu instid0(VALU_DEP_1)
	v_cmpx_ne_u32_e32 0x7f800000, v8
	s_xor_b32 s15, exec_lo, s15
; %bb.1946:                             ;   in Loop: Header=BB10_1877 Depth=3
	v_bfe_u32 v8, v1, 16, 1
	s_delay_alu instid0(VALU_DEP_1)
	v_add3_u32 v111, v1, v8, 0x7fff
                                        ; implicit-def: $vgpr1
; %bb.1947:                             ;   in Loop: Header=BB10_1877 Depth=3
	s_and_not1_saveexec_b32 s15, s15
; %bb.1948:                             ;   in Loop: Header=BB10_1877 Depth=3
	v_and_b32_e32 v8, 0xffff, v1
	v_or_b32_e32 v12, 0x10000, v1
	s_delay_alu instid0(VALU_DEP_2) | instskip(NEXT) | instid1(VALU_DEP_2)
	v_cmp_eq_u32_e32 vcc_lo, 0, v8
	v_cndmask_b32_e32 v111, v12, v1, vcc_lo
; %bb.1949:                             ;   in Loop: Header=BB10_1877 Depth=3
	s_or_b32 exec_lo, exec_lo, s15
	v_lshlrev_b32_e32 v1, 16, v9
	s_mov_b32 s15, exec_lo
                                        ; implicit-def: $vgpr120
	s_delay_alu instid0(VALU_DEP_1) | instskip(NEXT) | instid1(VALU_DEP_1)
	v_mul_f32_e32 v1, v75, v1
	v_and_b32_e32 v8, 0x7f800000, v1
	s_delay_alu instid0(VALU_DEP_1)
	v_cmpx_ne_u32_e32 0x7f800000, v8
	s_xor_b32 s15, exec_lo, s15
; %bb.1950:                             ;   in Loop: Header=BB10_1877 Depth=3
	v_bfe_u32 v8, v1, 16, 1
	s_delay_alu instid0(VALU_DEP_1)
	v_add3_u32 v120, v1, v8, 0x7fff
                                        ; implicit-def: $vgpr1
; %bb.1951:                             ;   in Loop: Header=BB10_1877 Depth=3
	s_and_not1_saveexec_b32 s15, s15
; %bb.1952:                             ;   in Loop: Header=BB10_1877 Depth=3
	v_and_b32_e32 v8, 0xffff, v1
	v_or_b32_e32 v12, 0x10000, v1
	s_delay_alu instid0(VALU_DEP_2) | instskip(NEXT) | instid1(VALU_DEP_2)
	v_cmp_eq_u32_e32 vcc_lo, 0, v8
	v_cndmask_b32_e32 v120, v12, v1, vcc_lo
; %bb.1953:                             ;   in Loop: Header=BB10_1877 Depth=3
	s_or_b32 exec_lo, exec_lo, s15
	v_and_b32_e32 v1, 0xffff0000, v9
	s_mov_b32 s15, exec_lo
                                        ; implicit-def: $vgpr26
	s_delay_alu instid0(VALU_DEP_1) | instskip(NEXT) | instid1(VALU_DEP_1)
	v_mul_f32_e32 v1, v75, v1
	v_and_b32_e32 v8, 0x7f800000, v1
	s_delay_alu instid0(VALU_DEP_1)
	v_cmpx_ne_u32_e32 0x7f800000, v8
	s_xor_b32 s15, exec_lo, s15
; %bb.1954:                             ;   in Loop: Header=BB10_1877 Depth=3
	v_bfe_u32 v8, v1, 16, 1
	s_delay_alu instid0(VALU_DEP_1)
	v_add3_u32 v26, v1, v8, 0x7fff
                                        ; implicit-def: $vgpr1
; %bb.1955:                             ;   in Loop: Header=BB10_1877 Depth=3
	s_and_not1_saveexec_b32 s15, s15
; %bb.1956:                             ;   in Loop: Header=BB10_1877 Depth=3
	v_and_b32_e32 v8, 0xffff, v1
	v_or_b32_e32 v9, 0x10000, v1
	s_delay_alu instid0(VALU_DEP_2) | instskip(NEXT) | instid1(VALU_DEP_2)
	v_cmp_eq_u32_e32 vcc_lo, 0, v8
	v_cndmask_b32_e32 v26, v9, v1, vcc_lo
; %bb.1957:                             ;   in Loop: Header=BB10_1877 Depth=3
	s_or_b32 exec_lo, exec_lo, s15
	v_lshlrev_b32_e32 v1, 16, v10
	s_mov_b32 s15, exec_lo
                                        ; implicit-def: $vgpr27
	s_delay_alu instid0(VALU_DEP_1) | instskip(NEXT) | instid1(VALU_DEP_1)
	v_mul_f32_e32 v1, v75, v1
	v_and_b32_e32 v8, 0x7f800000, v1
	s_delay_alu instid0(VALU_DEP_1)
	v_cmpx_ne_u32_e32 0x7f800000, v8
	s_xor_b32 s15, exec_lo, s15
; %bb.1958:                             ;   in Loop: Header=BB10_1877 Depth=3
	v_bfe_u32 v8, v1, 16, 1
	s_delay_alu instid0(VALU_DEP_1)
	v_add3_u32 v27, v1, v8, 0x7fff
                                        ; implicit-def: $vgpr1
; %bb.1959:                             ;   in Loop: Header=BB10_1877 Depth=3
	s_and_not1_saveexec_b32 s15, s15
; %bb.1960:                             ;   in Loop: Header=BB10_1877 Depth=3
	v_and_b32_e32 v8, 0xffff, v1
	v_or_b32_e32 v9, 0x10000, v1
	s_delay_alu instid0(VALU_DEP_2) | instskip(NEXT) | instid1(VALU_DEP_2)
	v_cmp_eq_u32_e32 vcc_lo, 0, v8
	v_cndmask_b32_e32 v27, v9, v1, vcc_lo
; %bb.1961:                             ;   in Loop: Header=BB10_1877 Depth=3
	s_or_b32 exec_lo, exec_lo, s15
	v_and_b32_e32 v1, 0xffff0000, v10
	s_mov_b32 s15, exec_lo
                                        ; implicit-def: $vgpr109
	s_delay_alu instid0(VALU_DEP_1) | instskip(NEXT) | instid1(VALU_DEP_1)
	v_mul_f32_e32 v1, v75, v1
	v_and_b32_e32 v8, 0x7f800000, v1
	s_delay_alu instid0(VALU_DEP_1)
	v_cmpx_ne_u32_e32 0x7f800000, v8
	s_xor_b32 s15, exec_lo, s15
; %bb.1962:                             ;   in Loop: Header=BB10_1877 Depth=3
	v_bfe_u32 v8, v1, 16, 1
	s_delay_alu instid0(VALU_DEP_1)
	v_add3_u32 v109, v1, v8, 0x7fff
                                        ; implicit-def: $vgpr1
; %bb.1963:                             ;   in Loop: Header=BB10_1877 Depth=3
	s_and_not1_saveexec_b32 s15, s15
; %bb.1964:                             ;   in Loop: Header=BB10_1877 Depth=3
	v_and_b32_e32 v8, 0xffff, v1
	v_or_b32_e32 v9, 0x10000, v1
	s_delay_alu instid0(VALU_DEP_2) | instskip(NEXT) | instid1(VALU_DEP_2)
	v_cmp_eq_u32_e32 vcc_lo, 0, v8
	v_cndmask_b32_e32 v109, v9, v1, vcc_lo
; %bb.1965:                             ;   in Loop: Header=BB10_1877 Depth=3
	s_or_b32 exec_lo, exec_lo, s15
	v_lshlrev_b32_e32 v1, 16, v11
	s_mov_b32 s15, exec_lo
                                        ; implicit-def: $vgpr110
	s_delay_alu instid0(VALU_DEP_1) | instskip(NEXT) | instid1(VALU_DEP_1)
	v_mul_f32_e32 v1, v75, v1
	v_and_b32_e32 v8, 0x7f800000, v1
	s_delay_alu instid0(VALU_DEP_1)
	v_cmpx_ne_u32_e32 0x7f800000, v8
	s_xor_b32 s15, exec_lo, s15
; %bb.1966:                             ;   in Loop: Header=BB10_1877 Depth=3
	v_bfe_u32 v8, v1, 16, 1
	s_delay_alu instid0(VALU_DEP_1)
	v_add3_u32 v110, v1, v8, 0x7fff
                                        ; implicit-def: $vgpr1
; %bb.1967:                             ;   in Loop: Header=BB10_1877 Depth=3
	s_and_not1_saveexec_b32 s15, s15
; %bb.1968:                             ;   in Loop: Header=BB10_1877 Depth=3
	v_and_b32_e32 v8, 0xffff, v1
	v_or_b32_e32 v9, 0x10000, v1
	s_delay_alu instid0(VALU_DEP_2) | instskip(NEXT) | instid1(VALU_DEP_2)
	v_cmp_eq_u32_e32 vcc_lo, 0, v8
	v_cndmask_b32_e32 v110, v9, v1, vcc_lo
; %bb.1969:                             ;   in Loop: Header=BB10_1877 Depth=3
	s_or_b32 exec_lo, exec_lo, s15
	v_and_b32_e32 v1, 0xffff0000, v11
	s_mov_b32 s15, exec_lo
                                        ; implicit-def: $vgpr107
	s_delay_alu instid0(VALU_DEP_1) | instskip(NEXT) | instid1(VALU_DEP_1)
	v_mul_f32_e32 v1, v75, v1
	v_and_b32_e32 v8, 0x7f800000, v1
	s_delay_alu instid0(VALU_DEP_1)
	v_cmpx_ne_u32_e32 0x7f800000, v8
	s_xor_b32 s15, exec_lo, s15
; %bb.1970:                             ;   in Loop: Header=BB10_1877 Depth=3
	v_bfe_u32 v8, v1, 16, 1
	s_delay_alu instid0(VALU_DEP_1)
	v_add3_u32 v107, v1, v8, 0x7fff
                                        ; implicit-def: $vgpr1
; %bb.1971:                             ;   in Loop: Header=BB10_1877 Depth=3
	s_and_not1_saveexec_b32 s15, s15
; %bb.1972:                             ;   in Loop: Header=BB10_1877 Depth=3
	v_and_b32_e32 v8, 0xffff, v1
	v_or_b32_e32 v9, 0x10000, v1
	s_delay_alu instid0(VALU_DEP_2) | instskip(NEXT) | instid1(VALU_DEP_2)
	v_cmp_eq_u32_e32 vcc_lo, 0, v8
	v_cndmask_b32_e32 v107, v9, v1, vcc_lo
; %bb.1973:                             ;   in Loop: Header=BB10_1877 Depth=3
	s_or_b32 exec_lo, exec_lo, s15
	global_load_b128 v[8:11], v[60:61], off offset:1536 th:TH_LOAD_NT
	s_mov_b32 s15, exec_lo
                                        ; implicit-def: $vgpr108
	s_wait_loadcnt 0x0
	v_lshlrev_b32_e32 v1, 16, v8
	s_delay_alu instid0(VALU_DEP_1) | instskip(NEXT) | instid1(VALU_DEP_1)
	v_mul_f32_e32 v1, v75, v1
	v_and_b32_e32 v12, 0x7f800000, v1
	s_wait_xcnt 0x0
	s_delay_alu instid0(VALU_DEP_1)
	v_cmpx_ne_u32_e32 0x7f800000, v12
	s_xor_b32 s15, exec_lo, s15
; %bb.1974:                             ;   in Loop: Header=BB10_1877 Depth=3
	v_bfe_u32 v12, v1, 16, 1
	s_delay_alu instid0(VALU_DEP_1)
	v_add3_u32 v108, v1, v12, 0x7fff
                                        ; implicit-def: $vgpr1
; %bb.1975:                             ;   in Loop: Header=BB10_1877 Depth=3
	s_and_not1_saveexec_b32 s15, s15
; %bb.1976:                             ;   in Loop: Header=BB10_1877 Depth=3
	v_and_b32_e32 v12, 0xffff, v1
	v_or_b32_e32 v13, 0x10000, v1
	s_delay_alu instid0(VALU_DEP_2) | instskip(NEXT) | instid1(VALU_DEP_2)
	v_cmp_eq_u32_e32 vcc_lo, 0, v12
	v_cndmask_b32_e32 v108, v13, v1, vcc_lo
; %bb.1977:                             ;   in Loop: Header=BB10_1877 Depth=3
	s_or_b32 exec_lo, exec_lo, s15
	v_and_b32_e32 v1, 0xffff0000, v8
	s_mov_b32 s15, exec_lo
                                        ; implicit-def: $vgpr105
	s_delay_alu instid0(VALU_DEP_1) | instskip(NEXT) | instid1(VALU_DEP_1)
	v_mul_f32_e32 v1, v75, v1
	v_and_b32_e32 v8, 0x7f800000, v1
	s_delay_alu instid0(VALU_DEP_1)
	v_cmpx_ne_u32_e32 0x7f800000, v8
	s_xor_b32 s15, exec_lo, s15
; %bb.1978:                             ;   in Loop: Header=BB10_1877 Depth=3
	v_bfe_u32 v8, v1, 16, 1
	s_delay_alu instid0(VALU_DEP_1)
	v_add3_u32 v105, v1, v8, 0x7fff
                                        ; implicit-def: $vgpr1
; %bb.1979:                             ;   in Loop: Header=BB10_1877 Depth=3
	s_and_not1_saveexec_b32 s15, s15
; %bb.1980:                             ;   in Loop: Header=BB10_1877 Depth=3
	v_and_b32_e32 v8, 0xffff, v1
	v_or_b32_e32 v12, 0x10000, v1
	s_delay_alu instid0(VALU_DEP_2) | instskip(NEXT) | instid1(VALU_DEP_2)
	v_cmp_eq_u32_e32 vcc_lo, 0, v8
	v_cndmask_b32_e32 v105, v12, v1, vcc_lo
; %bb.1981:                             ;   in Loop: Header=BB10_1877 Depth=3
	s_or_b32 exec_lo, exec_lo, s15
	v_lshlrev_b32_e32 v1, 16, v9
	s_mov_b32 s15, exec_lo
                                        ; implicit-def: $vgpr106
	s_delay_alu instid0(VALU_DEP_1) | instskip(NEXT) | instid1(VALU_DEP_1)
	v_mul_f32_e32 v1, v75, v1
	v_and_b32_e32 v8, 0x7f800000, v1
	s_delay_alu instid0(VALU_DEP_1)
	v_cmpx_ne_u32_e32 0x7f800000, v8
	s_xor_b32 s15, exec_lo, s15
; %bb.1982:                             ;   in Loop: Header=BB10_1877 Depth=3
	v_bfe_u32 v8, v1, 16, 1
	s_delay_alu instid0(VALU_DEP_1)
	v_add3_u32 v106, v1, v8, 0x7fff
                                        ; implicit-def: $vgpr1
; %bb.1983:                             ;   in Loop: Header=BB10_1877 Depth=3
	s_and_not1_saveexec_b32 s15, s15
; %bb.1984:                             ;   in Loop: Header=BB10_1877 Depth=3
	v_and_b32_e32 v8, 0xffff, v1
	v_or_b32_e32 v12, 0x10000, v1
	s_delay_alu instid0(VALU_DEP_2) | instskip(NEXT) | instid1(VALU_DEP_2)
	v_cmp_eq_u32_e32 vcc_lo, 0, v8
	v_cndmask_b32_e32 v106, v12, v1, vcc_lo
; %bb.1985:                             ;   in Loop: Header=BB10_1877 Depth=3
	s_or_b32 exec_lo, exec_lo, s15
	v_and_b32_e32 v1, 0xffff0000, v9
	s_mov_b32 s15, exec_lo
                                        ; implicit-def: $vgpr95
	s_delay_alu instid0(VALU_DEP_1) | instskip(NEXT) | instid1(VALU_DEP_1)
	v_mul_f32_e32 v1, v75, v1
	v_and_b32_e32 v8, 0x7f800000, v1
	s_delay_alu instid0(VALU_DEP_1)
	v_cmpx_ne_u32_e32 0x7f800000, v8
	s_xor_b32 s15, exec_lo, s15
; %bb.1986:                             ;   in Loop: Header=BB10_1877 Depth=3
	v_bfe_u32 v8, v1, 16, 1
	s_delay_alu instid0(VALU_DEP_1)
	v_add3_u32 v95, v1, v8, 0x7fff
                                        ; implicit-def: $vgpr1
; %bb.1987:                             ;   in Loop: Header=BB10_1877 Depth=3
	s_and_not1_saveexec_b32 s15, s15
; %bb.1988:                             ;   in Loop: Header=BB10_1877 Depth=3
	v_and_b32_e32 v8, 0xffff, v1
	v_or_b32_e32 v9, 0x10000, v1
	s_delay_alu instid0(VALU_DEP_2) | instskip(NEXT) | instid1(VALU_DEP_2)
	v_cmp_eq_u32_e32 vcc_lo, 0, v8
	v_cndmask_b32_e32 v95, v9, v1, vcc_lo
; %bb.1989:                             ;   in Loop: Header=BB10_1877 Depth=3
	s_or_b32 exec_lo, exec_lo, s15
	v_lshlrev_b32_e32 v1, 16, v10
	s_mov_b32 s15, exec_lo
                                        ; implicit-def: $vgpr104
	s_delay_alu instid0(VALU_DEP_1) | instskip(NEXT) | instid1(VALU_DEP_1)
	v_mul_f32_e32 v1, v75, v1
	v_and_b32_e32 v8, 0x7f800000, v1
	s_delay_alu instid0(VALU_DEP_1)
	v_cmpx_ne_u32_e32 0x7f800000, v8
	s_xor_b32 s15, exec_lo, s15
; %bb.1990:                             ;   in Loop: Header=BB10_1877 Depth=3
	v_bfe_u32 v8, v1, 16, 1
	s_delay_alu instid0(VALU_DEP_1)
	v_add3_u32 v104, v1, v8, 0x7fff
                                        ; implicit-def: $vgpr1
; %bb.1991:                             ;   in Loop: Header=BB10_1877 Depth=3
	s_and_not1_saveexec_b32 s15, s15
; %bb.1992:                             ;   in Loop: Header=BB10_1877 Depth=3
	v_and_b32_e32 v8, 0xffff, v1
	v_or_b32_e32 v9, 0x10000, v1
	s_delay_alu instid0(VALU_DEP_2) | instskip(NEXT) | instid1(VALU_DEP_2)
	v_cmp_eq_u32_e32 vcc_lo, 0, v8
	v_cndmask_b32_e32 v104, v9, v1, vcc_lo
; %bb.1993:                             ;   in Loop: Header=BB10_1877 Depth=3
	s_or_b32 exec_lo, exec_lo, s15
	v_and_b32_e32 v1, 0xffff0000, v10
	s_mov_b32 s15, exec_lo
                                        ; implicit-def: $vgpr93
	s_delay_alu instid0(VALU_DEP_1) | instskip(NEXT) | instid1(VALU_DEP_1)
	v_mul_f32_e32 v1, v75, v1
	v_and_b32_e32 v8, 0x7f800000, v1
	s_delay_alu instid0(VALU_DEP_1)
	v_cmpx_ne_u32_e32 0x7f800000, v8
	s_xor_b32 s15, exec_lo, s15
; %bb.1994:                             ;   in Loop: Header=BB10_1877 Depth=3
	v_bfe_u32 v8, v1, 16, 1
	s_delay_alu instid0(VALU_DEP_1)
	v_add3_u32 v93, v1, v8, 0x7fff
                                        ; implicit-def: $vgpr1
; %bb.1995:                             ;   in Loop: Header=BB10_1877 Depth=3
	s_and_not1_saveexec_b32 s15, s15
; %bb.1996:                             ;   in Loop: Header=BB10_1877 Depth=3
	v_and_b32_e32 v8, 0xffff, v1
	v_or_b32_e32 v9, 0x10000, v1
	s_delay_alu instid0(VALU_DEP_2) | instskip(NEXT) | instid1(VALU_DEP_2)
	v_cmp_eq_u32_e32 vcc_lo, 0, v8
	v_cndmask_b32_e32 v93, v9, v1, vcc_lo
; %bb.1997:                             ;   in Loop: Header=BB10_1877 Depth=3
	s_or_b32 exec_lo, exec_lo, s15
	v_lshlrev_b32_e32 v1, 16, v11
	s_mov_b32 s15, exec_lo
                                        ; implicit-def: $vgpr94
	s_delay_alu instid0(VALU_DEP_1) | instskip(NEXT) | instid1(VALU_DEP_1)
	v_mul_f32_e32 v1, v75, v1
	v_and_b32_e32 v8, 0x7f800000, v1
	s_delay_alu instid0(VALU_DEP_1)
	v_cmpx_ne_u32_e32 0x7f800000, v8
	s_xor_b32 s15, exec_lo, s15
; %bb.1998:                             ;   in Loop: Header=BB10_1877 Depth=3
	v_bfe_u32 v8, v1, 16, 1
	s_delay_alu instid0(VALU_DEP_1)
	v_add3_u32 v94, v1, v8, 0x7fff
                                        ; implicit-def: $vgpr1
; %bb.1999:                             ;   in Loop: Header=BB10_1877 Depth=3
	s_and_not1_saveexec_b32 s15, s15
; %bb.2000:                             ;   in Loop: Header=BB10_1877 Depth=3
	v_and_b32_e32 v8, 0xffff, v1
	v_or_b32_e32 v9, 0x10000, v1
	s_delay_alu instid0(VALU_DEP_2) | instskip(NEXT) | instid1(VALU_DEP_2)
	v_cmp_eq_u32_e32 vcc_lo, 0, v8
	v_cndmask_b32_e32 v94, v9, v1, vcc_lo
; %bb.2001:                             ;   in Loop: Header=BB10_1877 Depth=3
	s_or_b32 exec_lo, exec_lo, s15
	v_and_b32_e32 v1, 0xffff0000, v11
	s_mov_b32 s15, exec_lo
                                        ; implicit-def: $vgpr77
	s_delay_alu instid0(VALU_DEP_1) | instskip(NEXT) | instid1(VALU_DEP_1)
	v_mul_f32_e32 v1, v75, v1
	v_and_b32_e32 v8, 0x7f800000, v1
	s_delay_alu instid0(VALU_DEP_1)
	v_cmpx_ne_u32_e32 0x7f800000, v8
	s_xor_b32 s15, exec_lo, s15
; %bb.2002:                             ;   in Loop: Header=BB10_1877 Depth=3
	v_bfe_u32 v8, v1, 16, 1
	s_delay_alu instid0(VALU_DEP_1)
	v_add3_u32 v77, v1, v8, 0x7fff
                                        ; implicit-def: $vgpr1
; %bb.2003:                             ;   in Loop: Header=BB10_1877 Depth=3
	s_and_not1_saveexec_b32 s15, s15
; %bb.2004:                             ;   in Loop: Header=BB10_1877 Depth=3
	v_and_b32_e32 v8, 0xffff, v1
	v_or_b32_e32 v9, 0x10000, v1
	s_delay_alu instid0(VALU_DEP_2) | instskip(NEXT) | instid1(VALU_DEP_2)
	v_cmp_eq_u32_e32 vcc_lo, 0, v8
	v_cndmask_b32_e32 v77, v9, v1, vcc_lo
; %bb.2005:                             ;   in Loop: Header=BB10_1877 Depth=3
	s_or_b32 exec_lo, exec_lo, s15
	s_clause 0x3
	global_load_b128 v[20:23], v[62:63], off th:TH_LOAD_NT
	global_load_b128 v[16:19], v[62:63], off offset:512 th:TH_LOAD_NT
	global_load_b128 v[12:15], v[62:63], off offset:1024 th:TH_LOAD_NT
	;; [unrolled: 1-line block ×3, first 2 shown]
	v_and_b32_e32 v1, 0xffff0000, v76
	s_mov_b32 s15, exec_lo
                                        ; implicit-def: $vgpr76
	s_wait_loadcnt 0x3
	v_lshlrev_b32_e32 v31, 16, v20
	s_delay_alu instid0(VALU_DEP_1) | instskip(NEXT) | instid1(VALU_DEP_1)
	v_add_f32_e32 v1, v1, v31
	v_and_b32_e32 v31, 0x7f800000, v1
	s_wait_xcnt 0x0
	s_delay_alu instid0(VALU_DEP_1)
	v_cmpx_ne_u32_e32 0x7f800000, v31
	s_xor_b32 s15, exec_lo, s15
; %bb.2006:                             ;   in Loop: Header=BB10_1877 Depth=3
	v_bfe_u32 v31, v1, 16, 1
	s_delay_alu instid0(VALU_DEP_1)
	v_add3_u32 v76, v1, v31, 0x7fff
                                        ; implicit-def: $vgpr1
; %bb.2007:                             ;   in Loop: Header=BB10_1877 Depth=3
	s_and_not1_saveexec_b32 s15, s15
; %bb.2008:                             ;   in Loop: Header=BB10_1877 Depth=3
	v_and_b32_e32 v31, 0xffff, v1
	v_or_b32_e32 v54, 0x10000, v1
	s_delay_alu instid0(VALU_DEP_2) | instskip(NEXT) | instid1(VALU_DEP_2)
	v_cmp_eq_u32_e32 vcc_lo, 0, v31
	v_cndmask_b32_e32 v76, v54, v1, vcc_lo
; %bb.2009:                             ;   in Loop: Header=BB10_1877 Depth=3
	s_or_b32 exec_lo, exec_lo, s15
	v_and_b32_e32 v1, 0xffff0000, v20
	v_and_b32_e32 v20, 0xffff0000, v118
	s_delay_alu instid0(VALU_DEP_1) | instskip(NEXT) | instid1(VALU_DEP_1)
	v_add_f32_e32 v1, v20, v1
	v_and_b32_e32 v20, 0x7f800000, v1
	s_delay_alu instid0(VALU_DEP_1) | instskip(SKIP_1) | instid1(SALU_CYCLE_1)
	v_cmp_ne_u32_e32 vcc_lo, 0x7f800000, v20
                                        ; implicit-def: $vgpr20
	s_and_saveexec_b32 s15, vcc_lo
	s_xor_b32 s15, exec_lo, s15
; %bb.2010:                             ;   in Loop: Header=BB10_1877 Depth=3
	v_bfe_u32 v20, v1, 16, 1
	s_delay_alu instid0(VALU_DEP_1)
	v_add3_u32 v20, v1, v20, 0x7fff
                                        ; implicit-def: $vgpr1
; %bb.2011:                             ;   in Loop: Header=BB10_1877 Depth=3
	s_and_not1_saveexec_b32 s15, s15
; %bb.2012:                             ;   in Loop: Header=BB10_1877 Depth=3
	v_and_b32_e32 v20, 0xffff, v1
	v_or_b32_e32 v31, 0x10000, v1
	s_delay_alu instid0(VALU_DEP_2) | instskip(NEXT) | instid1(VALU_DEP_2)
	v_cmp_eq_u32_e32 vcc_lo, 0, v20
	v_cndmask_b32_e32 v20, v31, v1, vcc_lo
; %bb.2013:                             ;   in Loop: Header=BB10_1877 Depth=3
	s_or_b32 exec_lo, exec_lo, s15
	v_and_b32_e32 v1, 0xffff0000, v119
	v_lshlrev_b32_e32 v31, 16, v21
	s_mov_b32 s15, exec_lo
                                        ; implicit-def: $vgpr118
	s_delay_alu instid0(VALU_DEP_1) | instskip(NEXT) | instid1(VALU_DEP_1)
	v_add_f32_e32 v1, v1, v31
	v_and_b32_e32 v31, 0x7f800000, v1
	s_delay_alu instid0(VALU_DEP_1)
	v_cmpx_ne_u32_e32 0x7f800000, v31
	s_xor_b32 s15, exec_lo, s15
; %bb.2014:                             ;   in Loop: Header=BB10_1877 Depth=3
	v_bfe_u32 v31, v1, 16, 1
	s_delay_alu instid0(VALU_DEP_1)
	v_add3_u32 v118, v1, v31, 0x7fff
                                        ; implicit-def: $vgpr1
; %bb.2015:                             ;   in Loop: Header=BB10_1877 Depth=3
	s_and_not1_saveexec_b32 s15, s15
; %bb.2016:                             ;   in Loop: Header=BB10_1877 Depth=3
	v_and_b32_e32 v31, 0xffff, v1
	v_or_b32_e32 v54, 0x10000, v1
	s_delay_alu instid0(VALU_DEP_2) | instskip(NEXT) | instid1(VALU_DEP_2)
	v_cmp_eq_u32_e32 vcc_lo, 0, v31
	v_cndmask_b32_e32 v118, v54, v1, vcc_lo
; %bb.2017:                             ;   in Loop: Header=BB10_1877 Depth=3
	s_or_b32 exec_lo, exec_lo, s15
	v_and_b32_e32 v1, 0xffff0000, v21
	v_and_b32_e32 v21, 0xffff0000, v64
	s_delay_alu instid0(VALU_DEP_1) | instskip(NEXT) | instid1(VALU_DEP_1)
	v_add_f32_e32 v1, v21, v1
	v_and_b32_e32 v21, 0x7f800000, v1
	s_delay_alu instid0(VALU_DEP_1) | instskip(SKIP_1) | instid1(SALU_CYCLE_1)
	v_cmp_ne_u32_e32 vcc_lo, 0x7f800000, v21
                                        ; implicit-def: $vgpr21
	s_and_saveexec_b32 s15, vcc_lo
	s_xor_b32 s15, exec_lo, s15
; %bb.2018:                             ;   in Loop: Header=BB10_1877 Depth=3
	v_bfe_u32 v21, v1, 16, 1
	s_delay_alu instid0(VALU_DEP_1)
	v_add3_u32 v21, v1, v21, 0x7fff
                                        ; implicit-def: $vgpr1
; %bb.2019:                             ;   in Loop: Header=BB10_1877 Depth=3
	s_and_not1_saveexec_b32 s15, s15
; %bb.2020:                             ;   in Loop: Header=BB10_1877 Depth=3
	v_and_b32_e32 v21, 0xffff, v1
	v_or_b32_e32 v31, 0x10000, v1
	s_delay_alu instid0(VALU_DEP_2) | instskip(NEXT) | instid1(VALU_DEP_2)
	v_cmp_eq_u32_e32 vcc_lo, 0, v21
	v_cndmask_b32_e32 v21, v31, v1, vcc_lo
; %bb.2021:                             ;   in Loop: Header=BB10_1877 Depth=3
	s_or_b32 exec_lo, exec_lo, s15
	v_and_b32_e32 v1, 0xffff0000, v65
	v_lshlrev_b32_e32 v31, 16, v22
	s_mov_b32 s15, exec_lo
                                        ; implicit-def: $vgpr64
	s_delay_alu instid0(VALU_DEP_1) | instskip(NEXT) | instid1(VALU_DEP_1)
	v_add_f32_e32 v1, v1, v31
	v_and_b32_e32 v31, 0x7f800000, v1
	s_delay_alu instid0(VALU_DEP_1)
	v_cmpx_ne_u32_e32 0x7f800000, v31
	s_xor_b32 s15, exec_lo, s15
; %bb.2022:                             ;   in Loop: Header=BB10_1877 Depth=3
	v_bfe_u32 v31, v1, 16, 1
	s_delay_alu instid0(VALU_DEP_1)
	v_add3_u32 v64, v1, v31, 0x7fff
                                        ; implicit-def: $vgpr1
; %bb.2023:                             ;   in Loop: Header=BB10_1877 Depth=3
	s_and_not1_saveexec_b32 s15, s15
; %bb.2024:                             ;   in Loop: Header=BB10_1877 Depth=3
	v_and_b32_e32 v31, 0xffff, v1
	v_or_b32_e32 v54, 0x10000, v1
	s_delay_alu instid0(VALU_DEP_2) | instskip(NEXT) | instid1(VALU_DEP_2)
	v_cmp_eq_u32_e32 vcc_lo, 0, v31
	v_cndmask_b32_e32 v64, v54, v1, vcc_lo
; %bb.2025:                             ;   in Loop: Header=BB10_1877 Depth=3
	s_or_b32 exec_lo, exec_lo, s15
	v_and_b32_e32 v1, 0xffff0000, v22
	v_and_b32_e32 v4, 0xffff0000, v4
	s_delay_alu instid0(VALU_DEP_1) | instskip(NEXT) | instid1(VALU_DEP_1)
	v_add_f32_e32 v1, v4, v1
	v_and_b32_e32 v4, 0x7f800000, v1
	s_delay_alu instid0(VALU_DEP_1) | instskip(SKIP_1) | instid1(SALU_CYCLE_1)
	v_cmp_ne_u32_e32 vcc_lo, 0x7f800000, v4
                                        ; implicit-def: $vgpr4
	s_and_saveexec_b32 s15, vcc_lo
	s_xor_b32 s15, exec_lo, s15
; %bb.2026:                             ;   in Loop: Header=BB10_1877 Depth=3
	v_bfe_u32 v4, v1, 16, 1
	s_delay_alu instid0(VALU_DEP_1)
	v_add3_u32 v4, v1, v4, 0x7fff
                                        ; implicit-def: $vgpr1
; %bb.2027:                             ;   in Loop: Header=BB10_1877 Depth=3
	s_and_not1_saveexec_b32 s15, s15
; %bb.2028:                             ;   in Loop: Header=BB10_1877 Depth=3
	v_and_b32_e32 v4, 0xffff, v1
	v_or_b32_e32 v22, 0x10000, v1
	s_delay_alu instid0(VALU_DEP_2) | instskip(NEXT) | instid1(VALU_DEP_2)
	v_cmp_eq_u32_e32 vcc_lo, 0, v4
	v_cndmask_b32_e32 v4, v22, v1, vcc_lo
; %bb.2029:                             ;   in Loop: Header=BB10_1877 Depth=3
	s_or_b32 exec_lo, exec_lo, s15
	v_and_b32_e32 v1, 0xffff0000, v5
	v_lshlrev_b32_e32 v5, 16, v23
	s_delay_alu instid0(VALU_DEP_1) | instskip(NEXT) | instid1(VALU_DEP_1)
	v_add_f32_e32 v1, v1, v5
	v_and_b32_e32 v5, 0x7f800000, v1
	s_delay_alu instid0(VALU_DEP_1) | instskip(SKIP_1) | instid1(SALU_CYCLE_1)
	v_cmp_ne_u32_e32 vcc_lo, 0x7f800000, v5
                                        ; implicit-def: $vgpr5
	s_and_saveexec_b32 s15, vcc_lo
	s_xor_b32 s15, exec_lo, s15
; %bb.2030:                             ;   in Loop: Header=BB10_1877 Depth=3
	v_bfe_u32 v5, v1, 16, 1
	s_delay_alu instid0(VALU_DEP_1)
	v_add3_u32 v5, v1, v5, 0x7fff
                                        ; implicit-def: $vgpr1
; %bb.2031:                             ;   in Loop: Header=BB10_1877 Depth=3
	s_and_not1_saveexec_b32 s15, s15
; %bb.2032:                             ;   in Loop: Header=BB10_1877 Depth=3
	v_and_b32_e32 v5, 0xffff, v1
	v_or_b32_e32 v22, 0x10000, v1
	s_delay_alu instid0(VALU_DEP_2) | instskip(NEXT) | instid1(VALU_DEP_2)
	v_cmp_eq_u32_e32 vcc_lo, 0, v5
	v_cndmask_b32_e32 v5, v22, v1, vcc_lo
; %bb.2033:                             ;   in Loop: Header=BB10_1877 Depth=3
	s_or_b32 exec_lo, exec_lo, s15
	v_and_b32_e32 v1, 0xffff0000, v23
	v_and_b32_e32 v22, 0xffff0000, v66
	s_delay_alu instid0(VALU_DEP_1) | instskip(NEXT) | instid1(VALU_DEP_1)
	v_add_f32_e32 v1, v22, v1
	v_and_b32_e32 v22, 0x7f800000, v1
	s_delay_alu instid0(VALU_DEP_1) | instskip(SKIP_1) | instid1(SALU_CYCLE_1)
	v_cmp_ne_u32_e32 vcc_lo, 0x7f800000, v22
                                        ; implicit-def: $vgpr22
	s_and_saveexec_b32 s15, vcc_lo
	s_xor_b32 s15, exec_lo, s15
; %bb.2034:                             ;   in Loop: Header=BB10_1877 Depth=3
	v_bfe_u32 v22, v1, 16, 1
	s_delay_alu instid0(VALU_DEP_1)
	v_add3_u32 v22, v1, v22, 0x7fff
                                        ; implicit-def: $vgpr1
; %bb.2035:                             ;   in Loop: Header=BB10_1877 Depth=3
	s_and_not1_saveexec_b32 s15, s15
; %bb.2036:                             ;   in Loop: Header=BB10_1877 Depth=3
	v_and_b32_e32 v22, 0xffff, v1
	v_or_b32_e32 v23, 0x10000, v1
	s_delay_alu instid0(VALU_DEP_2) | instskip(NEXT) | instid1(VALU_DEP_2)
	v_cmp_eq_u32_e32 vcc_lo, 0, v22
	v_cndmask_b32_e32 v22, v23, v1, vcc_lo
; %bb.2037:                             ;   in Loop: Header=BB10_1877 Depth=3
	s_or_b32 exec_lo, exec_lo, s15
	v_and_b32_e32 v1, 0xffff0000, v67
	s_wait_loadcnt 0x2
	v_lshlrev_b32_e32 v23, 16, v16
	s_delay_alu instid0(VALU_DEP_1) | instskip(NEXT) | instid1(VALU_DEP_1)
	v_add_f32_e32 v1, v1, v23
	v_and_b32_e32 v23, 0x7f800000, v1
	s_delay_alu instid0(VALU_DEP_1) | instskip(SKIP_1) | instid1(SALU_CYCLE_1)
	v_cmp_ne_u32_e32 vcc_lo, 0x7f800000, v23
                                        ; implicit-def: $vgpr23
	s_and_saveexec_b32 s15, vcc_lo
	s_xor_b32 s15, exec_lo, s15
; %bb.2038:                             ;   in Loop: Header=BB10_1877 Depth=3
	v_bfe_u32 v23, v1, 16, 1
	s_delay_alu instid0(VALU_DEP_1)
	v_add3_u32 v23, v1, v23, 0x7fff
                                        ; implicit-def: $vgpr1
; %bb.2039:                             ;   in Loop: Header=BB10_1877 Depth=3
	s_and_not1_saveexec_b32 s15, s15
; %bb.2040:                             ;   in Loop: Header=BB10_1877 Depth=3
	v_and_b32_e32 v23, 0xffff, v1
	v_or_b32_e32 v31, 0x10000, v1
	s_delay_alu instid0(VALU_DEP_2) | instskip(NEXT) | instid1(VALU_DEP_2)
	v_cmp_eq_u32_e32 vcc_lo, 0, v23
	v_cndmask_b32_e32 v23, v31, v1, vcc_lo
; %bb.2041:                             ;   in Loop: Header=BB10_1877 Depth=3
	s_or_b32 exec_lo, exec_lo, s15
	v_and_b32_e32 v1, 0xffff0000, v16
	v_and_b32_e32 v16, 0xffff0000, v24
	s_delay_alu instid0(VALU_DEP_1) | instskip(NEXT) | instid1(VALU_DEP_1)
	v_add_f32_e32 v1, v16, v1
	v_and_b32_e32 v16, 0x7f800000, v1
	s_delay_alu instid0(VALU_DEP_1) | instskip(SKIP_1) | instid1(SALU_CYCLE_1)
	v_cmp_ne_u32_e32 vcc_lo, 0x7f800000, v16
                                        ; implicit-def: $vgpr16
	s_and_saveexec_b32 s15, vcc_lo
	s_xor_b32 s15, exec_lo, s15
; %bb.2042:                             ;   in Loop: Header=BB10_1877 Depth=3
	v_bfe_u32 v16, v1, 16, 1
	s_delay_alu instid0(VALU_DEP_1)
	v_add3_u32 v16, v1, v16, 0x7fff
                                        ; implicit-def: $vgpr1
; %bb.2043:                             ;   in Loop: Header=BB10_1877 Depth=3
	s_and_not1_saveexec_b32 s15, s15
; %bb.2044:                             ;   in Loop: Header=BB10_1877 Depth=3
	v_and_b32_e32 v16, 0xffff, v1
	v_or_b32_e32 v24, 0x10000, v1
	s_delay_alu instid0(VALU_DEP_2) | instskip(NEXT) | instid1(VALU_DEP_2)
	v_cmp_eq_u32_e32 vcc_lo, 0, v16
	v_cndmask_b32_e32 v16, v24, v1, vcc_lo
; %bb.2045:                             ;   in Loop: Header=BB10_1877 Depth=3
	s_or_b32 exec_lo, exec_lo, s15
	v_and_b32_e32 v1, 0xffff0000, v25
	v_lshlrev_b32_e32 v24, 16, v17
	s_delay_alu instid0(VALU_DEP_1) | instskip(NEXT) | instid1(VALU_DEP_1)
	v_add_f32_e32 v1, v1, v24
	v_and_b32_e32 v24, 0x7f800000, v1
	s_delay_alu instid0(VALU_DEP_1) | instskip(SKIP_1) | instid1(SALU_CYCLE_1)
	v_cmp_ne_u32_e32 vcc_lo, 0x7f800000, v24
                                        ; implicit-def: $vgpr24
	s_and_saveexec_b32 s15, vcc_lo
	s_xor_b32 s15, exec_lo, s15
; %bb.2046:                             ;   in Loop: Header=BB10_1877 Depth=3
	v_bfe_u32 v24, v1, 16, 1
	s_delay_alu instid0(VALU_DEP_1)
	v_add3_u32 v24, v1, v24, 0x7fff
                                        ; implicit-def: $vgpr1
; %bb.2047:                             ;   in Loop: Header=BB10_1877 Depth=3
	s_and_not1_saveexec_b32 s15, s15
; %bb.2048:                             ;   in Loop: Header=BB10_1877 Depth=3
	v_and_b32_e32 v24, 0xffff, v1
	v_or_b32_e32 v25, 0x10000, v1
	s_delay_alu instid0(VALU_DEP_2) | instskip(NEXT) | instid1(VALU_DEP_2)
	v_cmp_eq_u32_e32 vcc_lo, 0, v24
	v_cndmask_b32_e32 v24, v25, v1, vcc_lo
; %bb.2049:                             ;   in Loop: Header=BB10_1877 Depth=3
	s_or_b32 exec_lo, exec_lo, s15
	v_and_b32_e32 v1, 0xffff0000, v17
	v_and_b32_e32 v17, 0xffff0000, v28
	s_delay_alu instid0(VALU_DEP_1) | instskip(NEXT) | instid1(VALU_DEP_1)
	v_add_f32_e32 v1, v17, v1
	v_and_b32_e32 v17, 0x7f800000, v1
	s_delay_alu instid0(VALU_DEP_1) | instskip(SKIP_1) | instid1(SALU_CYCLE_1)
	v_cmp_ne_u32_e32 vcc_lo, 0x7f800000, v17
                                        ; implicit-def: $vgpr17
	s_and_saveexec_b32 s15, vcc_lo
	s_xor_b32 s15, exec_lo, s15
; %bb.2050:                             ;   in Loop: Header=BB10_1877 Depth=3
	v_bfe_u32 v17, v1, 16, 1
	s_delay_alu instid0(VALU_DEP_1)
	v_add3_u32 v17, v1, v17, 0x7fff
                                        ; implicit-def: $vgpr1
; %bb.2051:                             ;   in Loop: Header=BB10_1877 Depth=3
	s_and_not1_saveexec_b32 s15, s15
; %bb.2052:                             ;   in Loop: Header=BB10_1877 Depth=3
	v_and_b32_e32 v17, 0xffff, v1
	v_or_b32_e32 v25, 0x10000, v1
	s_delay_alu instid0(VALU_DEP_2) | instskip(NEXT) | instid1(VALU_DEP_2)
	v_cmp_eq_u32_e32 vcc_lo, 0, v17
	v_cndmask_b32_e32 v17, v25, v1, vcc_lo
; %bb.2053:                             ;   in Loop: Header=BB10_1877 Depth=3
	s_or_b32 exec_lo, exec_lo, s15
	v_and_b32_e32 v1, 0xffff0000, v29
	v_lshlrev_b32_e32 v25, 16, v18
	s_delay_alu instid0(VALU_DEP_1) | instskip(NEXT) | instid1(VALU_DEP_1)
	v_add_f32_e32 v1, v1, v25
	v_and_b32_e32 v25, 0x7f800000, v1
	s_delay_alu instid0(VALU_DEP_1) | instskip(SKIP_1) | instid1(SALU_CYCLE_1)
	v_cmp_ne_u32_e32 vcc_lo, 0x7f800000, v25
                                        ; implicit-def: $vgpr25
	s_and_saveexec_b32 s15, vcc_lo
	s_xor_b32 s15, exec_lo, s15
; %bb.2054:                             ;   in Loop: Header=BB10_1877 Depth=3
	v_bfe_u32 v25, v1, 16, 1
	s_delay_alu instid0(VALU_DEP_1)
	v_add3_u32 v25, v1, v25, 0x7fff
                                        ; implicit-def: $vgpr1
; %bb.2055:                             ;   in Loop: Header=BB10_1877 Depth=3
	s_and_not1_saveexec_b32 s15, s15
; %bb.2056:                             ;   in Loop: Header=BB10_1877 Depth=3
	v_and_b32_e32 v25, 0xffff, v1
	v_or_b32_e32 v28, 0x10000, v1
	s_delay_alu instid0(VALU_DEP_2) | instskip(NEXT) | instid1(VALU_DEP_2)
	v_cmp_eq_u32_e32 vcc_lo, 0, v25
	v_cndmask_b32_e32 v25, v28, v1, vcc_lo
; %bb.2057:                             ;   in Loop: Header=BB10_1877 Depth=3
	s_or_b32 exec_lo, exec_lo, s15
	v_and_b32_e32 v1, 0xffff0000, v18
	v_and_b32_e32 v18, 0xffff0000, v123
	s_delay_alu instid0(VALU_DEP_1) | instskip(NEXT) | instid1(VALU_DEP_1)
	v_add_f32_e32 v1, v18, v1
	v_and_b32_e32 v18, 0x7f800000, v1
	s_delay_alu instid0(VALU_DEP_1) | instskip(SKIP_1) | instid1(SALU_CYCLE_1)
	v_cmp_ne_u32_e32 vcc_lo, 0x7f800000, v18
                                        ; implicit-def: $vgpr18
	s_and_saveexec_b32 s15, vcc_lo
	s_xor_b32 s15, exec_lo, s15
; %bb.2058:                             ;   in Loop: Header=BB10_1877 Depth=3
	v_bfe_u32 v18, v1, 16, 1
	s_delay_alu instid0(VALU_DEP_1)
	v_add3_u32 v18, v1, v18, 0x7fff
                                        ; implicit-def: $vgpr1
; %bb.2059:                             ;   in Loop: Header=BB10_1877 Depth=3
	s_and_not1_saveexec_b32 s15, s15
; %bb.2060:                             ;   in Loop: Header=BB10_1877 Depth=3
	v_and_b32_e32 v18, 0xffff, v1
	v_or_b32_e32 v28, 0x10000, v1
	s_delay_alu instid0(VALU_DEP_2) | instskip(NEXT) | instid1(VALU_DEP_2)
	v_cmp_eq_u32_e32 vcc_lo, 0, v18
	v_cndmask_b32_e32 v18, v28, v1, vcc_lo
; %bb.2061:                             ;   in Loop: Header=BB10_1877 Depth=3
	s_or_b32 exec_lo, exec_lo, s15
	v_and_b32_e32 v1, 0xffff0000, v124
	v_lshlrev_b32_e32 v28, 16, v19
	s_delay_alu instid0(VALU_DEP_1) | instskip(NEXT) | instid1(VALU_DEP_1)
	v_add_f32_e32 v1, v1, v28
	v_and_b32_e32 v28, 0x7f800000, v1
	s_delay_alu instid0(VALU_DEP_1) | instskip(SKIP_1) | instid1(SALU_CYCLE_1)
	v_cmp_ne_u32_e32 vcc_lo, 0x7f800000, v28
                                        ; implicit-def: $vgpr28
	s_and_saveexec_b32 s15, vcc_lo
	s_xor_b32 s15, exec_lo, s15
; %bb.2062:                             ;   in Loop: Header=BB10_1877 Depth=3
	v_bfe_u32 v28, v1, 16, 1
	s_delay_alu instid0(VALU_DEP_1)
	v_add3_u32 v28, v1, v28, 0x7fff
                                        ; implicit-def: $vgpr1
; %bb.2063:                             ;   in Loop: Header=BB10_1877 Depth=3
	s_and_not1_saveexec_b32 s15, s15
; %bb.2064:                             ;   in Loop: Header=BB10_1877 Depth=3
	v_and_b32_e32 v28, 0xffff, v1
	v_or_b32_e32 v29, 0x10000, v1
	s_delay_alu instid0(VALU_DEP_2) | instskip(NEXT) | instid1(VALU_DEP_2)
	v_cmp_eq_u32_e32 vcc_lo, 0, v28
	v_cndmask_b32_e32 v28, v29, v1, vcc_lo
; %bb.2065:                             ;   in Loop: Header=BB10_1877 Depth=3
	s_or_b32 exec_lo, exec_lo, s15
	v_and_b32_e32 v1, 0xffff0000, v19
	v_and_b32_e32 v19, 0xffff0000, v121
	s_delay_alu instid0(VALU_DEP_1) | instskip(NEXT) | instid1(VALU_DEP_1)
	v_add_f32_e32 v1, v19, v1
	v_and_b32_e32 v19, 0x7f800000, v1
	s_delay_alu instid0(VALU_DEP_1) | instskip(SKIP_1) | instid1(SALU_CYCLE_1)
	v_cmp_ne_u32_e32 vcc_lo, 0x7f800000, v19
                                        ; implicit-def: $vgpr19
	s_and_saveexec_b32 s15, vcc_lo
	s_xor_b32 s15, exec_lo, s15
; %bb.2066:                             ;   in Loop: Header=BB10_1877 Depth=3
	v_bfe_u32 v19, v1, 16, 1
	s_delay_alu instid0(VALU_DEP_1)
	v_add3_u32 v19, v1, v19, 0x7fff
                                        ; implicit-def: $vgpr1
; %bb.2067:                             ;   in Loop: Header=BB10_1877 Depth=3
	s_and_not1_saveexec_b32 s15, s15
; %bb.2068:                             ;   in Loop: Header=BB10_1877 Depth=3
	v_and_b32_e32 v19, 0xffff, v1
	v_or_b32_e32 v29, 0x10000, v1
	s_delay_alu instid0(VALU_DEP_2) | instskip(NEXT) | instid1(VALU_DEP_2)
	v_cmp_eq_u32_e32 vcc_lo, 0, v19
	v_cndmask_b32_e32 v19, v29, v1, vcc_lo
; %bb.2069:                             ;   in Loop: Header=BB10_1877 Depth=3
	s_or_b32 exec_lo, exec_lo, s15
	v_and_b32_e32 v1, 0xffff0000, v122
	s_wait_loadcnt 0x1
	v_lshlrev_b32_e32 v29, 16, v12
	s_delay_alu instid0(VALU_DEP_1) | instskip(NEXT) | instid1(VALU_DEP_1)
	v_add_f32_e32 v1, v1, v29
	v_and_b32_e32 v29, 0x7f800000, v1
	s_delay_alu instid0(VALU_DEP_1) | instskip(SKIP_1) | instid1(SALU_CYCLE_1)
	v_cmp_ne_u32_e32 vcc_lo, 0x7f800000, v29
                                        ; implicit-def: $vgpr29
	s_and_saveexec_b32 s15, vcc_lo
	s_xor_b32 s15, exec_lo, s15
; %bb.2070:                             ;   in Loop: Header=BB10_1877 Depth=3
	v_bfe_u32 v29, v1, 16, 1
	s_delay_alu instid0(VALU_DEP_1)
	v_add3_u32 v29, v1, v29, 0x7fff
                                        ; implicit-def: $vgpr1
; %bb.2071:                             ;   in Loop: Header=BB10_1877 Depth=3
	s_and_not1_saveexec_b32 s15, s15
; %bb.2072:                             ;   in Loop: Header=BB10_1877 Depth=3
	v_and_b32_e32 v29, 0xffff, v1
	v_or_b32_e32 v31, 0x10000, v1
	s_delay_alu instid0(VALU_DEP_2) | instskip(NEXT) | instid1(VALU_DEP_2)
	v_cmp_eq_u32_e32 vcc_lo, 0, v29
	v_cndmask_b32_e32 v29, v31, v1, vcc_lo
; %bb.2073:                             ;   in Loop: Header=BB10_1877 Depth=3
	s_or_b32 exec_lo, exec_lo, s15
	v_and_b32_e32 v1, 0xffff0000, v12
	v_and_b32_e32 v12, 0xffff0000, v111
	s_delay_alu instid0(VALU_DEP_1) | instskip(NEXT) | instid1(VALU_DEP_1)
	v_add_f32_e32 v1, v12, v1
	v_and_b32_e32 v12, 0x7f800000, v1
	s_delay_alu instid0(VALU_DEP_1) | instskip(SKIP_1) | instid1(SALU_CYCLE_1)
	v_cmp_ne_u32_e32 vcc_lo, 0x7f800000, v12
                                        ; implicit-def: $vgpr12
	s_and_saveexec_b32 s15, vcc_lo
	s_xor_b32 s15, exec_lo, s15
; %bb.2074:                             ;   in Loop: Header=BB10_1877 Depth=3
	v_bfe_u32 v12, v1, 16, 1
	s_delay_alu instid0(VALU_DEP_1)
	v_add3_u32 v12, v1, v12, 0x7fff
                                        ; implicit-def: $vgpr1
; %bb.2075:                             ;   in Loop: Header=BB10_1877 Depth=3
	s_and_not1_saveexec_b32 s15, s15
; %bb.2076:                             ;   in Loop: Header=BB10_1877 Depth=3
	v_and_b32_e32 v12, 0xffff, v1
	v_or_b32_e32 v31, 0x10000, v1
	s_delay_alu instid0(VALU_DEP_2) | instskip(NEXT) | instid1(VALU_DEP_2)
	v_cmp_eq_u32_e32 vcc_lo, 0, v12
	v_cndmask_b32_e32 v12, v31, v1, vcc_lo
; %bb.2077:                             ;   in Loop: Header=BB10_1877 Depth=3
	s_or_b32 exec_lo, exec_lo, s15
	v_and_b32_e32 v1, 0xffff0000, v120
	v_lshlrev_b32_e32 v31, 16, v13
	s_delay_alu instid0(VALU_DEP_1) | instskip(NEXT) | instid1(VALU_DEP_1)
	v_add_f32_e32 v31, v1, v31
	v_and_b32_e32 v1, 0x7f800000, v31
	s_delay_alu instid0(VALU_DEP_1) | instskip(SKIP_1) | instid1(SALU_CYCLE_1)
	v_cmp_ne_u32_e32 vcc_lo, 0x7f800000, v1
                                        ; implicit-def: $vgpr1
	s_and_saveexec_b32 s15, vcc_lo
	s_xor_b32 s15, exec_lo, s15
; %bb.2078:                             ;   in Loop: Header=BB10_1877 Depth=3
	v_bfe_u32 v1, v31, 16, 1
	s_delay_alu instid0(VALU_DEP_1)
	v_add3_u32 v1, v31, v1, 0x7fff
                                        ; implicit-def: $vgpr31
; %bb.2079:                             ;   in Loop: Header=BB10_1877 Depth=3
	s_and_not1_saveexec_b32 s15, s15
; %bb.2080:                             ;   in Loop: Header=BB10_1877 Depth=3
	v_and_b32_e32 v1, 0xffff, v31
	v_or_b32_e32 v54, 0x10000, v31
	s_delay_alu instid0(VALU_DEP_2) | instskip(NEXT) | instid1(VALU_DEP_2)
	v_cmp_eq_u32_e32 vcc_lo, 0, v1
	v_cndmask_b32_e32 v1, v54, v31, vcc_lo
; %bb.2081:                             ;   in Loop: Header=BB10_1877 Depth=3
	s_or_b32 exec_lo, exec_lo, s15
	v_and_b32_e32 v13, 0xffff0000, v13
	v_and_b32_e32 v26, 0xffff0000, v26
	s_delay_alu instid0(VALU_DEP_1) | instskip(NEXT) | instid1(VALU_DEP_1)
	v_add_f32_e32 v26, v26, v13
	v_and_b32_e32 v13, 0x7f800000, v26
	s_delay_alu instid0(VALU_DEP_1) | instskip(SKIP_1) | instid1(SALU_CYCLE_1)
	v_cmp_ne_u32_e32 vcc_lo, 0x7f800000, v13
                                        ; implicit-def: $vgpr13
	s_and_saveexec_b32 s15, vcc_lo
	s_xor_b32 s15, exec_lo, s15
; %bb.2082:                             ;   in Loop: Header=BB10_1877 Depth=3
	v_bfe_u32 v13, v26, 16, 1
	s_delay_alu instid0(VALU_DEP_1)
	v_add3_u32 v13, v26, v13, 0x7fff
                                        ; implicit-def: $vgpr26
; %bb.2083:                             ;   in Loop: Header=BB10_1877 Depth=3
	s_and_not1_saveexec_b32 s15, s15
; %bb.2084:                             ;   in Loop: Header=BB10_1877 Depth=3
	v_and_b32_e32 v13, 0xffff, v26
	v_or_b32_e32 v31, 0x10000, v26
	s_delay_alu instid0(VALU_DEP_2) | instskip(NEXT) | instid1(VALU_DEP_2)
	v_cmp_eq_u32_e32 vcc_lo, 0, v13
	v_cndmask_b32_e32 v13, v31, v26, vcc_lo
; %bb.2085:                             ;   in Loop: Header=BB10_1877 Depth=3
	s_or_b32 exec_lo, exec_lo, s15
	v_and_b32_e32 v26, 0xffff0000, v27
	v_lshlrev_b32_e32 v27, 16, v14
	s_delay_alu instid0(VALU_DEP_1) | instskip(NEXT) | instid1(VALU_DEP_1)
	v_add_f32_e32 v27, v26, v27
	v_and_b32_e32 v26, 0x7f800000, v27
	s_delay_alu instid0(VALU_DEP_1) | instskip(SKIP_1) | instid1(SALU_CYCLE_1)
	v_cmp_ne_u32_e32 vcc_lo, 0x7f800000, v26
                                        ; implicit-def: $vgpr26
	s_and_saveexec_b32 s15, vcc_lo
	s_xor_b32 s15, exec_lo, s15
; %bb.2086:                             ;   in Loop: Header=BB10_1877 Depth=3
	v_bfe_u32 v26, v27, 16, 1
	s_delay_alu instid0(VALU_DEP_1)
	v_add3_u32 v26, v27, v26, 0x7fff
                                        ; implicit-def: $vgpr27
; %bb.2087:                             ;   in Loop: Header=BB10_1877 Depth=3
	s_and_not1_saveexec_b32 s15, s15
; %bb.2088:                             ;   in Loop: Header=BB10_1877 Depth=3
	v_and_b32_e32 v26, 0xffff, v27
	v_or_b32_e32 v31, 0x10000, v27
	s_delay_alu instid0(VALU_DEP_2) | instskip(NEXT) | instid1(VALU_DEP_2)
	v_cmp_eq_u32_e32 vcc_lo, 0, v26
	v_cndmask_b32_e32 v26, v31, v27, vcc_lo
; %bb.2089:                             ;   in Loop: Header=BB10_1877 Depth=3
	s_or_b32 exec_lo, exec_lo, s15
	v_and_b32_e32 v14, 0xffff0000, v14
	v_and_b32_e32 v27, 0xffff0000, v109
	s_delay_alu instid0(VALU_DEP_1) | instskip(NEXT) | instid1(VALU_DEP_1)
	v_add_f32_e32 v27, v27, v14
	v_and_b32_e32 v14, 0x7f800000, v27
	s_delay_alu instid0(VALU_DEP_1) | instskip(SKIP_1) | instid1(SALU_CYCLE_1)
	v_cmp_ne_u32_e32 vcc_lo, 0x7f800000, v14
                                        ; implicit-def: $vgpr14
	s_and_saveexec_b32 s15, vcc_lo
	s_xor_b32 s15, exec_lo, s15
; %bb.2090:                             ;   in Loop: Header=BB10_1877 Depth=3
	v_bfe_u32 v14, v27, 16, 1
	s_delay_alu instid0(VALU_DEP_1)
	v_add3_u32 v14, v27, v14, 0x7fff
                                        ; implicit-def: $vgpr27
; %bb.2091:                             ;   in Loop: Header=BB10_1877 Depth=3
	s_and_not1_saveexec_b32 s15, s15
; %bb.2092:                             ;   in Loop: Header=BB10_1877 Depth=3
	v_and_b32_e32 v14, 0xffff, v27
	v_or_b32_e32 v31, 0x10000, v27
	s_delay_alu instid0(VALU_DEP_2) | instskip(NEXT) | instid1(VALU_DEP_2)
	v_cmp_eq_u32_e32 vcc_lo, 0, v14
	v_cndmask_b32_e32 v14, v31, v27, vcc_lo
; %bb.2093:                             ;   in Loop: Header=BB10_1877 Depth=3
	s_or_b32 exec_lo, exec_lo, s15
	v_and_b32_e32 v27, 0xffff0000, v110
	v_lshlrev_b32_e32 v31, 16, v15
	s_delay_alu instid0(VALU_DEP_1) | instskip(NEXT) | instid1(VALU_DEP_1)
	v_add_f32_e32 v31, v27, v31
	v_and_b32_e32 v27, 0x7f800000, v31
	s_delay_alu instid0(VALU_DEP_1) | instskip(SKIP_1) | instid1(SALU_CYCLE_1)
	v_cmp_ne_u32_e32 vcc_lo, 0x7f800000, v27
                                        ; implicit-def: $vgpr27
	s_and_saveexec_b32 s15, vcc_lo
	s_xor_b32 s15, exec_lo, s15
; %bb.2094:                             ;   in Loop: Header=BB10_1877 Depth=3
	v_bfe_u32 v27, v31, 16, 1
	s_delay_alu instid0(VALU_DEP_1)
	v_add3_u32 v27, v31, v27, 0x7fff
                                        ; implicit-def: $vgpr31
; %bb.2095:                             ;   in Loop: Header=BB10_1877 Depth=3
	s_and_not1_saveexec_b32 s15, s15
; %bb.2096:                             ;   in Loop: Header=BB10_1877 Depth=3
	v_and_b32_e32 v27, 0xffff, v31
	v_or_b32_e32 v54, 0x10000, v31
	s_delay_alu instid0(VALU_DEP_2) | instskip(NEXT) | instid1(VALU_DEP_2)
	v_cmp_eq_u32_e32 vcc_lo, 0, v27
	v_cndmask_b32_e32 v27, v54, v31, vcc_lo
; %bb.2097:                             ;   in Loop: Header=BB10_1877 Depth=3
	s_or_b32 exec_lo, exec_lo, s15
	v_and_b32_e32 v15, 0xffff0000, v15
	v_and_b32_e32 v31, 0xffff0000, v107
	s_delay_alu instid0(VALU_DEP_1) | instskip(NEXT) | instid1(VALU_DEP_1)
	v_add_f32_e32 v31, v31, v15
	v_and_b32_e32 v15, 0x7f800000, v31
	s_delay_alu instid0(VALU_DEP_1) | instskip(SKIP_1) | instid1(SALU_CYCLE_1)
	v_cmp_ne_u32_e32 vcc_lo, 0x7f800000, v15
                                        ; implicit-def: $vgpr15
	s_and_saveexec_b32 s15, vcc_lo
	s_xor_b32 s15, exec_lo, s15
; %bb.2098:                             ;   in Loop: Header=BB10_1877 Depth=3
	v_bfe_u32 v15, v31, 16, 1
	s_delay_alu instid0(VALU_DEP_1)
	v_add3_u32 v15, v31, v15, 0x7fff
                                        ; implicit-def: $vgpr31
; %bb.2099:                             ;   in Loop: Header=BB10_1877 Depth=3
	s_and_not1_saveexec_b32 s15, s15
; %bb.2100:                             ;   in Loop: Header=BB10_1877 Depth=3
	v_and_b32_e32 v15, 0xffff, v31
	v_or_b32_e32 v54, 0x10000, v31
	s_delay_alu instid0(VALU_DEP_2) | instskip(NEXT) | instid1(VALU_DEP_2)
	v_cmp_eq_u32_e32 vcc_lo, 0, v15
	v_cndmask_b32_e32 v15, v54, v31, vcc_lo
; %bb.2101:                             ;   in Loop: Header=BB10_1877 Depth=3
	s_or_b32 exec_lo, exec_lo, s15
	v_and_b32_e32 v31, 0xffff0000, v108
	s_wait_loadcnt 0x0
	v_lshlrev_b32_e32 v54, 16, v8
	s_delay_alu instid0(VALU_DEP_1) | instskip(NEXT) | instid1(VALU_DEP_1)
	v_add_f32_e32 v54, v31, v54
	v_and_b32_e32 v31, 0x7f800000, v54
	s_delay_alu instid0(VALU_DEP_1) | instskip(SKIP_1) | instid1(SALU_CYCLE_1)
	v_cmp_ne_u32_e32 vcc_lo, 0x7f800000, v31
                                        ; implicit-def: $vgpr31
	s_and_saveexec_b32 s15, vcc_lo
	s_xor_b32 s15, exec_lo, s15
; %bb.2102:                             ;   in Loop: Header=BB10_1877 Depth=3
	v_bfe_u32 v31, v54, 16, 1
	s_delay_alu instid0(VALU_DEP_1)
	v_add3_u32 v31, v54, v31, 0x7fff
                                        ; implicit-def: $vgpr54
; %bb.2103:                             ;   in Loop: Header=BB10_1877 Depth=3
	s_and_not1_saveexec_b32 s15, s15
; %bb.2104:                             ;   in Loop: Header=BB10_1877 Depth=3
	v_and_b32_e32 v31, 0xffff, v54
	v_or_b32_e32 v55, 0x10000, v54
	s_delay_alu instid0(VALU_DEP_2) | instskip(NEXT) | instid1(VALU_DEP_2)
	v_cmp_eq_u32_e32 vcc_lo, 0, v31
	v_cndmask_b32_e32 v31, v55, v54, vcc_lo
; %bb.2105:                             ;   in Loop: Header=BB10_1877 Depth=3
	s_or_b32 exec_lo, exec_lo, s15
	v_and_b32_e32 v8, 0xffff0000, v8
	v_and_b32_e32 v54, 0xffff0000, v105
	s_delay_alu instid0(VALU_DEP_1) | instskip(NEXT) | instid1(VALU_DEP_1)
	v_add_f32_e32 v54, v54, v8
	v_and_b32_e32 v8, 0x7f800000, v54
	s_delay_alu instid0(VALU_DEP_1) | instskip(SKIP_1) | instid1(SALU_CYCLE_1)
	v_cmp_ne_u32_e32 vcc_lo, 0x7f800000, v8
                                        ; implicit-def: $vgpr8
	s_and_saveexec_b32 s15, vcc_lo
	s_xor_b32 s15, exec_lo, s15
; %bb.2106:                             ;   in Loop: Header=BB10_1877 Depth=3
	v_bfe_u32 v8, v54, 16, 1
	s_delay_alu instid0(VALU_DEP_1)
	v_add3_u32 v8, v54, v8, 0x7fff
                                        ; implicit-def: $vgpr54
; %bb.2107:                             ;   in Loop: Header=BB10_1877 Depth=3
	s_and_not1_saveexec_b32 s15, s15
; %bb.2108:                             ;   in Loop: Header=BB10_1877 Depth=3
	v_and_b32_e32 v8, 0xffff, v54
	v_or_b32_e32 v55, 0x10000, v54
	s_delay_alu instid0(VALU_DEP_2) | instskip(NEXT) | instid1(VALU_DEP_2)
	v_cmp_eq_u32_e32 vcc_lo, 0, v8
	v_cndmask_b32_e32 v8, v55, v54, vcc_lo
; %bb.2109:                             ;   in Loop: Header=BB10_1877 Depth=3
	s_or_b32 exec_lo, exec_lo, s15
	v_and_b32_e32 v54, 0xffff0000, v106
	v_lshlrev_b32_e32 v55, 16, v9
	s_delay_alu instid0(VALU_DEP_1) | instskip(NEXT) | instid1(VALU_DEP_1)
	v_add_f32_e32 v55, v54, v55
	v_and_b32_e32 v54, 0x7f800000, v55
	s_delay_alu instid0(VALU_DEP_1) | instskip(SKIP_1) | instid1(SALU_CYCLE_1)
	v_cmp_ne_u32_e32 vcc_lo, 0x7f800000, v54
                                        ; implicit-def: $vgpr54
	s_and_saveexec_b32 s15, vcc_lo
	s_xor_b32 s15, exec_lo, s15
; %bb.2110:                             ;   in Loop: Header=BB10_1877 Depth=3
	v_bfe_u32 v54, v55, 16, 1
	s_delay_alu instid0(VALU_DEP_1)
	v_add3_u32 v54, v55, v54, 0x7fff
                                        ; implicit-def: $vgpr55
; %bb.2111:                             ;   in Loop: Header=BB10_1877 Depth=3
	s_and_not1_saveexec_b32 s15, s15
; %bb.2112:                             ;   in Loop: Header=BB10_1877 Depth=3
	v_and_b32_e32 v54, 0xffff, v55
	v_or_b32_e32 v65, 0x10000, v55
	s_delay_alu instid0(VALU_DEP_2) | instskip(NEXT) | instid1(VALU_DEP_2)
	v_cmp_eq_u32_e32 vcc_lo, 0, v54
	v_cndmask_b32_e32 v54, v65, v55, vcc_lo
; %bb.2113:                             ;   in Loop: Header=BB10_1877 Depth=3
	s_or_b32 exec_lo, exec_lo, s15
	v_and_b32_e32 v9, 0xffff0000, v9
	v_and_b32_e32 v55, 0xffff0000, v95
	s_delay_alu instid0(VALU_DEP_1) | instskip(NEXT) | instid1(VALU_DEP_1)
	v_add_f32_e32 v55, v55, v9
	v_and_b32_e32 v9, 0x7f800000, v55
	s_delay_alu instid0(VALU_DEP_1) | instskip(SKIP_1) | instid1(SALU_CYCLE_1)
	v_cmp_ne_u32_e32 vcc_lo, 0x7f800000, v9
                                        ; implicit-def: $vgpr9
	s_and_saveexec_b32 s15, vcc_lo
	s_xor_b32 s15, exec_lo, s15
; %bb.2114:                             ;   in Loop: Header=BB10_1877 Depth=3
	v_bfe_u32 v9, v55, 16, 1
	s_delay_alu instid0(VALU_DEP_1)
	v_add3_u32 v9, v55, v9, 0x7fff
                                        ; implicit-def: $vgpr55
; %bb.2115:                             ;   in Loop: Header=BB10_1877 Depth=3
	s_and_not1_saveexec_b32 s15, s15
; %bb.2116:                             ;   in Loop: Header=BB10_1877 Depth=3
	v_and_b32_e32 v9, 0xffff, v55
	v_or_b32_e32 v65, 0x10000, v55
	s_delay_alu instid0(VALU_DEP_2) | instskip(NEXT) | instid1(VALU_DEP_2)
	v_cmp_eq_u32_e32 vcc_lo, 0, v9
	v_cndmask_b32_e32 v9, v65, v55, vcc_lo
; %bb.2117:                             ;   in Loop: Header=BB10_1877 Depth=3
	s_or_b32 exec_lo, exec_lo, s15
	v_and_b32_e32 v55, 0xffff0000, v104
	v_lshlrev_b32_e32 v65, 16, v10
	s_delay_alu instid0(VALU_DEP_1) | instskip(NEXT) | instid1(VALU_DEP_1)
	v_add_f32_e32 v65, v55, v65
	v_and_b32_e32 v55, 0x7f800000, v65
	s_delay_alu instid0(VALU_DEP_1) | instskip(SKIP_1) | instid1(SALU_CYCLE_1)
	v_cmp_ne_u32_e32 vcc_lo, 0x7f800000, v55
                                        ; implicit-def: $vgpr55
	s_and_saveexec_b32 s15, vcc_lo
	s_xor_b32 s15, exec_lo, s15
; %bb.2118:                             ;   in Loop: Header=BB10_1877 Depth=3
	v_bfe_u32 v55, v65, 16, 1
	s_delay_alu instid0(VALU_DEP_1)
	v_add3_u32 v55, v65, v55, 0x7fff
                                        ; implicit-def: $vgpr65
; %bb.2119:                             ;   in Loop: Header=BB10_1877 Depth=3
	s_and_not1_saveexec_b32 s15, s15
; %bb.2120:                             ;   in Loop: Header=BB10_1877 Depth=3
	v_and_b32_e32 v55, 0xffff, v65
	v_or_b32_e32 v66, 0x10000, v65
	s_delay_alu instid0(VALU_DEP_2) | instskip(NEXT) | instid1(VALU_DEP_2)
	v_cmp_eq_u32_e32 vcc_lo, 0, v55
	v_cndmask_b32_e32 v55, v66, v65, vcc_lo
; %bb.2121:                             ;   in Loop: Header=BB10_1877 Depth=3
	s_or_b32 exec_lo, exec_lo, s15
	v_and_b32_e32 v10, 0xffff0000, v10
	v_and_b32_e32 v65, 0xffff0000, v93
	s_delay_alu instid0(VALU_DEP_1) | instskip(NEXT) | instid1(VALU_DEP_1)
	v_add_f32_e32 v65, v65, v10
	v_and_b32_e32 v10, 0x7f800000, v65
	s_delay_alu instid0(VALU_DEP_1) | instskip(SKIP_1) | instid1(SALU_CYCLE_1)
	v_cmp_ne_u32_e32 vcc_lo, 0x7f800000, v10
                                        ; implicit-def: $vgpr10
	s_and_saveexec_b32 s15, vcc_lo
	s_xor_b32 s15, exec_lo, s15
; %bb.2122:                             ;   in Loop: Header=BB10_1877 Depth=3
	v_bfe_u32 v10, v65, 16, 1
	s_delay_alu instid0(VALU_DEP_1)
	v_add3_u32 v10, v65, v10, 0x7fff
                                        ; implicit-def: $vgpr65
; %bb.2123:                             ;   in Loop: Header=BB10_1877 Depth=3
	s_and_not1_saveexec_b32 s15, s15
; %bb.2124:                             ;   in Loop: Header=BB10_1877 Depth=3
	v_and_b32_e32 v10, 0xffff, v65
	v_or_b32_e32 v66, 0x10000, v65
	s_delay_alu instid0(VALU_DEP_2) | instskip(NEXT) | instid1(VALU_DEP_2)
	v_cmp_eq_u32_e32 vcc_lo, 0, v10
	v_cndmask_b32_e32 v10, v66, v65, vcc_lo
; %bb.2125:                             ;   in Loop: Header=BB10_1877 Depth=3
	s_or_b32 exec_lo, exec_lo, s15
	v_and_b32_e32 v65, 0xffff0000, v94
	v_lshlrev_b32_e32 v66, 16, v11
	s_delay_alu instid0(VALU_DEP_1) | instskip(NEXT) | instid1(VALU_DEP_1)
	v_add_f32_e32 v66, v65, v66
	v_and_b32_e32 v65, 0x7f800000, v66
	s_delay_alu instid0(VALU_DEP_1) | instskip(SKIP_1) | instid1(SALU_CYCLE_1)
	v_cmp_ne_u32_e32 vcc_lo, 0x7f800000, v65
                                        ; implicit-def: $vgpr65
	s_and_saveexec_b32 s15, vcc_lo
	s_xor_b32 s15, exec_lo, s15
; %bb.2126:                             ;   in Loop: Header=BB10_1877 Depth=3
	v_bfe_u32 v65, v66, 16, 1
	s_delay_alu instid0(VALU_DEP_1)
	v_add3_u32 v65, v66, v65, 0x7fff
                                        ; implicit-def: $vgpr66
; %bb.2127:                             ;   in Loop: Header=BB10_1877 Depth=3
	s_and_not1_saveexec_b32 s15, s15
; %bb.2128:                             ;   in Loop: Header=BB10_1877 Depth=3
	v_and_b32_e32 v65, 0xffff, v66
	v_or_b32_e32 v67, 0x10000, v66
	s_delay_alu instid0(VALU_DEP_2) | instskip(NEXT) | instid1(VALU_DEP_2)
	v_cmp_eq_u32_e32 vcc_lo, 0, v65
	v_cndmask_b32_e32 v65, v67, v66, vcc_lo
; %bb.2129:                             ;   in Loop: Header=BB10_1877 Depth=3
	s_or_b32 exec_lo, exec_lo, s15
	v_and_b32_e32 v11, 0xffff0000, v11
	v_and_b32_e32 v66, 0xffff0000, v77
	s_delay_alu instid0(VALU_DEP_1) | instskip(NEXT) | instid1(VALU_DEP_1)
	v_add_f32_e32 v66, v66, v11
	v_and_b32_e32 v11, 0x7f800000, v66
	s_delay_alu instid0(VALU_DEP_1) | instskip(SKIP_1) | instid1(SALU_CYCLE_1)
	v_cmp_ne_u32_e32 vcc_lo, 0x7f800000, v11
                                        ; implicit-def: $vgpr11
	s_and_saveexec_b32 s15, vcc_lo
	s_xor_b32 s15, exec_lo, s15
; %bb.2130:                             ;   in Loop: Header=BB10_1877 Depth=3
	v_bfe_u32 v11, v66, 16, 1
	s_delay_alu instid0(VALU_DEP_1)
	v_add3_u32 v11, v66, v11, 0x7fff
                                        ; implicit-def: $vgpr66
; %bb.2131:                             ;   in Loop: Header=BB10_1877 Depth=3
	s_and_not1_saveexec_b32 s15, s15
	s_cbranch_execz .LBB10_1876
; %bb.2132:                             ;   in Loop: Header=BB10_1877 Depth=3
	v_and_b32_e32 v11, 0xffff, v66
	v_or_b32_e32 v67, 0x10000, v66
	s_delay_alu instid0(VALU_DEP_2) | instskip(NEXT) | instid1(VALU_DEP_2)
	v_cmp_eq_u32_e32 vcc_lo, 0, v11
	v_cndmask_b32_e32 v11, v67, v66, vcc_lo
	s_branch .LBB10_1876
.LBB10_2133:                            ;   in Loop: Header=BB10_1307 Depth=2
	s_or_b32 exec_lo, exec_lo, s14
.LBB10_2134:                            ;   in Loop: Header=BB10_1307 Depth=2
	s_delay_alu instid0(SALU_CYCLE_1) | instskip(SKIP_3) | instid1(VALU_DEP_1)
	s_or_b32 exec_lo, exec_lo, s13
	v_dual_lshlrev_b32 v4, 11, v74 :: v_dual_mov_b32 v14, 0
	s_mov_b32 s15, 0
	s_mov_b32 s14, exec_lo
                                        ; implicit-def: $vgpr15
	v_cmpx_ne_u32_e64 v43, v4
	s_cbranch_execz .LBB10_2204
; %bb.2135:                             ;   in Loop: Header=BB10_1307 Depth=2
	v_dual_lshlrev_b32 v1, 5, v45 :: v_dual_bitop2_b32 v5, 31, v0 bitop3:0x40
	s_mov_b32 s15, exec_lo
	s_delay_alu instid0(VALU_DEP_1) | instskip(NEXT) | instid1(VALU_DEP_1)
	v_dual_sub_nc_u32 v8, v43, v4 :: v_dual_sub_nc_u32 v1, v5, v1
	v_dual_ashrrev_i32 v9, 31, v8 :: v_dual_ashrrev_i32 v5, 31, v1
	s_delay_alu instid0(VALU_DEP_1) | instskip(NEXT) | instid1(VALU_DEP_1)
	v_lshrrev_b32_e32 v5, 27, v5
	v_add_nc_u32_e32 v10, v1, v5
	s_delay_alu instid0(VALU_DEP_3) | instskip(NEXT) | instid1(VALU_DEP_1)
	v_lshrrev_b32_e32 v5, 23, v9
	v_add_nc_u32_e32 v11, v8, v5
	s_delay_alu instid0(VALU_DEP_3) | instskip(NEXT) | instid1(VALU_DEP_2)
	v_and_b32_e32 v9, 0xffffffe0, v10
	v_and_b32_e32 v18, 0xfffffe00, v11
	s_delay_alu instid0(VALU_DEP_2) | instskip(NEXT) | instid1(VALU_DEP_2)
	v_dual_sub_nc_u32 v5, v1, v9 :: v_dual_ashrrev_i32 v9, 5, v10
	v_dual_ashrrev_i32 v10, 9, v11 :: v_dual_sub_nc_u32 v19, v8, v18
	s_delay_alu instid0(VALU_DEP_2) | instskip(NEXT) | instid1(VALU_DEP_2)
	v_lshlrev_b32_e32 v1, 4, v5
	v_cmp_lt_i32_e32 vcc_lo, 15, v19
	s_delay_alu instid0(VALU_DEP_2) | instskip(NEXT) | instid1(VALU_DEP_4)
	v_lshl_add_u32 v1, v9, 9, v1
	v_add_co_ci_u32_e64 v10, null, 0, v10, vcc_lo
	s_delay_alu instid0(VALU_DEP_2) | instskip(NEXT) | instid1(VALU_DEP_2)
	v_sub_nc_u32_e32 v21, v8, v1
	v_sub_nc_u32_e32 v20, v10, v9
	s_delay_alu instid0(VALU_DEP_2)
	v_cmpx_lt_i32_e32 15, v21
	s_cbranch_execz .LBB10_2203
; %bb.2136:                             ;   in Loop: Header=BB10_1307 Depth=2
	s_trap 2
	ds_load_b64 v[8:9], v0
	ds_load_b32 v22, v0
	v_add_nc_u32_e32 v10, v1, v4
	s_mov_b32 s40, 0
	s_wait_dscnt 0x0
	v_lshlrev_b32_e32 v22, 16, v22
	s_delay_alu instid0(VALU_DEP_2) | instskip(NEXT) | instid1(VALU_DEP_1)
	v_ashrrev_i32_e32 v11, 31, v10
	v_add_nc_u64_e32 v[12:13], v[10:11], v[56:57]
	v_add_nc_u64_e32 v[14:15], v[8:9], v[10:11]
	;; [unrolled: 1-line block ×3, first 2 shown]
	s_branch .LBB10_2138
.LBB10_2137:                            ;   in Loop: Header=BB10_2138 Depth=3
	s_or_b32 exec_lo, exec_lo, s41
	v_dual_lshrrev_b32 v11, 16, v28 :: v_dual_lshrrev_b32 v23, 16, v23
	v_dual_lshrrev_b32 v25, 16, v26 :: v_dual_lshrrev_b32 v24, 16, v24
	v_dual_sub_nc_u32 v21, v21, v70 :: v_dual_sub_nc_u32 v20, v20, v52
	s_delay_alu instid0(VALU_DEP_3) | instskip(NEXT) | instid1(VALU_DEP_4)
	v_and_or_b32 v9, 0xffff0000, v9, v11
	v_and_or_b32 v8, 0xffff0000, v8, v23
	s_delay_alu instid0(VALU_DEP_4)
	v_and_or_b32 v10, 0xffff0000, v10, v25
	v_and_or_b32 v11, 0xffff0000, v1, v24
	v_add_nc_u64_e32 v[12:13], v[12:13], v[70:71]
	v_add_nc_u64_e32 v[14:15], v[14:15], v[70:71]
	v_cmp_gt_i32_e64 s13, 16, v21
	global_store_b128 v[16:17], v[8:11], off th:TH_STORE_NT
	s_wait_xcnt 0x0
	v_add_nc_u64_e32 v[16:17], v[16:17], v[70:71]
	s_or_b32 s40, s13, s40
	s_delay_alu instid0(SALU_CYCLE_1)
	s_and_not1_b32 exec_lo, exec_lo, s40
	s_cbranch_execz .LBB10_2202
.LBB10_2138:                            ;   Parent Loop BB10_47 Depth=1
                                        ;     Parent Loop BB10_1307 Depth=2
                                        ; =>    This Inner Loop Header: Depth=3
	global_load_b128 v[8:11], v[12:13], off th:TH_LOAD_NT
	s_wait_loadcnt 0x0
	v_lshlrev_b32_e32 v1, 16, v8
	s_delay_alu instid0(VALU_DEP_1) | instskip(NEXT) | instid1(VALU_DEP_1)
	v_mul_f32_e32 v1, v22, v1
	v_and_b32_e32 v23, 0x7f800000, v1
	s_delay_alu instid0(VALU_DEP_1) | instskip(SKIP_2) | instid1(SALU_CYCLE_1)
	v_cmp_ne_u32_e64 s13, 0x7f800000, v23
                                        ; implicit-def: $vgpr23
	s_wait_xcnt 0x0
	s_and_saveexec_b32 s41, s13
	s_xor_b32 s13, exec_lo, s41
; %bb.2139:                             ;   in Loop: Header=BB10_2138 Depth=3
	v_bfe_u32 v23, v1, 16, 1
	s_delay_alu instid0(VALU_DEP_1)
	v_add3_u32 v23, v1, v23, 0x7fff
                                        ; implicit-def: $vgpr1
; %bb.2140:                             ;   in Loop: Header=BB10_2138 Depth=3
	s_and_not1_saveexec_b32 s41, s13
; %bb.2141:                             ;   in Loop: Header=BB10_2138 Depth=3
	v_and_b32_e32 v23, 0xffff, v1
	v_or_b32_e32 v24, 0x10000, v1
	s_delay_alu instid0(VALU_DEP_2) | instskip(NEXT) | instid1(VALU_DEP_1)
	v_cmp_eq_u32_e64 s13, 0, v23
	v_cndmask_b32_e64 v23, v24, v1, s13
; %bb.2142:                             ;   in Loop: Header=BB10_2138 Depth=3
	s_or_b32 exec_lo, exec_lo, s41
	v_and_b32_e32 v1, 0xffff0000, v8
                                        ; implicit-def: $vgpr29
	s_delay_alu instid0(VALU_DEP_1) | instskip(NEXT) | instid1(VALU_DEP_1)
	v_mul_f32_e32 v1, v22, v1
	v_and_b32_e32 v8, 0x7f800000, v1
	s_delay_alu instid0(VALU_DEP_1) | instskip(SKIP_1) | instid1(SALU_CYCLE_1)
	v_cmp_ne_u32_e64 s13, 0x7f800000, v8
	s_and_saveexec_b32 s41, s13
	s_xor_b32 s13, exec_lo, s41
; %bb.2143:                             ;   in Loop: Header=BB10_2138 Depth=3
	v_bfe_u32 v8, v1, 16, 1
	s_delay_alu instid0(VALU_DEP_1)
	v_add3_u32 v29, v1, v8, 0x7fff
                                        ; implicit-def: $vgpr1
; %bb.2144:                             ;   in Loop: Header=BB10_2138 Depth=3
	s_and_not1_saveexec_b32 s41, s13
; %bb.2145:                             ;   in Loop: Header=BB10_2138 Depth=3
	v_and_b32_e32 v8, 0xffff, v1
	v_or_b32_e32 v24, 0x10000, v1
	s_delay_alu instid0(VALU_DEP_2) | instskip(NEXT) | instid1(VALU_DEP_1)
	v_cmp_eq_u32_e64 s13, 0, v8
	v_cndmask_b32_e64 v29, v24, v1, s13
; %bb.2146:                             ;   in Loop: Header=BB10_2138 Depth=3
	s_or_b32 exec_lo, exec_lo, s41
	v_lshlrev_b32_e32 v1, 16, v9
                                        ; implicit-def: $vgpr28
	s_delay_alu instid0(VALU_DEP_1) | instskip(NEXT) | instid1(VALU_DEP_1)
	v_mul_f32_e32 v1, v22, v1
	v_and_b32_e32 v8, 0x7f800000, v1
	s_delay_alu instid0(VALU_DEP_1) | instskip(SKIP_1) | instid1(SALU_CYCLE_1)
	v_cmp_ne_u32_e64 s13, 0x7f800000, v8
	s_and_saveexec_b32 s41, s13
	s_xor_b32 s13, exec_lo, s41
; %bb.2147:                             ;   in Loop: Header=BB10_2138 Depth=3
	v_bfe_u32 v8, v1, 16, 1
	s_delay_alu instid0(VALU_DEP_1)
	v_add3_u32 v28, v1, v8, 0x7fff
                                        ; implicit-def: $vgpr1
; %bb.2148:                             ;   in Loop: Header=BB10_2138 Depth=3
	s_and_not1_saveexec_b32 s41, s13
; %bb.2149:                             ;   in Loop: Header=BB10_2138 Depth=3
	v_and_b32_e32 v8, 0xffff, v1
	v_or_b32_e32 v24, 0x10000, v1
	s_delay_alu instid0(VALU_DEP_2) | instskip(NEXT) | instid1(VALU_DEP_1)
	v_cmp_eq_u32_e64 s13, 0, v8
	v_cndmask_b32_e64 v28, v24, v1, s13
; %bb.2150:                             ;   in Loop: Header=BB10_2138 Depth=3
	s_or_b32 exec_lo, exec_lo, s41
	v_and_b32_e32 v1, 0xffff0000, v9
                                        ; implicit-def: $vgpr27
	s_delay_alu instid0(VALU_DEP_1) | instskip(NEXT) | instid1(VALU_DEP_1)
	v_mul_f32_e32 v1, v22, v1
	v_and_b32_e32 v8, 0x7f800000, v1
	s_delay_alu instid0(VALU_DEP_1) | instskip(SKIP_1) | instid1(SALU_CYCLE_1)
	v_cmp_ne_u32_e64 s13, 0x7f800000, v8
	s_and_saveexec_b32 s41, s13
	s_xor_b32 s13, exec_lo, s41
; %bb.2151:                             ;   in Loop: Header=BB10_2138 Depth=3
	v_bfe_u32 v8, v1, 16, 1
	s_delay_alu instid0(VALU_DEP_1)
	v_add3_u32 v27, v1, v8, 0x7fff
                                        ; implicit-def: $vgpr1
; %bb.2152:                             ;   in Loop: Header=BB10_2138 Depth=3
	s_and_not1_saveexec_b32 s41, s13
; %bb.2153:                             ;   in Loop: Header=BB10_2138 Depth=3
	v_and_b32_e32 v8, 0xffff, v1
	v_or_b32_e32 v9, 0x10000, v1
	s_delay_alu instid0(VALU_DEP_2) | instskip(NEXT) | instid1(VALU_DEP_1)
	v_cmp_eq_u32_e64 s13, 0, v8
	v_cndmask_b32_e64 v27, v9, v1, s13
; %bb.2154:                             ;   in Loop: Header=BB10_2138 Depth=3
	s_or_b32 exec_lo, exec_lo, s41
	v_lshlrev_b32_e32 v1, 16, v10
                                        ; implicit-def: $vgpr26
	s_delay_alu instid0(VALU_DEP_1) | instskip(NEXT) | instid1(VALU_DEP_1)
	v_mul_f32_e32 v1, v22, v1
	v_and_b32_e32 v8, 0x7f800000, v1
	s_delay_alu instid0(VALU_DEP_1) | instskip(SKIP_1) | instid1(SALU_CYCLE_1)
	v_cmp_ne_u32_e64 s13, 0x7f800000, v8
	s_and_saveexec_b32 s41, s13
	s_xor_b32 s13, exec_lo, s41
; %bb.2155:                             ;   in Loop: Header=BB10_2138 Depth=3
	v_bfe_u32 v8, v1, 16, 1
	s_delay_alu instid0(VALU_DEP_1)
	v_add3_u32 v26, v1, v8, 0x7fff
                                        ; implicit-def: $vgpr1
; %bb.2156:                             ;   in Loop: Header=BB10_2138 Depth=3
	s_and_not1_saveexec_b32 s41, s13
; %bb.2157:                             ;   in Loop: Header=BB10_2138 Depth=3
	v_and_b32_e32 v8, 0xffff, v1
	v_or_b32_e32 v9, 0x10000, v1
	s_delay_alu instid0(VALU_DEP_2) | instskip(NEXT) | instid1(VALU_DEP_1)
	v_cmp_eq_u32_e64 s13, 0, v8
	v_cndmask_b32_e64 v26, v9, v1, s13
; %bb.2158:                             ;   in Loop: Header=BB10_2138 Depth=3
	s_or_b32 exec_lo, exec_lo, s41
	v_and_b32_e32 v1, 0xffff0000, v10
                                        ; implicit-def: $vgpr25
	s_delay_alu instid0(VALU_DEP_1) | instskip(NEXT) | instid1(VALU_DEP_1)
	v_mul_f32_e32 v1, v22, v1
	v_and_b32_e32 v8, 0x7f800000, v1
	s_delay_alu instid0(VALU_DEP_1) | instskip(SKIP_1) | instid1(SALU_CYCLE_1)
	v_cmp_ne_u32_e64 s13, 0x7f800000, v8
	s_and_saveexec_b32 s41, s13
	s_xor_b32 s13, exec_lo, s41
; %bb.2159:                             ;   in Loop: Header=BB10_2138 Depth=3
	v_bfe_u32 v8, v1, 16, 1
	s_delay_alu instid0(VALU_DEP_1)
	v_add3_u32 v25, v1, v8, 0x7fff
                                        ; implicit-def: $vgpr1
; %bb.2160:                             ;   in Loop: Header=BB10_2138 Depth=3
	s_and_not1_saveexec_b32 s41, s13
; %bb.2161:                             ;   in Loop: Header=BB10_2138 Depth=3
	v_and_b32_e32 v8, 0xffff, v1
	v_or_b32_e32 v9, 0x10000, v1
	s_delay_alu instid0(VALU_DEP_2) | instskip(NEXT) | instid1(VALU_DEP_1)
	v_cmp_eq_u32_e64 s13, 0, v8
	v_cndmask_b32_e64 v25, v9, v1, s13
; %bb.2162:                             ;   in Loop: Header=BB10_2138 Depth=3
	s_or_b32 exec_lo, exec_lo, s41
	v_lshlrev_b32_e32 v1, 16, v11
                                        ; implicit-def: $vgpr24
	s_delay_alu instid0(VALU_DEP_1) | instskip(NEXT) | instid1(VALU_DEP_1)
	v_mul_f32_e32 v1, v22, v1
	v_and_b32_e32 v8, 0x7f800000, v1
	s_delay_alu instid0(VALU_DEP_1) | instskip(SKIP_1) | instid1(SALU_CYCLE_1)
	v_cmp_ne_u32_e64 s13, 0x7f800000, v8
	s_and_saveexec_b32 s41, s13
	s_xor_b32 s13, exec_lo, s41
; %bb.2163:                             ;   in Loop: Header=BB10_2138 Depth=3
	v_bfe_u32 v8, v1, 16, 1
	s_delay_alu instid0(VALU_DEP_1)
	v_add3_u32 v24, v1, v8, 0x7fff
                                        ; implicit-def: $vgpr1
; %bb.2164:                             ;   in Loop: Header=BB10_2138 Depth=3
	s_and_not1_saveexec_b32 s41, s13
; %bb.2165:                             ;   in Loop: Header=BB10_2138 Depth=3
	v_and_b32_e32 v8, 0xffff, v1
	v_or_b32_e32 v9, 0x10000, v1
	s_delay_alu instid0(VALU_DEP_2) | instskip(NEXT) | instid1(VALU_DEP_1)
	v_cmp_eq_u32_e64 s13, 0, v8
	v_cndmask_b32_e64 v24, v9, v1, s13
; %bb.2166:                             ;   in Loop: Header=BB10_2138 Depth=3
	s_or_b32 exec_lo, exec_lo, s41
	v_and_b32_e32 v1, 0xffff0000, v11
	s_delay_alu instid0(VALU_DEP_1) | instskip(NEXT) | instid1(VALU_DEP_1)
	v_mul_f32_e32 v8, v22, v1
	v_and_b32_e32 v1, 0x7f800000, v8
	s_delay_alu instid0(VALU_DEP_1) | instskip(SKIP_1) | instid1(SALU_CYCLE_1)
	v_cmp_ne_u32_e64 s13, 0x7f800000, v1
                                        ; implicit-def: $vgpr1
	s_and_saveexec_b32 s41, s13
	s_xor_b32 s13, exec_lo, s41
; %bb.2167:                             ;   in Loop: Header=BB10_2138 Depth=3
	v_bfe_u32 v1, v8, 16, 1
	s_delay_alu instid0(VALU_DEP_1)
	v_add3_u32 v1, v8, v1, 0x7fff
                                        ; implicit-def: $vgpr8
; %bb.2168:                             ;   in Loop: Header=BB10_2138 Depth=3
	s_and_not1_saveexec_b32 s41, s13
; %bb.2169:                             ;   in Loop: Header=BB10_2138 Depth=3
	v_and_b32_e32 v1, 0xffff, v8
	v_or_b32_e32 v9, 0x10000, v8
	s_delay_alu instid0(VALU_DEP_2) | instskip(NEXT) | instid1(VALU_DEP_1)
	v_cmp_eq_u32_e64 s13, 0, v1
	v_cndmask_b32_e64 v1, v9, v8, s13
; %bb.2170:                             ;   in Loop: Header=BB10_2138 Depth=3
	s_or_b32 exec_lo, exec_lo, s41
	global_load_b128 v[8:11], v[14:15], off th:TH_LOAD_NT
	v_and_b32_e32 v23, 0xffff0000, v23
	s_wait_loadcnt 0x0
	v_lshlrev_b32_e32 v31, 16, v8
	s_delay_alu instid0(VALU_DEP_1) | instskip(NEXT) | instid1(VALU_DEP_1)
	v_add_f32_e32 v31, v23, v31
	v_and_b32_e32 v23, 0x7f800000, v31
	s_delay_alu instid0(VALU_DEP_1) | instskip(SKIP_2) | instid1(SALU_CYCLE_1)
	v_cmp_ne_u32_e64 s13, 0x7f800000, v23
                                        ; implicit-def: $vgpr23
	s_wait_xcnt 0x0
	s_and_saveexec_b32 s41, s13
	s_xor_b32 s13, exec_lo, s41
; %bb.2171:                             ;   in Loop: Header=BB10_2138 Depth=3
	v_bfe_u32 v23, v31, 16, 1
	s_delay_alu instid0(VALU_DEP_1)
	v_add3_u32 v23, v31, v23, 0x7fff
                                        ; implicit-def: $vgpr31
; %bb.2172:                             ;   in Loop: Header=BB10_2138 Depth=3
	s_and_not1_saveexec_b32 s41, s13
; %bb.2173:                             ;   in Loop: Header=BB10_2138 Depth=3
	v_and_b32_e32 v23, 0xffff, v31
	v_or_b32_e32 v54, 0x10000, v31
	s_delay_alu instid0(VALU_DEP_2) | instskip(NEXT) | instid1(VALU_DEP_1)
	v_cmp_eq_u32_e64 s13, 0, v23
	v_cndmask_b32_e64 v23, v54, v31, s13
; %bb.2174:                             ;   in Loop: Header=BB10_2138 Depth=3
	s_or_b32 exec_lo, exec_lo, s41
	v_and_b32_e32 v29, 0xffff0000, v29
	v_and_b32_e32 v8, 0xffff0000, v8
	s_delay_alu instid0(VALU_DEP_1) | instskip(NEXT) | instid1(VALU_DEP_1)
	v_add_f32_e32 v29, v29, v8
	v_and_b32_e32 v8, 0x7f800000, v29
	s_delay_alu instid0(VALU_DEP_1) | instskip(SKIP_1) | instid1(SALU_CYCLE_1)
	v_cmp_ne_u32_e64 s13, 0x7f800000, v8
                                        ; implicit-def: $vgpr8
	s_and_saveexec_b32 s41, s13
	s_xor_b32 s13, exec_lo, s41
; %bb.2175:                             ;   in Loop: Header=BB10_2138 Depth=3
	v_bfe_u32 v8, v29, 16, 1
	s_delay_alu instid0(VALU_DEP_1)
	v_add3_u32 v8, v29, v8, 0x7fff
                                        ; implicit-def: $vgpr29
; %bb.2176:                             ;   in Loop: Header=BB10_2138 Depth=3
	s_and_not1_saveexec_b32 s41, s13
; %bb.2177:                             ;   in Loop: Header=BB10_2138 Depth=3
	v_and_b32_e32 v8, 0xffff, v29
	v_or_b32_e32 v31, 0x10000, v29
	s_delay_alu instid0(VALU_DEP_2) | instskip(NEXT) | instid1(VALU_DEP_1)
	v_cmp_eq_u32_e64 s13, 0, v8
	v_cndmask_b32_e64 v8, v31, v29, s13
; %bb.2178:                             ;   in Loop: Header=BB10_2138 Depth=3
	s_or_b32 exec_lo, exec_lo, s41
	v_and_b32_e32 v28, 0xffff0000, v28
	v_lshlrev_b32_e32 v29, 16, v9
	s_delay_alu instid0(VALU_DEP_1) | instskip(NEXT) | instid1(VALU_DEP_1)
	v_add_f32_e32 v29, v28, v29
	v_and_b32_e32 v28, 0x7f800000, v29
	s_delay_alu instid0(VALU_DEP_1) | instskip(SKIP_1) | instid1(SALU_CYCLE_1)
	v_cmp_ne_u32_e64 s13, 0x7f800000, v28
                                        ; implicit-def: $vgpr28
	s_and_saveexec_b32 s41, s13
	s_xor_b32 s13, exec_lo, s41
; %bb.2179:                             ;   in Loop: Header=BB10_2138 Depth=3
	v_bfe_u32 v28, v29, 16, 1
	s_delay_alu instid0(VALU_DEP_1)
	v_add3_u32 v28, v29, v28, 0x7fff
                                        ; implicit-def: $vgpr29
; %bb.2180:                             ;   in Loop: Header=BB10_2138 Depth=3
	s_and_not1_saveexec_b32 s41, s13
; %bb.2181:                             ;   in Loop: Header=BB10_2138 Depth=3
	v_and_b32_e32 v28, 0xffff, v29
	v_or_b32_e32 v31, 0x10000, v29
	s_delay_alu instid0(VALU_DEP_2) | instskip(NEXT) | instid1(VALU_DEP_1)
	v_cmp_eq_u32_e64 s13, 0, v28
	v_cndmask_b32_e64 v28, v31, v29, s13
; %bb.2182:                             ;   in Loop: Header=BB10_2138 Depth=3
	s_or_b32 exec_lo, exec_lo, s41
	v_and_b32_e32 v27, 0xffff0000, v27
	v_and_b32_e32 v9, 0xffff0000, v9
	s_delay_alu instid0(VALU_DEP_1) | instskip(NEXT) | instid1(VALU_DEP_1)
	v_add_f32_e32 v27, v27, v9
	v_and_b32_e32 v9, 0x7f800000, v27
	s_delay_alu instid0(VALU_DEP_1) | instskip(SKIP_1) | instid1(SALU_CYCLE_1)
	v_cmp_ne_u32_e64 s13, 0x7f800000, v9
                                        ; implicit-def: $vgpr9
	s_and_saveexec_b32 s41, s13
	s_xor_b32 s13, exec_lo, s41
; %bb.2183:                             ;   in Loop: Header=BB10_2138 Depth=3
	v_bfe_u32 v9, v27, 16, 1
	s_delay_alu instid0(VALU_DEP_1)
	v_add3_u32 v9, v27, v9, 0x7fff
                                        ; implicit-def: $vgpr27
; %bb.2184:                             ;   in Loop: Header=BB10_2138 Depth=3
	s_and_not1_saveexec_b32 s41, s13
; %bb.2185:                             ;   in Loop: Header=BB10_2138 Depth=3
	v_and_b32_e32 v9, 0xffff, v27
	v_or_b32_e32 v29, 0x10000, v27
	s_delay_alu instid0(VALU_DEP_2) | instskip(NEXT) | instid1(VALU_DEP_1)
	v_cmp_eq_u32_e64 s13, 0, v9
	v_cndmask_b32_e64 v9, v29, v27, s13
; %bb.2186:                             ;   in Loop: Header=BB10_2138 Depth=3
	s_or_b32 exec_lo, exec_lo, s41
	v_and_b32_e32 v26, 0xffff0000, v26
	v_lshlrev_b32_e32 v27, 16, v10
	s_delay_alu instid0(VALU_DEP_1) | instskip(NEXT) | instid1(VALU_DEP_1)
	v_add_f32_e32 v27, v26, v27
	v_and_b32_e32 v26, 0x7f800000, v27
	s_delay_alu instid0(VALU_DEP_1) | instskip(SKIP_1) | instid1(SALU_CYCLE_1)
	v_cmp_ne_u32_e64 s13, 0x7f800000, v26
                                        ; implicit-def: $vgpr26
	s_and_saveexec_b32 s41, s13
	s_xor_b32 s13, exec_lo, s41
; %bb.2187:                             ;   in Loop: Header=BB10_2138 Depth=3
	v_bfe_u32 v26, v27, 16, 1
	s_delay_alu instid0(VALU_DEP_1)
	v_add3_u32 v26, v27, v26, 0x7fff
                                        ; implicit-def: $vgpr27
; %bb.2188:                             ;   in Loop: Header=BB10_2138 Depth=3
	s_and_not1_saveexec_b32 s41, s13
; %bb.2189:                             ;   in Loop: Header=BB10_2138 Depth=3
	v_and_b32_e32 v26, 0xffff, v27
	v_or_b32_e32 v29, 0x10000, v27
	s_delay_alu instid0(VALU_DEP_2) | instskip(NEXT) | instid1(VALU_DEP_1)
	v_cmp_eq_u32_e64 s13, 0, v26
	v_cndmask_b32_e64 v26, v29, v27, s13
; %bb.2190:                             ;   in Loop: Header=BB10_2138 Depth=3
	s_or_b32 exec_lo, exec_lo, s41
	v_and_b32_e32 v25, 0xffff0000, v25
	v_and_b32_e32 v10, 0xffff0000, v10
	s_delay_alu instid0(VALU_DEP_1) | instskip(NEXT) | instid1(VALU_DEP_1)
	v_add_f32_e32 v25, v25, v10
	v_and_b32_e32 v10, 0x7f800000, v25
	s_delay_alu instid0(VALU_DEP_1) | instskip(SKIP_1) | instid1(SALU_CYCLE_1)
	v_cmp_ne_u32_e64 s13, 0x7f800000, v10
                                        ; implicit-def: $vgpr10
	s_and_saveexec_b32 s41, s13
	s_xor_b32 s13, exec_lo, s41
; %bb.2191:                             ;   in Loop: Header=BB10_2138 Depth=3
	v_bfe_u32 v10, v25, 16, 1
	s_delay_alu instid0(VALU_DEP_1)
	v_add3_u32 v10, v25, v10, 0x7fff
                                        ; implicit-def: $vgpr25
; %bb.2192:                             ;   in Loop: Header=BB10_2138 Depth=3
	s_and_not1_saveexec_b32 s41, s13
; %bb.2193:                             ;   in Loop: Header=BB10_2138 Depth=3
	v_and_b32_e32 v10, 0xffff, v25
	v_or_b32_e32 v27, 0x10000, v25
	s_delay_alu instid0(VALU_DEP_2) | instskip(NEXT) | instid1(VALU_DEP_1)
	v_cmp_eq_u32_e64 s13, 0, v10
	v_cndmask_b32_e64 v10, v27, v25, s13
; %bb.2194:                             ;   in Loop: Header=BB10_2138 Depth=3
	s_or_b32 exec_lo, exec_lo, s41
	v_and_b32_e32 v24, 0xffff0000, v24
	v_lshlrev_b32_e32 v25, 16, v11
	s_delay_alu instid0(VALU_DEP_1) | instskip(NEXT) | instid1(VALU_DEP_1)
	v_add_f32_e32 v25, v24, v25
	v_and_b32_e32 v24, 0x7f800000, v25
	s_delay_alu instid0(VALU_DEP_1) | instskip(SKIP_1) | instid1(SALU_CYCLE_1)
	v_cmp_ne_u32_e64 s13, 0x7f800000, v24
                                        ; implicit-def: $vgpr24
	s_and_saveexec_b32 s41, s13
	s_xor_b32 s13, exec_lo, s41
; %bb.2195:                             ;   in Loop: Header=BB10_2138 Depth=3
	v_bfe_u32 v24, v25, 16, 1
	s_delay_alu instid0(VALU_DEP_1)
	v_add3_u32 v24, v25, v24, 0x7fff
                                        ; implicit-def: $vgpr25
; %bb.2196:                             ;   in Loop: Header=BB10_2138 Depth=3
	s_and_not1_saveexec_b32 s41, s13
; %bb.2197:                             ;   in Loop: Header=BB10_2138 Depth=3
	v_and_b32_e32 v24, 0xffff, v25
	v_or_b32_e32 v27, 0x10000, v25
	s_delay_alu instid0(VALU_DEP_2) | instskip(NEXT) | instid1(VALU_DEP_1)
	v_cmp_eq_u32_e64 s13, 0, v24
	v_cndmask_b32_e64 v24, v27, v25, s13
; %bb.2198:                             ;   in Loop: Header=BB10_2138 Depth=3
	s_or_b32 exec_lo, exec_lo, s41
	v_and_b32_e32 v1, 0xffff0000, v1
	v_and_b32_e32 v11, 0xffff0000, v11
	s_delay_alu instid0(VALU_DEP_1) | instskip(NEXT) | instid1(VALU_DEP_1)
	v_add_f32_e32 v11, v1, v11
	v_and_b32_e32 v1, 0x7f800000, v11
	s_delay_alu instid0(VALU_DEP_1) | instskip(SKIP_1) | instid1(SALU_CYCLE_1)
	v_cmp_ne_u32_e64 s13, 0x7f800000, v1
                                        ; implicit-def: $vgpr1
	s_and_saveexec_b32 s41, s13
	s_xor_b32 s13, exec_lo, s41
; %bb.2199:                             ;   in Loop: Header=BB10_2138 Depth=3
	v_bfe_u32 v1, v11, 16, 1
	s_delay_alu instid0(VALU_DEP_1)
	v_add3_u32 v1, v11, v1, 0x7fff
                                        ; implicit-def: $vgpr11
; %bb.2200:                             ;   in Loop: Header=BB10_2138 Depth=3
	s_and_not1_saveexec_b32 s41, s13
	s_cbranch_execz .LBB10_2137
; %bb.2201:                             ;   in Loop: Header=BB10_2138 Depth=3
	v_and_b32_e32 v1, 0xffff, v11
	v_or_b32_e32 v25, 0x10000, v11
	s_delay_alu instid0(VALU_DEP_2) | instskip(NEXT) | instid1(VALU_DEP_1)
	v_cmp_eq_u32_e64 s13, 0, v1
	v_cndmask_b32_e64 v1, v25, v11, s13
	s_branch .LBB10_2137
.LBB10_2202:                            ;   in Loop: Header=BB10_1307 Depth=2
	s_or_b32 exec_lo, exec_lo, s40
.LBB10_2203:                            ;   in Loop: Header=BB10_1307 Depth=2
	s_delay_alu instid0(SALU_CYCLE_1) | instskip(NEXT) | instid1(VALU_DEP_2)
	s_or_b32 exec_lo, exec_lo, s15
	v_cmp_lt_i32_e64 s13, 0, v20
	s_delay_alu instid0(VALU_DEP_1) | instskip(NEXT) | instid1(VALU_DEP_1)
	v_dual_cndmask_b32 v9, 0, v52, s13 :: v_dual_bitop2_b32 v1, 14, v43 bitop3:0x40
	v_dual_cndmask_b32 v43, v19, v1 :: v_dual_sub_nc_u32 v8, v19, v1
	s_delay_alu instid0(VALU_DEP_1) | instskip(NEXT) | instid1(VALU_DEP_3)
	v_cndmask_b32_e32 v1, 0, v8, vcc_lo
	v_sub_nc_u32_e32 v8, v9, v20
	s_delay_alu instid0(VALU_DEP_3) | instskip(NEXT) | instid1(VALU_DEP_3)
	v_cmp_ne_u32_e32 vcc_lo, 0, v43
	v_add3_u32 v14, v18, v4, v1
	s_delay_alu instid0(VALU_DEP_3)
	v_lshl_add_u32 v15, v8, 5, v5
	s_and_b32 s15, vcc_lo, exec_lo
.LBB10_2204:                            ;   in Loop: Header=BB10_1307 Depth=2
	s_or_b32 exec_lo, exec_lo, s14
	s_and_saveexec_b32 s13, s15
	s_cbranch_execz .LBB10_2349
.LBB10_2205:                            ;   in Loop: Header=BB10_1307 Depth=2
	v_ashrrev_i32_e32 v4, 31, v43
	v_ashrrev_i32_e32 v1, 31, v15
	s_mov_b32 s14, exec_lo
	s_delay_alu instid0(VALU_DEP_1) | instskip(NEXT) | instid1(VALU_DEP_1)
	v_dual_lshrrev_b32 v4, 22, v4 :: v_dual_lshrrev_b32 v1, 27, v1
	v_add_nc_u32_e32 v4, v43, v4
	s_delay_alu instid0(VALU_DEP_1) | instskip(NEXT) | instid1(VALU_DEP_1)
	v_dual_add_nc_u32 v1, v15, v1 :: v_dual_ashrrev_i32 v18, 10, v4
	v_ashrrev_i32_e32 v16, 5, v1
	s_delay_alu instid0(VALU_DEP_1) | instskip(NEXT) | instid1(VALU_DEP_1)
	v_sub_nc_u32_e32 v17, v18, v16
	v_cmpx_lt_i32_e32 0, v17
	s_cbranch_execz .LBB10_2337
; %bb.2206:                             ;   in Loop: Header=BB10_1307 Depth=2
	v_and_b32_e32 v1, 0x7fffffe0, v1
	s_trap 2
	ds_load_b64 v[4:5], v0
	ds_load_b32 v19, v0
	v_add_nc_u64_e32 v[20:21], 0x3c0, v[58:59]
	v_dual_sub_nc_u32 v1, v15, v1 :: v_dual_lshlrev_b32 v8, 10, v16
	s_mov_b32 s15, 0
	s_delay_alu instid0(VALU_DEP_1) | instskip(NEXT) | instid1(VALU_DEP_1)
	v_lshlrev_b32_e32 v1, 1, v1
	v_add3_u32 v12, v1, v14, v8
	s_wait_dscnt 0x0
	s_delay_alu instid0(VALU_DEP_1) | instskip(NEXT) | instid1(VALU_DEP_1)
	v_dual_ashrrev_i32 v13, 31, v12 :: v_dual_lshlrev_b32 v19, 16, v19
	v_add_nc_u64_e32 v[8:9], v[12:13], v[56:57]
	v_add_nc_u64_e32 v[10:11], v[4:5], v[12:13]
	;; [unrolled: 1-line block ×3, first 2 shown]
	s_branch .LBB10_2208
.LBB10_2207:                            ;   in Loop: Header=BB10_2208 Depth=3
	s_or_b32 exec_lo, exec_lo, s40
	v_sub_nc_u32_e32 v17, v17, v52
	s_clause 0xf
	flat_store_d16_hi_b16 v[12:13], v4 offset:-960 th:TH_STORE_NT
	flat_store_d16_hi_b16 v[12:13], v5 offset:-896 th:TH_STORE_NT
	;; [unrolled: 1-line block ×15, first 2 shown]
	flat_store_d16_hi_b16 v[12:13], v31 th:TH_STORE_NT
	v_add_nc_u64_e32 v[8:9], v[8:9], v[80:81]
	v_add_nc_u64_e32 v[10:11], v[10:11], v[80:81]
	v_cmp_gt_i32_e32 vcc_lo, 1, v17
	s_wait_xcnt 0x0
	v_add_nc_u64_e32 v[12:13], v[12:13], v[80:81]
	s_or_b32 s15, vcc_lo, s15
	s_delay_alu instid0(SALU_CYCLE_1)
	s_and_not1_b32 exec_lo, exec_lo, s15
	s_cbranch_execz .LBB10_2336
.LBB10_2208:                            ;   Parent Loop BB10_47 Depth=1
                                        ;     Parent Loop BB10_1307 Depth=2
                                        ; =>    This Inner Loop Header: Depth=3
	flat_load_u16 v1, v[8:9] th:TH_LOAD_NT
	s_wait_loadcnt_dscnt 0x0
	v_lshlrev_b32_e32 v1, 16, v1
	s_delay_alu instid0(VALU_DEP_1) | instskip(NEXT) | instid1(VALU_DEP_1)
	v_mul_f32_e32 v1, v19, v1
	v_and_b32_e32 v4, 0x7f800000, v1
	s_delay_alu instid0(VALU_DEP_1) | instskip(SKIP_2) | instid1(SALU_CYCLE_1)
	v_cmp_ne_u32_e32 vcc_lo, 0x7f800000, v4
                                        ; implicit-def: $vgpr4
	s_wait_xcnt 0x0
	s_and_saveexec_b32 s40, vcc_lo
	s_xor_b32 s40, exec_lo, s40
; %bb.2209:                             ;   in Loop: Header=BB10_2208 Depth=3
	v_bfe_u32 v4, v1, 16, 1
	s_delay_alu instid0(VALU_DEP_1)
	v_add3_u32 v4, v1, v4, 0x7fff
                                        ; implicit-def: $vgpr1
; %bb.2210:                             ;   in Loop: Header=BB10_2208 Depth=3
	s_and_not1_saveexec_b32 s40, s40
; %bb.2211:                             ;   in Loop: Header=BB10_2208 Depth=3
	v_and_b32_e32 v4, 0xffff, v1
	v_or_b32_e32 v5, 0x10000, v1
	s_delay_alu instid0(VALU_DEP_2) | instskip(NEXT) | instid1(VALU_DEP_2)
	v_cmp_eq_u32_e32 vcc_lo, 0, v4
	v_cndmask_b32_e32 v4, v5, v1, vcc_lo
; %bb.2212:                             ;   in Loop: Header=BB10_2208 Depth=3
	s_or_b32 exec_lo, exec_lo, s40
	flat_load_u16 v1, v[8:9] offset:64 th:TH_LOAD_NT
	s_wait_loadcnt_dscnt 0x0
	v_lshlrev_b32_e32 v1, 16, v1
	s_delay_alu instid0(VALU_DEP_1) | instskip(NEXT) | instid1(VALU_DEP_1)
	v_mul_f32_e32 v1, v19, v1
	v_and_b32_e32 v5, 0x7f800000, v1
	s_delay_alu instid0(VALU_DEP_1) | instskip(SKIP_2) | instid1(SALU_CYCLE_1)
	v_cmp_ne_u32_e32 vcc_lo, 0x7f800000, v5
                                        ; implicit-def: $vgpr5
	s_wait_xcnt 0x0
	s_and_saveexec_b32 s40, vcc_lo
	s_xor_b32 s40, exec_lo, s40
; %bb.2213:                             ;   in Loop: Header=BB10_2208 Depth=3
	v_bfe_u32 v5, v1, 16, 1
	s_delay_alu instid0(VALU_DEP_1)
	v_add3_u32 v5, v1, v5, 0x7fff
                                        ; implicit-def: $vgpr1
; %bb.2214:                             ;   in Loop: Header=BB10_2208 Depth=3
	s_and_not1_saveexec_b32 s40, s40
; %bb.2215:                             ;   in Loop: Header=BB10_2208 Depth=3
	v_and_b32_e32 v5, 0xffff, v1
	v_or_b32_e32 v20, 0x10000, v1
	s_delay_alu instid0(VALU_DEP_2) | instskip(NEXT) | instid1(VALU_DEP_2)
	v_cmp_eq_u32_e32 vcc_lo, 0, v5
	v_cndmask_b32_e32 v5, v20, v1, vcc_lo
; %bb.2216:                             ;   in Loop: Header=BB10_2208 Depth=3
	s_or_b32 exec_lo, exec_lo, s40
	flat_load_u16 v1, v[8:9] offset:128 th:TH_LOAD_NT
	s_wait_loadcnt_dscnt 0x0
	v_lshlrev_b32_e32 v1, 16, v1
	s_delay_alu instid0(VALU_DEP_1) | instskip(NEXT) | instid1(VALU_DEP_1)
	v_mul_f32_e32 v1, v19, v1
	v_and_b32_e32 v20, 0x7f800000, v1
	s_delay_alu instid0(VALU_DEP_1) | instskip(SKIP_2) | instid1(SALU_CYCLE_1)
	v_cmp_ne_u32_e32 vcc_lo, 0x7f800000, v20
                                        ; implicit-def: $vgpr20
	s_wait_xcnt 0x0
	s_and_saveexec_b32 s40, vcc_lo
	s_xor_b32 s40, exec_lo, s40
; %bb.2217:                             ;   in Loop: Header=BB10_2208 Depth=3
	v_bfe_u32 v20, v1, 16, 1
	s_delay_alu instid0(VALU_DEP_1)
	v_add3_u32 v20, v1, v20, 0x7fff
                                        ; implicit-def: $vgpr1
; %bb.2218:                             ;   in Loop: Header=BB10_2208 Depth=3
	s_and_not1_saveexec_b32 s40, s40
; %bb.2219:                             ;   in Loop: Header=BB10_2208 Depth=3
	v_and_b32_e32 v20, 0xffff, v1
	v_or_b32_e32 v21, 0x10000, v1
	s_delay_alu instid0(VALU_DEP_2) | instskip(NEXT) | instid1(VALU_DEP_2)
	v_cmp_eq_u32_e32 vcc_lo, 0, v20
	v_cndmask_b32_e32 v20, v21, v1, vcc_lo
; %bb.2220:                             ;   in Loop: Header=BB10_2208 Depth=3
	s_or_b32 exec_lo, exec_lo, s40
	flat_load_u16 v1, v[8:9] offset:192 th:TH_LOAD_NT
	s_wait_loadcnt_dscnt 0x0
	v_lshlrev_b32_e32 v1, 16, v1
	s_delay_alu instid0(VALU_DEP_1) | instskip(NEXT) | instid1(VALU_DEP_1)
	v_mul_f32_e32 v1, v19, v1
	v_and_b32_e32 v21, 0x7f800000, v1
	s_delay_alu instid0(VALU_DEP_1) | instskip(SKIP_2) | instid1(SALU_CYCLE_1)
	v_cmp_ne_u32_e32 vcc_lo, 0x7f800000, v21
                                        ; implicit-def: $vgpr21
	s_wait_xcnt 0x0
	s_and_saveexec_b32 s40, vcc_lo
	s_xor_b32 s40, exec_lo, s40
; %bb.2221:                             ;   in Loop: Header=BB10_2208 Depth=3
	v_bfe_u32 v21, v1, 16, 1
	s_delay_alu instid0(VALU_DEP_1)
	v_add3_u32 v21, v1, v21, 0x7fff
                                        ; implicit-def: $vgpr1
; %bb.2222:                             ;   in Loop: Header=BB10_2208 Depth=3
	s_and_not1_saveexec_b32 s40, s40
; %bb.2223:                             ;   in Loop: Header=BB10_2208 Depth=3
	v_and_b32_e32 v21, 0xffff, v1
	v_or_b32_e32 v22, 0x10000, v1
	s_delay_alu instid0(VALU_DEP_2) | instskip(NEXT) | instid1(VALU_DEP_2)
	v_cmp_eq_u32_e32 vcc_lo, 0, v21
	v_cndmask_b32_e32 v21, v22, v1, vcc_lo
; %bb.2224:                             ;   in Loop: Header=BB10_2208 Depth=3
	s_or_b32 exec_lo, exec_lo, s40
	flat_load_u16 v1, v[8:9] offset:256 th:TH_LOAD_NT
	s_wait_loadcnt_dscnt 0x0
	v_lshlrev_b32_e32 v1, 16, v1
	s_delay_alu instid0(VALU_DEP_1) | instskip(NEXT) | instid1(VALU_DEP_1)
	v_mul_f32_e32 v1, v19, v1
	v_and_b32_e32 v22, 0x7f800000, v1
	s_delay_alu instid0(VALU_DEP_1) | instskip(SKIP_2) | instid1(SALU_CYCLE_1)
	v_cmp_ne_u32_e32 vcc_lo, 0x7f800000, v22
                                        ; implicit-def: $vgpr22
	s_wait_xcnt 0x0
	s_and_saveexec_b32 s40, vcc_lo
	s_xor_b32 s40, exec_lo, s40
; %bb.2225:                             ;   in Loop: Header=BB10_2208 Depth=3
	v_bfe_u32 v22, v1, 16, 1
	s_delay_alu instid0(VALU_DEP_1)
	v_add3_u32 v22, v1, v22, 0x7fff
                                        ; implicit-def: $vgpr1
; %bb.2226:                             ;   in Loop: Header=BB10_2208 Depth=3
	s_and_not1_saveexec_b32 s40, s40
; %bb.2227:                             ;   in Loop: Header=BB10_2208 Depth=3
	v_and_b32_e32 v22, 0xffff, v1
	v_or_b32_e32 v23, 0x10000, v1
	s_delay_alu instid0(VALU_DEP_2) | instskip(NEXT) | instid1(VALU_DEP_2)
	v_cmp_eq_u32_e32 vcc_lo, 0, v22
	v_cndmask_b32_e32 v22, v23, v1, vcc_lo
; %bb.2228:                             ;   in Loop: Header=BB10_2208 Depth=3
	s_or_b32 exec_lo, exec_lo, s40
	flat_load_u16 v1, v[8:9] offset:320 th:TH_LOAD_NT
	s_wait_loadcnt_dscnt 0x0
	v_lshlrev_b32_e32 v1, 16, v1
	s_delay_alu instid0(VALU_DEP_1) | instskip(NEXT) | instid1(VALU_DEP_1)
	v_mul_f32_e32 v1, v19, v1
	v_and_b32_e32 v23, 0x7f800000, v1
	s_delay_alu instid0(VALU_DEP_1) | instskip(SKIP_2) | instid1(SALU_CYCLE_1)
	v_cmp_ne_u32_e32 vcc_lo, 0x7f800000, v23
                                        ; implicit-def: $vgpr23
	s_wait_xcnt 0x0
	s_and_saveexec_b32 s40, vcc_lo
	s_xor_b32 s40, exec_lo, s40
; %bb.2229:                             ;   in Loop: Header=BB10_2208 Depth=3
	v_bfe_u32 v23, v1, 16, 1
	s_delay_alu instid0(VALU_DEP_1)
	v_add3_u32 v23, v1, v23, 0x7fff
                                        ; implicit-def: $vgpr1
; %bb.2230:                             ;   in Loop: Header=BB10_2208 Depth=3
	s_and_not1_saveexec_b32 s40, s40
; %bb.2231:                             ;   in Loop: Header=BB10_2208 Depth=3
	v_and_b32_e32 v23, 0xffff, v1
	v_or_b32_e32 v24, 0x10000, v1
	s_delay_alu instid0(VALU_DEP_2) | instskip(NEXT) | instid1(VALU_DEP_2)
	v_cmp_eq_u32_e32 vcc_lo, 0, v23
	v_cndmask_b32_e32 v23, v24, v1, vcc_lo
; %bb.2232:                             ;   in Loop: Header=BB10_2208 Depth=3
	s_or_b32 exec_lo, exec_lo, s40
	flat_load_u16 v1, v[8:9] offset:384 th:TH_LOAD_NT
	s_wait_loadcnt_dscnt 0x0
	v_lshlrev_b32_e32 v1, 16, v1
	s_delay_alu instid0(VALU_DEP_1) | instskip(NEXT) | instid1(VALU_DEP_1)
	v_mul_f32_e32 v1, v19, v1
	v_and_b32_e32 v24, 0x7f800000, v1
	s_delay_alu instid0(VALU_DEP_1) | instskip(SKIP_2) | instid1(SALU_CYCLE_1)
	v_cmp_ne_u32_e32 vcc_lo, 0x7f800000, v24
                                        ; implicit-def: $vgpr24
	s_wait_xcnt 0x0
	s_and_saveexec_b32 s40, vcc_lo
	s_xor_b32 s40, exec_lo, s40
; %bb.2233:                             ;   in Loop: Header=BB10_2208 Depth=3
	v_bfe_u32 v24, v1, 16, 1
	s_delay_alu instid0(VALU_DEP_1)
	v_add3_u32 v24, v1, v24, 0x7fff
                                        ; implicit-def: $vgpr1
; %bb.2234:                             ;   in Loop: Header=BB10_2208 Depth=3
	s_and_not1_saveexec_b32 s40, s40
; %bb.2235:                             ;   in Loop: Header=BB10_2208 Depth=3
	v_and_b32_e32 v24, 0xffff, v1
	v_or_b32_e32 v25, 0x10000, v1
	s_delay_alu instid0(VALU_DEP_2) | instskip(NEXT) | instid1(VALU_DEP_2)
	v_cmp_eq_u32_e32 vcc_lo, 0, v24
	v_cndmask_b32_e32 v24, v25, v1, vcc_lo
; %bb.2236:                             ;   in Loop: Header=BB10_2208 Depth=3
	s_or_b32 exec_lo, exec_lo, s40
	flat_load_u16 v1, v[8:9] offset:448 th:TH_LOAD_NT
	s_wait_loadcnt_dscnt 0x0
	v_lshlrev_b32_e32 v1, 16, v1
	s_delay_alu instid0(VALU_DEP_1) | instskip(NEXT) | instid1(VALU_DEP_1)
	v_mul_f32_e32 v1, v19, v1
	v_and_b32_e32 v25, 0x7f800000, v1
	s_delay_alu instid0(VALU_DEP_1) | instskip(SKIP_2) | instid1(SALU_CYCLE_1)
	v_cmp_ne_u32_e32 vcc_lo, 0x7f800000, v25
                                        ; implicit-def: $vgpr25
	s_wait_xcnt 0x0
	s_and_saveexec_b32 s40, vcc_lo
	s_xor_b32 s40, exec_lo, s40
; %bb.2237:                             ;   in Loop: Header=BB10_2208 Depth=3
	v_bfe_u32 v25, v1, 16, 1
	s_delay_alu instid0(VALU_DEP_1)
	v_add3_u32 v25, v1, v25, 0x7fff
                                        ; implicit-def: $vgpr1
; %bb.2238:                             ;   in Loop: Header=BB10_2208 Depth=3
	s_and_not1_saveexec_b32 s40, s40
; %bb.2239:                             ;   in Loop: Header=BB10_2208 Depth=3
	v_and_b32_e32 v25, 0xffff, v1
	v_or_b32_e32 v26, 0x10000, v1
	s_delay_alu instid0(VALU_DEP_2) | instskip(NEXT) | instid1(VALU_DEP_2)
	v_cmp_eq_u32_e32 vcc_lo, 0, v25
	v_cndmask_b32_e32 v25, v26, v1, vcc_lo
; %bb.2240:                             ;   in Loop: Header=BB10_2208 Depth=3
	s_or_b32 exec_lo, exec_lo, s40
	flat_load_u16 v1, v[8:9] offset:512 th:TH_LOAD_NT
	s_wait_loadcnt_dscnt 0x0
	v_lshlrev_b32_e32 v1, 16, v1
	s_delay_alu instid0(VALU_DEP_1) | instskip(NEXT) | instid1(VALU_DEP_1)
	v_mul_f32_e32 v1, v19, v1
	v_and_b32_e32 v26, 0x7f800000, v1
	s_delay_alu instid0(VALU_DEP_1) | instskip(SKIP_2) | instid1(SALU_CYCLE_1)
	v_cmp_ne_u32_e32 vcc_lo, 0x7f800000, v26
                                        ; implicit-def: $vgpr26
	s_wait_xcnt 0x0
	s_and_saveexec_b32 s40, vcc_lo
	s_xor_b32 s40, exec_lo, s40
; %bb.2241:                             ;   in Loop: Header=BB10_2208 Depth=3
	v_bfe_u32 v26, v1, 16, 1
	s_delay_alu instid0(VALU_DEP_1)
	v_add3_u32 v26, v1, v26, 0x7fff
                                        ; implicit-def: $vgpr1
; %bb.2242:                             ;   in Loop: Header=BB10_2208 Depth=3
	s_and_not1_saveexec_b32 s40, s40
; %bb.2243:                             ;   in Loop: Header=BB10_2208 Depth=3
	v_and_b32_e32 v26, 0xffff, v1
	v_or_b32_e32 v27, 0x10000, v1
	s_delay_alu instid0(VALU_DEP_2) | instskip(NEXT) | instid1(VALU_DEP_2)
	v_cmp_eq_u32_e32 vcc_lo, 0, v26
	v_cndmask_b32_e32 v26, v27, v1, vcc_lo
; %bb.2244:                             ;   in Loop: Header=BB10_2208 Depth=3
	s_or_b32 exec_lo, exec_lo, s40
	flat_load_u16 v1, v[8:9] offset:576 th:TH_LOAD_NT
	s_wait_loadcnt_dscnt 0x0
	v_lshlrev_b32_e32 v1, 16, v1
	s_delay_alu instid0(VALU_DEP_1) | instskip(NEXT) | instid1(VALU_DEP_1)
	v_mul_f32_e32 v1, v19, v1
	v_and_b32_e32 v27, 0x7f800000, v1
	s_delay_alu instid0(VALU_DEP_1) | instskip(SKIP_2) | instid1(SALU_CYCLE_1)
	v_cmp_ne_u32_e32 vcc_lo, 0x7f800000, v27
                                        ; implicit-def: $vgpr27
	s_wait_xcnt 0x0
	s_and_saveexec_b32 s40, vcc_lo
	s_xor_b32 s40, exec_lo, s40
; %bb.2245:                             ;   in Loop: Header=BB10_2208 Depth=3
	v_bfe_u32 v27, v1, 16, 1
	s_delay_alu instid0(VALU_DEP_1)
	v_add3_u32 v27, v1, v27, 0x7fff
                                        ; implicit-def: $vgpr1
; %bb.2246:                             ;   in Loop: Header=BB10_2208 Depth=3
	s_and_not1_saveexec_b32 s40, s40
; %bb.2247:                             ;   in Loop: Header=BB10_2208 Depth=3
	v_and_b32_e32 v27, 0xffff, v1
	v_or_b32_e32 v28, 0x10000, v1
	s_delay_alu instid0(VALU_DEP_2) | instskip(NEXT) | instid1(VALU_DEP_2)
	v_cmp_eq_u32_e32 vcc_lo, 0, v27
	v_cndmask_b32_e32 v27, v28, v1, vcc_lo
; %bb.2248:                             ;   in Loop: Header=BB10_2208 Depth=3
	s_or_b32 exec_lo, exec_lo, s40
	flat_load_u16 v1, v[8:9] offset:640 th:TH_LOAD_NT
	s_wait_loadcnt_dscnt 0x0
	v_lshlrev_b32_e32 v1, 16, v1
	s_delay_alu instid0(VALU_DEP_1) | instskip(NEXT) | instid1(VALU_DEP_1)
	v_mul_f32_e32 v1, v19, v1
	v_and_b32_e32 v28, 0x7f800000, v1
	s_delay_alu instid0(VALU_DEP_1) | instskip(SKIP_2) | instid1(SALU_CYCLE_1)
	v_cmp_ne_u32_e32 vcc_lo, 0x7f800000, v28
                                        ; implicit-def: $vgpr28
	s_wait_xcnt 0x0
	s_and_saveexec_b32 s40, vcc_lo
	s_xor_b32 s40, exec_lo, s40
; %bb.2249:                             ;   in Loop: Header=BB10_2208 Depth=3
	v_bfe_u32 v28, v1, 16, 1
	s_delay_alu instid0(VALU_DEP_1)
	v_add3_u32 v28, v1, v28, 0x7fff
                                        ; implicit-def: $vgpr1
; %bb.2250:                             ;   in Loop: Header=BB10_2208 Depth=3
	s_and_not1_saveexec_b32 s40, s40
; %bb.2251:                             ;   in Loop: Header=BB10_2208 Depth=3
	v_and_b32_e32 v28, 0xffff, v1
	v_or_b32_e32 v29, 0x10000, v1
	s_delay_alu instid0(VALU_DEP_2) | instskip(NEXT) | instid1(VALU_DEP_2)
	v_cmp_eq_u32_e32 vcc_lo, 0, v28
	v_cndmask_b32_e32 v28, v29, v1, vcc_lo
; %bb.2252:                             ;   in Loop: Header=BB10_2208 Depth=3
	s_or_b32 exec_lo, exec_lo, s40
	flat_load_u16 v1, v[8:9] offset:704 th:TH_LOAD_NT
	s_wait_loadcnt_dscnt 0x0
	v_lshlrev_b32_e32 v1, 16, v1
	s_delay_alu instid0(VALU_DEP_1) | instskip(NEXT) | instid1(VALU_DEP_1)
	v_mul_f32_e32 v1, v19, v1
	v_and_b32_e32 v29, 0x7f800000, v1
	s_delay_alu instid0(VALU_DEP_1) | instskip(SKIP_2) | instid1(SALU_CYCLE_1)
	v_cmp_ne_u32_e32 vcc_lo, 0x7f800000, v29
                                        ; implicit-def: $vgpr29
	s_wait_xcnt 0x0
	s_and_saveexec_b32 s40, vcc_lo
	s_xor_b32 s40, exec_lo, s40
; %bb.2253:                             ;   in Loop: Header=BB10_2208 Depth=3
	v_bfe_u32 v29, v1, 16, 1
	s_delay_alu instid0(VALU_DEP_1)
	v_add3_u32 v29, v1, v29, 0x7fff
                                        ; implicit-def: $vgpr1
; %bb.2254:                             ;   in Loop: Header=BB10_2208 Depth=3
	s_and_not1_saveexec_b32 s40, s40
; %bb.2255:                             ;   in Loop: Header=BB10_2208 Depth=3
	v_and_b32_e32 v29, 0xffff, v1
	v_or_b32_e32 v31, 0x10000, v1
	s_delay_alu instid0(VALU_DEP_2) | instskip(NEXT) | instid1(VALU_DEP_2)
	v_cmp_eq_u32_e32 vcc_lo, 0, v29
	v_cndmask_b32_e32 v29, v31, v1, vcc_lo
; %bb.2256:                             ;   in Loop: Header=BB10_2208 Depth=3
	s_or_b32 exec_lo, exec_lo, s40
	flat_load_u16 v1, v[8:9] offset:768 th:TH_LOAD_NT
	s_mov_b32 s40, exec_lo
                                        ; implicit-def: $vgpr64
	s_wait_loadcnt_dscnt 0x0
	v_lshlrev_b32_e32 v1, 16, v1
	s_delay_alu instid0(VALU_DEP_1) | instskip(NEXT) | instid1(VALU_DEP_1)
	v_mul_f32_e32 v1, v19, v1
	v_and_b32_e32 v31, 0x7f800000, v1
	s_wait_xcnt 0x0
	s_delay_alu instid0(VALU_DEP_1)
	v_cmpx_ne_u32_e32 0x7f800000, v31
	s_xor_b32 s40, exec_lo, s40
; %bb.2257:                             ;   in Loop: Header=BB10_2208 Depth=3
	v_bfe_u32 v31, v1, 16, 1
	s_delay_alu instid0(VALU_DEP_1)
	v_add3_u32 v64, v1, v31, 0x7fff
                                        ; implicit-def: $vgpr1
; %bb.2258:                             ;   in Loop: Header=BB10_2208 Depth=3
	s_and_not1_saveexec_b32 s40, s40
; %bb.2259:                             ;   in Loop: Header=BB10_2208 Depth=3
	v_and_b32_e32 v31, 0xffff, v1
	v_or_b32_e32 v54, 0x10000, v1
	s_delay_alu instid0(VALU_DEP_2) | instskip(NEXT) | instid1(VALU_DEP_2)
	v_cmp_eq_u32_e32 vcc_lo, 0, v31
	v_cndmask_b32_e32 v64, v54, v1, vcc_lo
; %bb.2260:                             ;   in Loop: Header=BB10_2208 Depth=3
	s_or_b32 exec_lo, exec_lo, s40
	flat_load_u16 v1, v[8:9] offset:832 th:TH_LOAD_NT
	s_mov_b32 s40, exec_lo
                                        ; implicit-def: $vgpr65
	s_wait_loadcnt_dscnt 0x0
	v_lshlrev_b32_e32 v1, 16, v1
	s_delay_alu instid0(VALU_DEP_1) | instskip(NEXT) | instid1(VALU_DEP_1)
	v_mul_f32_e32 v1, v19, v1
	v_and_b32_e32 v31, 0x7f800000, v1
	s_wait_xcnt 0x0
	s_delay_alu instid0(VALU_DEP_1)
	v_cmpx_ne_u32_e32 0x7f800000, v31
	s_xor_b32 s40, exec_lo, s40
; %bb.2261:                             ;   in Loop: Header=BB10_2208 Depth=3
	v_bfe_u32 v31, v1, 16, 1
	s_delay_alu instid0(VALU_DEP_1)
	v_add3_u32 v65, v1, v31, 0x7fff
                                        ; implicit-def: $vgpr1
; %bb.2262:                             ;   in Loop: Header=BB10_2208 Depth=3
	s_and_not1_saveexec_b32 s40, s40
; %bb.2263:                             ;   in Loop: Header=BB10_2208 Depth=3
	v_and_b32_e32 v31, 0xffff, v1
	v_or_b32_e32 v54, 0x10000, v1
	s_delay_alu instid0(VALU_DEP_2) | instskip(NEXT) | instid1(VALU_DEP_2)
	v_cmp_eq_u32_e32 vcc_lo, 0, v31
	v_cndmask_b32_e32 v65, v54, v1, vcc_lo
; %bb.2264:                             ;   in Loop: Header=BB10_2208 Depth=3
	s_or_b32 exec_lo, exec_lo, s40
	flat_load_u16 v1, v[8:9] offset:896 th:TH_LOAD_NT
	s_mov_b32 s40, exec_lo
                                        ; implicit-def: $vgpr66
	s_wait_loadcnt_dscnt 0x0
	v_lshlrev_b32_e32 v1, 16, v1
	s_delay_alu instid0(VALU_DEP_1) | instskip(NEXT) | instid1(VALU_DEP_1)
	v_mul_f32_e32 v1, v19, v1
	v_and_b32_e32 v31, 0x7f800000, v1
	s_wait_xcnt 0x0
	s_delay_alu instid0(VALU_DEP_1)
	v_cmpx_ne_u32_e32 0x7f800000, v31
	s_xor_b32 s40, exec_lo, s40
; %bb.2265:                             ;   in Loop: Header=BB10_2208 Depth=3
	v_bfe_u32 v31, v1, 16, 1
	s_delay_alu instid0(VALU_DEP_1)
	v_add3_u32 v66, v1, v31, 0x7fff
                                        ; implicit-def: $vgpr1
; %bb.2266:                             ;   in Loop: Header=BB10_2208 Depth=3
	s_and_not1_saveexec_b32 s40, s40
; %bb.2267:                             ;   in Loop: Header=BB10_2208 Depth=3
	v_and_b32_e32 v31, 0xffff, v1
	v_or_b32_e32 v54, 0x10000, v1
	s_delay_alu instid0(VALU_DEP_2) | instskip(NEXT) | instid1(VALU_DEP_2)
	v_cmp_eq_u32_e32 vcc_lo, 0, v31
	v_cndmask_b32_e32 v66, v54, v1, vcc_lo
; %bb.2268:                             ;   in Loop: Header=BB10_2208 Depth=3
	s_or_b32 exec_lo, exec_lo, s40
	flat_load_u16 v1, v[8:9] offset:960 th:TH_LOAD_NT
	s_mov_b32 s40, exec_lo
                                        ; implicit-def: $vgpr67
	s_wait_loadcnt_dscnt 0x0
	v_lshlrev_b32_e32 v1, 16, v1
	s_delay_alu instid0(VALU_DEP_1) | instskip(NEXT) | instid1(VALU_DEP_1)
	v_mul_f32_e32 v1, v19, v1
	v_and_b32_e32 v31, 0x7f800000, v1
	s_wait_xcnt 0x0
	s_delay_alu instid0(VALU_DEP_1)
	v_cmpx_ne_u32_e32 0x7f800000, v31
	s_xor_b32 s40, exec_lo, s40
; %bb.2269:                             ;   in Loop: Header=BB10_2208 Depth=3
	v_bfe_u32 v31, v1, 16, 1
	s_delay_alu instid0(VALU_DEP_1)
	v_add3_u32 v67, v1, v31, 0x7fff
                                        ; implicit-def: $vgpr1
; %bb.2270:                             ;   in Loop: Header=BB10_2208 Depth=3
	s_and_not1_saveexec_b32 s40, s40
; %bb.2271:                             ;   in Loop: Header=BB10_2208 Depth=3
	v_and_b32_e32 v31, 0xffff, v1
	v_or_b32_e32 v54, 0x10000, v1
	s_delay_alu instid0(VALU_DEP_2) | instskip(NEXT) | instid1(VALU_DEP_2)
	v_cmp_eq_u32_e32 vcc_lo, 0, v31
	v_cndmask_b32_e32 v67, v54, v1, vcc_lo
; %bb.2272:                             ;   in Loop: Header=BB10_2208 Depth=3
	s_or_b32 exec_lo, exec_lo, s40
	s_clause 0xf
	flat_load_u16 v85, v[10:11] offset:128 th:TH_LOAD_NT
	flat_load_u16 v84, v[10:11] offset:192 th:TH_LOAD_NT
	;; [unrolled: 1-line block ×6, first 2 shown]
	flat_load_u16 v112, v[10:11] th:TH_LOAD_NT
	flat_load_u16 v61, v[10:11] offset:64 th:TH_LOAD_NT
	flat_load_u16 v114, v[10:11] offset:512 th:TH_LOAD_NT
	;; [unrolled: 1-line block ×9, first 2 shown]
	v_and_b32_e32 v4, 0xffff0000, v4
	s_wait_loadcnt_dscnt 0x909
	v_lshlrev_b32_e32 v112, 16, v112
	s_delay_alu instid0(VALU_DEP_1) | instskip(NEXT) | instid1(VALU_DEP_1)
	v_add_f32_e32 v62, v4, v112
	v_and_b32_e32 v4, 0x7f800000, v62
	s_delay_alu instid0(VALU_DEP_1) | instskip(SKIP_2) | instid1(SALU_CYCLE_1)
	v_cmp_ne_u32_e32 vcc_lo, 0x7f800000, v4
                                        ; implicit-def: $vgpr4
	s_wait_xcnt 0x0
	s_and_saveexec_b32 s40, vcc_lo
	s_xor_b32 s40, exec_lo, s40
; %bb.2273:                             ;   in Loop: Header=BB10_2208 Depth=3
	v_bfe_u32 v4, v62, 16, 1
	s_delay_alu instid0(VALU_DEP_1)
	v_add3_u32 v4, v62, v4, 0x7fff
                                        ; implicit-def: $vgpr62
; %bb.2274:                             ;   in Loop: Header=BB10_2208 Depth=3
	s_and_not1_saveexec_b32 s40, s40
; %bb.2275:                             ;   in Loop: Header=BB10_2208 Depth=3
	v_and_b32_e32 v4, 0xffff, v62
	v_or_b32_e32 v112, 0x10000, v62
	s_delay_alu instid0(VALU_DEP_2) | instskip(NEXT) | instid1(VALU_DEP_2)
	v_cmp_eq_u32_e32 vcc_lo, 0, v4
	v_cndmask_b32_e32 v4, v112, v62, vcc_lo
; %bb.2276:                             ;   in Loop: Header=BB10_2208 Depth=3
	s_or_b32 exec_lo, exec_lo, s40
	v_and_b32_e32 v5, 0xffff0000, v5
	s_wait_loadcnt_dscnt 0x808
	v_lshlrev_b32_e32 v112, 16, v61
	s_delay_alu instid0(VALU_DEP_1) | instskip(NEXT) | instid1(VALU_DEP_1)
	v_add_f32_e32 v61, v5, v112
	v_and_b32_e32 v5, 0x7f800000, v61
	s_delay_alu instid0(VALU_DEP_1) | instskip(SKIP_1) | instid1(SALU_CYCLE_1)
	v_cmp_ne_u32_e32 vcc_lo, 0x7f800000, v5
                                        ; implicit-def: $vgpr5
	s_and_saveexec_b32 s40, vcc_lo
	s_xor_b32 s40, exec_lo, s40
; %bb.2277:                             ;   in Loop: Header=BB10_2208 Depth=3
	v_bfe_u32 v5, v61, 16, 1
	s_delay_alu instid0(VALU_DEP_1)
	v_add3_u32 v5, v61, v5, 0x7fff
                                        ; implicit-def: $vgpr61
; %bb.2278:                             ;   in Loop: Header=BB10_2208 Depth=3
	s_and_not1_saveexec_b32 s40, s40
; %bb.2279:                             ;   in Loop: Header=BB10_2208 Depth=3
	v_and_b32_e32 v5, 0xffff, v61
	v_or_b32_e32 v112, 0x10000, v61
	s_delay_alu instid0(VALU_DEP_2) | instskip(NEXT) | instid1(VALU_DEP_2)
	v_cmp_eq_u32_e32 vcc_lo, 0, v5
	v_cndmask_b32_e32 v5, v112, v61, vcc_lo
; %bb.2280:                             ;   in Loop: Header=BB10_2208 Depth=3
	s_or_b32 exec_lo, exec_lo, s40
	v_and_b32_e32 v20, 0xffff0000, v20
	v_lshlrev_b32_e32 v85, 16, v85
	s_delay_alu instid0(VALU_DEP_1) | instskip(NEXT) | instid1(VALU_DEP_1)
	v_add_f32_e32 v85, v20, v85
	v_and_b32_e32 v20, 0x7f800000, v85
	s_delay_alu instid0(VALU_DEP_1) | instskip(SKIP_1) | instid1(SALU_CYCLE_1)
	v_cmp_ne_u32_e32 vcc_lo, 0x7f800000, v20
                                        ; implicit-def: $vgpr20
	s_and_saveexec_b32 s40, vcc_lo
	s_xor_b32 s40, exec_lo, s40
; %bb.2281:                             ;   in Loop: Header=BB10_2208 Depth=3
	v_bfe_u32 v20, v85, 16, 1
	s_delay_alu instid0(VALU_DEP_1)
	v_add3_u32 v20, v85, v20, 0x7fff
                                        ; implicit-def: $vgpr85
; %bb.2282:                             ;   in Loop: Header=BB10_2208 Depth=3
	s_and_not1_saveexec_b32 s40, s40
; %bb.2283:                             ;   in Loop: Header=BB10_2208 Depth=3
	v_and_b32_e32 v20, 0xffff, v85
	v_or_b32_e32 v112, 0x10000, v85
	s_delay_alu instid0(VALU_DEP_2) | instskip(NEXT) | instid1(VALU_DEP_2)
	v_cmp_eq_u32_e32 vcc_lo, 0, v20
	v_cndmask_b32_e32 v20, v112, v85, vcc_lo
; %bb.2284:                             ;   in Loop: Header=BB10_2208 Depth=3
	s_or_b32 exec_lo, exec_lo, s40
	v_and_b32_e32 v21, 0xffff0000, v21
	v_lshlrev_b32_e32 v84, 16, v84
	s_delay_alu instid0(VALU_DEP_1) | instskip(NEXT) | instid1(VALU_DEP_1)
	v_add_f32_e32 v84, v21, v84
	v_and_b32_e32 v21, 0x7f800000, v84
	s_delay_alu instid0(VALU_DEP_1) | instskip(SKIP_1) | instid1(SALU_CYCLE_1)
	v_cmp_ne_u32_e32 vcc_lo, 0x7f800000, v21
                                        ; implicit-def: $vgpr21
	s_and_saveexec_b32 s40, vcc_lo
	s_xor_b32 s40, exec_lo, s40
; %bb.2285:                             ;   in Loop: Header=BB10_2208 Depth=3
	v_bfe_u32 v21, v84, 16, 1
	s_delay_alu instid0(VALU_DEP_1)
	v_add3_u32 v21, v84, v21, 0x7fff
                                        ; implicit-def: $vgpr84
; %bb.2286:                             ;   in Loop: Header=BB10_2208 Depth=3
	s_and_not1_saveexec_b32 s40, s40
; %bb.2287:                             ;   in Loop: Header=BB10_2208 Depth=3
	v_and_b32_e32 v21, 0xffff, v84
	v_or_b32_e32 v85, 0x10000, v84
	s_delay_alu instid0(VALU_DEP_2) | instskip(NEXT) | instid1(VALU_DEP_2)
	v_cmp_eq_u32_e32 vcc_lo, 0, v21
	v_cndmask_b32_e32 v21, v85, v84, vcc_lo
; %bb.2288:                             ;   in Loop: Header=BB10_2208 Depth=3
	s_or_b32 exec_lo, exec_lo, s40
	v_and_b32_e32 v22, 0xffff0000, v22
	v_lshlrev_b32_e32 v84, 16, v60
	s_delay_alu instid0(VALU_DEP_1) | instskip(NEXT) | instid1(VALU_DEP_1)
	v_add_f32_e32 v84, v22, v84
	v_and_b32_e32 v22, 0x7f800000, v84
	s_delay_alu instid0(VALU_DEP_1) | instskip(SKIP_1) | instid1(SALU_CYCLE_1)
	v_cmp_ne_u32_e32 vcc_lo, 0x7f800000, v22
                                        ; implicit-def: $vgpr22
	s_and_saveexec_b32 s40, vcc_lo
	s_xor_b32 s40, exec_lo, s40
; %bb.2289:                             ;   in Loop: Header=BB10_2208 Depth=3
	v_bfe_u32 v22, v84, 16, 1
	s_delay_alu instid0(VALU_DEP_1)
	v_add3_u32 v22, v84, v22, 0x7fff
                                        ; implicit-def: $vgpr84
; %bb.2290:                             ;   in Loop: Header=BB10_2208 Depth=3
	s_and_not1_saveexec_b32 s40, s40
; %bb.2291:                             ;   in Loop: Header=BB10_2208 Depth=3
	v_and_b32_e32 v22, 0xffff, v84
	v_or_b32_e32 v85, 0x10000, v84
	s_delay_alu instid0(VALU_DEP_2) | instskip(NEXT) | instid1(VALU_DEP_2)
	v_cmp_eq_u32_e32 vcc_lo, 0, v22
	v_cndmask_b32_e32 v22, v85, v84, vcc_lo
; %bb.2292:                             ;   in Loop: Header=BB10_2208 Depth=3
	s_or_b32 exec_lo, exec_lo, s40
	v_and_b32_e32 v23, 0xffff0000, v23
	v_lshlrev_b32_e32 v84, 16, v41
	s_delay_alu instid0(VALU_DEP_1) | instskip(NEXT) | instid1(VALU_DEP_1)
	v_add_f32_e32 v84, v23, v84
	v_and_b32_e32 v23, 0x7f800000, v84
	s_delay_alu instid0(VALU_DEP_1) | instskip(SKIP_1) | instid1(SALU_CYCLE_1)
	v_cmp_ne_u32_e32 vcc_lo, 0x7f800000, v23
                                        ; implicit-def: $vgpr23
	s_and_saveexec_b32 s40, vcc_lo
	s_xor_b32 s40, exec_lo, s40
; %bb.2293:                             ;   in Loop: Header=BB10_2208 Depth=3
	v_bfe_u32 v23, v84, 16, 1
	s_delay_alu instid0(VALU_DEP_1)
	v_add3_u32 v23, v84, v23, 0x7fff
                                        ; implicit-def: $vgpr84
; %bb.2294:                             ;   in Loop: Header=BB10_2208 Depth=3
	s_and_not1_saveexec_b32 s40, s40
; %bb.2295:                             ;   in Loop: Header=BB10_2208 Depth=3
	v_and_b32_e32 v23, 0xffff, v84
	v_or_b32_e32 v85, 0x10000, v84
	s_delay_alu instid0(VALU_DEP_2) | instskip(NEXT) | instid1(VALU_DEP_2)
	v_cmp_eq_u32_e32 vcc_lo, 0, v23
	v_cndmask_b32_e32 v23, v85, v84, vcc_lo
; %bb.2296:                             ;   in Loop: Header=BB10_2208 Depth=3
	s_or_b32 exec_lo, exec_lo, s40
	v_and_b32_e32 v24, 0xffff0000, v24
	v_lshlrev_b32_e32 v84, 16, v40
	s_delay_alu instid0(VALU_DEP_1) | instskip(NEXT) | instid1(VALU_DEP_1)
	v_add_f32_e32 v84, v24, v84
	v_and_b32_e32 v24, 0x7f800000, v84
	s_delay_alu instid0(VALU_DEP_1) | instskip(SKIP_1) | instid1(SALU_CYCLE_1)
	v_cmp_ne_u32_e32 vcc_lo, 0x7f800000, v24
                                        ; implicit-def: $vgpr24
	s_and_saveexec_b32 s40, vcc_lo
	s_xor_b32 s40, exec_lo, s40
; %bb.2297:                             ;   in Loop: Header=BB10_2208 Depth=3
	v_bfe_u32 v24, v84, 16, 1
	s_delay_alu instid0(VALU_DEP_1)
	v_add3_u32 v24, v84, v24, 0x7fff
                                        ; implicit-def: $vgpr84
; %bb.2298:                             ;   in Loop: Header=BB10_2208 Depth=3
	s_and_not1_saveexec_b32 s40, s40
; %bb.2299:                             ;   in Loop: Header=BB10_2208 Depth=3
	v_and_b32_e32 v24, 0xffff, v84
	v_or_b32_e32 v85, 0x10000, v84
	s_delay_alu instid0(VALU_DEP_2) | instskip(NEXT) | instid1(VALU_DEP_2)
	v_cmp_eq_u32_e32 vcc_lo, 0, v24
	v_cndmask_b32_e32 v24, v85, v84, vcc_lo
; %bb.2300:                             ;   in Loop: Header=BB10_2208 Depth=3
	s_or_b32 exec_lo, exec_lo, s40
	v_and_b32_e32 v25, 0xffff0000, v25
	v_lshlrev_b32_e32 v84, 16, v115
	s_delay_alu instid0(VALU_DEP_1) | instskip(NEXT) | instid1(VALU_DEP_1)
	v_add_f32_e32 v84, v25, v84
	v_and_b32_e32 v25, 0x7f800000, v84
	s_delay_alu instid0(VALU_DEP_1) | instskip(SKIP_1) | instid1(SALU_CYCLE_1)
	v_cmp_ne_u32_e32 vcc_lo, 0x7f800000, v25
                                        ; implicit-def: $vgpr25
	s_and_saveexec_b32 s40, vcc_lo
	s_xor_b32 s40, exec_lo, s40
; %bb.2301:                             ;   in Loop: Header=BB10_2208 Depth=3
	v_bfe_u32 v25, v84, 16, 1
	s_delay_alu instid0(VALU_DEP_1)
	v_add3_u32 v25, v84, v25, 0x7fff
                                        ; implicit-def: $vgpr84
; %bb.2302:                             ;   in Loop: Header=BB10_2208 Depth=3
	s_and_not1_saveexec_b32 s40, s40
; %bb.2303:                             ;   in Loop: Header=BB10_2208 Depth=3
	v_and_b32_e32 v25, 0xffff, v84
	v_or_b32_e32 v85, 0x10000, v84
	s_delay_alu instid0(VALU_DEP_2) | instskip(NEXT) | instid1(VALU_DEP_2)
	v_cmp_eq_u32_e32 vcc_lo, 0, v25
	v_cndmask_b32_e32 v25, v85, v84, vcc_lo
; %bb.2304:                             ;   in Loop: Header=BB10_2208 Depth=3
	s_or_b32 exec_lo, exec_lo, s40
	v_and_b32_e32 v26, 0xffff0000, v26
	s_wait_loadcnt_dscnt 0x707
	v_lshlrev_b32_e32 v84, 16, v114
	s_delay_alu instid0(VALU_DEP_1) | instskip(NEXT) | instid1(VALU_DEP_1)
	v_add_f32_e32 v84, v26, v84
	v_and_b32_e32 v26, 0x7f800000, v84
	s_delay_alu instid0(VALU_DEP_1) | instskip(SKIP_1) | instid1(SALU_CYCLE_1)
	v_cmp_ne_u32_e32 vcc_lo, 0x7f800000, v26
                                        ; implicit-def: $vgpr26
	s_and_saveexec_b32 s40, vcc_lo
	s_xor_b32 s40, exec_lo, s40
; %bb.2305:                             ;   in Loop: Header=BB10_2208 Depth=3
	v_bfe_u32 v26, v84, 16, 1
	s_delay_alu instid0(VALU_DEP_1)
	v_add3_u32 v26, v84, v26, 0x7fff
                                        ; implicit-def: $vgpr84
; %bb.2306:                             ;   in Loop: Header=BB10_2208 Depth=3
	s_and_not1_saveexec_b32 s40, s40
; %bb.2307:                             ;   in Loop: Header=BB10_2208 Depth=3
	v_and_b32_e32 v26, 0xffff, v84
	v_or_b32_e32 v85, 0x10000, v84
	s_delay_alu instid0(VALU_DEP_2) | instskip(NEXT) | instid1(VALU_DEP_2)
	v_cmp_eq_u32_e32 vcc_lo, 0, v26
	v_cndmask_b32_e32 v26, v85, v84, vcc_lo
; %bb.2308:                             ;   in Loop: Header=BB10_2208 Depth=3
	s_or_b32 exec_lo, exec_lo, s40
	v_and_b32_e32 v27, 0xffff0000, v27
	s_wait_loadcnt_dscnt 0x606
	v_lshlrev_b32_e32 v55, 16, v55
	s_delay_alu instid0(VALU_DEP_1) | instskip(NEXT) | instid1(VALU_DEP_1)
	v_add_f32_e32 v55, v27, v55
	v_and_b32_e32 v27, 0x7f800000, v55
	s_delay_alu instid0(VALU_DEP_1) | instskip(SKIP_1) | instid1(SALU_CYCLE_1)
	v_cmp_ne_u32_e32 vcc_lo, 0x7f800000, v27
                                        ; implicit-def: $vgpr27
	s_and_saveexec_b32 s40, vcc_lo
	s_xor_b32 s40, exec_lo, s40
; %bb.2309:                             ;   in Loop: Header=BB10_2208 Depth=3
	v_bfe_u32 v27, v55, 16, 1
	s_delay_alu instid0(VALU_DEP_1)
	v_add3_u32 v27, v55, v27, 0x7fff
                                        ; implicit-def: $vgpr55
; %bb.2310:                             ;   in Loop: Header=BB10_2208 Depth=3
	s_and_not1_saveexec_b32 s40, s40
; %bb.2311:                             ;   in Loop: Header=BB10_2208 Depth=3
	v_and_b32_e32 v27, 0xffff, v55
	v_or_b32_e32 v84, 0x10000, v55
	s_delay_alu instid0(VALU_DEP_2) | instskip(NEXT) | instid1(VALU_DEP_2)
	v_cmp_eq_u32_e32 vcc_lo, 0, v27
	v_cndmask_b32_e32 v27, v84, v55, vcc_lo
; %bb.2312:                             ;   in Loop: Header=BB10_2208 Depth=3
	s_or_b32 exec_lo, exec_lo, s40
	v_and_b32_e32 v28, 0xffff0000, v28
	s_wait_loadcnt_dscnt 0x505
	v_lshlrev_b32_e32 v54, 16, v54
	s_delay_alu instid0(VALU_DEP_1) | instskip(NEXT) | instid1(VALU_DEP_1)
	v_add_f32_e32 v54, v28, v54
	v_and_b32_e32 v28, 0x7f800000, v54
	s_delay_alu instid0(VALU_DEP_1) | instskip(SKIP_1) | instid1(SALU_CYCLE_1)
	v_cmp_ne_u32_e32 vcc_lo, 0x7f800000, v28
                                        ; implicit-def: $vgpr28
	s_and_saveexec_b32 s40, vcc_lo
	s_xor_b32 s40, exec_lo, s40
; %bb.2313:                             ;   in Loop: Header=BB10_2208 Depth=3
	v_bfe_u32 v28, v54, 16, 1
	s_delay_alu instid0(VALU_DEP_1)
	v_add3_u32 v28, v54, v28, 0x7fff
                                        ; implicit-def: $vgpr54
; %bb.2314:                             ;   in Loop: Header=BB10_2208 Depth=3
	s_and_not1_saveexec_b32 s40, s40
; %bb.2315:                             ;   in Loop: Header=BB10_2208 Depth=3
	v_and_b32_e32 v28, 0xffff, v54
	v_or_b32_e32 v55, 0x10000, v54
	s_delay_alu instid0(VALU_DEP_2) | instskip(NEXT) | instid1(VALU_DEP_2)
	v_cmp_eq_u32_e32 vcc_lo, 0, v28
	v_cndmask_b32_e32 v28, v55, v54, vcc_lo
; %bb.2316:                             ;   in Loop: Header=BB10_2208 Depth=3
	s_or_b32 exec_lo, exec_lo, s40
	v_and_b32_e32 v29, 0xffff0000, v29
	s_wait_loadcnt_dscnt 0x404
	v_lshlrev_b32_e32 v54, 16, v45
	s_delay_alu instid0(VALU_DEP_1) | instskip(NEXT) | instid1(VALU_DEP_1)
	v_add_f32_e32 v54, v29, v54
	v_and_b32_e32 v29, 0x7f800000, v54
	s_delay_alu instid0(VALU_DEP_1) | instskip(SKIP_1) | instid1(SALU_CYCLE_1)
	v_cmp_ne_u32_e32 vcc_lo, 0x7f800000, v29
                                        ; implicit-def: $vgpr29
	s_and_saveexec_b32 s40, vcc_lo
	s_xor_b32 s40, exec_lo, s40
; %bb.2317:                             ;   in Loop: Header=BB10_2208 Depth=3
	v_bfe_u32 v29, v54, 16, 1
	s_delay_alu instid0(VALU_DEP_1)
	v_add3_u32 v29, v54, v29, 0x7fff
                                        ; implicit-def: $vgpr54
; %bb.2318:                             ;   in Loop: Header=BB10_2208 Depth=3
	s_and_not1_saveexec_b32 s40, s40
; %bb.2319:                             ;   in Loop: Header=BB10_2208 Depth=3
	v_and_b32_e32 v29, 0xffff, v54
	v_or_b32_e32 v55, 0x10000, v54
	s_delay_alu instid0(VALU_DEP_2) | instskip(NEXT) | instid1(VALU_DEP_2)
	v_cmp_eq_u32_e32 vcc_lo, 0, v29
	v_cndmask_b32_e32 v29, v55, v54, vcc_lo
; %bb.2320:                             ;   in Loop: Header=BB10_2208 Depth=3
	s_or_b32 exec_lo, exec_lo, s40
	v_and_b32_e32 v54, 0xffff0000, v64
	s_wait_loadcnt_dscnt 0x303
	v_lshlrev_b32_e32 v55, 16, v119
	s_delay_alu instid0(VALU_DEP_1) | instskip(NEXT) | instid1(VALU_DEP_1)
	v_add_f32_e32 v55, v54, v55
	v_and_b32_e32 v54, 0x7f800000, v55
	s_delay_alu instid0(VALU_DEP_1) | instskip(SKIP_1) | instid1(SALU_CYCLE_1)
	v_cmp_ne_u32_e32 vcc_lo, 0x7f800000, v54
                                        ; implicit-def: $vgpr54
	s_and_saveexec_b32 s40, vcc_lo
	s_xor_b32 s40, exec_lo, s40
; %bb.2321:                             ;   in Loop: Header=BB10_2208 Depth=3
	v_bfe_u32 v54, v55, 16, 1
	s_delay_alu instid0(VALU_DEP_1)
	v_add3_u32 v54, v55, v54, 0x7fff
                                        ; implicit-def: $vgpr55
; %bb.2322:                             ;   in Loop: Header=BB10_2208 Depth=3
	s_and_not1_saveexec_b32 s40, s40
; %bb.2323:                             ;   in Loop: Header=BB10_2208 Depth=3
	v_and_b32_e32 v54, 0xffff, v55
	v_or_b32_e32 v64, 0x10000, v55
	s_delay_alu instid0(VALU_DEP_2) | instskip(NEXT) | instid1(VALU_DEP_2)
	v_cmp_eq_u32_e32 vcc_lo, 0, v54
	v_cndmask_b32_e32 v54, v64, v55, vcc_lo
; %bb.2324:                             ;   in Loop: Header=BB10_2208 Depth=3
	s_or_b32 exec_lo, exec_lo, s40
	v_and_b32_e32 v55, 0xffff0000, v65
	s_wait_loadcnt_dscnt 0x202
	v_lshlrev_b32_e32 v64, 16, v118
	s_delay_alu instid0(VALU_DEP_1) | instskip(NEXT) | instid1(VALU_DEP_1)
	v_add_f32_e32 v64, v55, v64
	v_and_b32_e32 v55, 0x7f800000, v64
	s_delay_alu instid0(VALU_DEP_1) | instskip(SKIP_1) | instid1(SALU_CYCLE_1)
	v_cmp_ne_u32_e32 vcc_lo, 0x7f800000, v55
                                        ; implicit-def: $vgpr55
	s_and_saveexec_b32 s40, vcc_lo
	s_xor_b32 s40, exec_lo, s40
; %bb.2325:                             ;   in Loop: Header=BB10_2208 Depth=3
	v_bfe_u32 v55, v64, 16, 1
	s_delay_alu instid0(VALU_DEP_1)
	v_add3_u32 v55, v64, v55, 0x7fff
                                        ; implicit-def: $vgpr64
; %bb.2326:                             ;   in Loop: Header=BB10_2208 Depth=3
	s_and_not1_saveexec_b32 s40, s40
; %bb.2327:                             ;   in Loop: Header=BB10_2208 Depth=3
	v_and_b32_e32 v55, 0xffff, v64
	v_or_b32_e32 v65, 0x10000, v64
	s_delay_alu instid0(VALU_DEP_2) | instskip(NEXT) | instid1(VALU_DEP_2)
	v_cmp_eq_u32_e32 vcc_lo, 0, v55
	v_cndmask_b32_e32 v55, v65, v64, vcc_lo
; %bb.2328:                             ;   in Loop: Header=BB10_2208 Depth=3
	s_or_b32 exec_lo, exec_lo, s40
	v_and_b32_e32 v64, 0xffff0000, v66
	s_wait_loadcnt_dscnt 0x101
	v_lshlrev_b32_e32 v1, 16, v1
	s_delay_alu instid0(VALU_DEP_1) | instskip(NEXT) | instid1(VALU_DEP_1)
	v_add_f32_e32 v64, v64, v1
	v_and_b32_e32 v1, 0x7f800000, v64
	s_delay_alu instid0(VALU_DEP_1) | instskip(SKIP_1) | instid1(SALU_CYCLE_1)
	v_cmp_ne_u32_e32 vcc_lo, 0x7f800000, v1
                                        ; implicit-def: $vgpr1
	s_and_saveexec_b32 s40, vcc_lo
	s_xor_b32 s40, exec_lo, s40
; %bb.2329:                             ;   in Loop: Header=BB10_2208 Depth=3
	v_bfe_u32 v1, v64, 16, 1
	s_delay_alu instid0(VALU_DEP_1)
	v_add3_u32 v1, v64, v1, 0x7fff
                                        ; implicit-def: $vgpr64
; %bb.2330:                             ;   in Loop: Header=BB10_2208 Depth=3
	s_and_not1_saveexec_b32 s40, s40
; %bb.2331:                             ;   in Loop: Header=BB10_2208 Depth=3
	v_and_b32_e32 v1, 0xffff, v64
	v_or_b32_e32 v65, 0x10000, v64
	s_delay_alu instid0(VALU_DEP_2) | instskip(NEXT) | instid1(VALU_DEP_2)
	v_cmp_eq_u32_e32 vcc_lo, 0, v1
	v_cndmask_b32_e32 v1, v65, v64, vcc_lo
; %bb.2332:                             ;   in Loop: Header=BB10_2208 Depth=3
	s_or_b32 exec_lo, exec_lo, s40
	v_and_b32_e32 v64, 0xffff0000, v67
	s_wait_loadcnt_dscnt 0x0
	v_lshlrev_b32_e32 v31, 16, v31
	s_delay_alu instid0(VALU_DEP_1) | instskip(NEXT) | instid1(VALU_DEP_1)
	v_add_f32_e32 v64, v64, v31
	v_and_b32_e32 v31, 0x7f800000, v64
	s_delay_alu instid0(VALU_DEP_1) | instskip(SKIP_1) | instid1(SALU_CYCLE_1)
	v_cmp_ne_u32_e32 vcc_lo, 0x7f800000, v31
                                        ; implicit-def: $vgpr31
	s_and_saveexec_b32 s40, vcc_lo
	s_xor_b32 s40, exec_lo, s40
; %bb.2333:                             ;   in Loop: Header=BB10_2208 Depth=3
	v_bfe_u32 v31, v64, 16, 1
	s_delay_alu instid0(VALU_DEP_1)
	v_add3_u32 v31, v64, v31, 0x7fff
                                        ; implicit-def: $vgpr64
; %bb.2334:                             ;   in Loop: Header=BB10_2208 Depth=3
	s_and_not1_saveexec_b32 s40, s40
	s_cbranch_execz .LBB10_2207
; %bb.2335:                             ;   in Loop: Header=BB10_2208 Depth=3
	v_and_b32_e32 v31, 0xffff, v64
	v_or_b32_e32 v65, 0x10000, v64
	s_delay_alu instid0(VALU_DEP_2) | instskip(NEXT) | instid1(VALU_DEP_2)
	v_cmp_eq_u32_e32 vcc_lo, 0, v31
	v_cndmask_b32_e32 v31, v65, v64, vcc_lo
	s_branch .LBB10_2207
.LBB10_2336:                            ;   in Loop: Header=BB10_1307 Depth=2
	s_or_b32 exec_lo, exec_lo, s15
.LBB10_2337:                            ;   in Loop: Header=BB10_1307 Depth=2
	s_delay_alu instid0(SALU_CYCLE_1) | instskip(SKIP_1) | instid1(VALU_DEP_1)
	s_or_b32 exec_lo, exec_lo, s14
	v_lshlrev_b32_e32 v1, 10, v18
	v_cmp_ne_u32_e32 vcc_lo, v43, v1
	s_and_b32 exec_lo, exec_lo, vcc_lo
	s_cbranch_execz .LBB10_2349
; %bb.2338:                             ;   in Loop: Header=BB10_1307 Depth=2
	v_dual_lshlrev_b32 v4, 5, v16 :: v_dual_lshlrev_b32 v5, 5, v17
	s_delay_alu instid0(VALU_DEP_1) | instskip(NEXT) | instid1(VALU_DEP_1)
	v_sub_nc_u32_e32 v4, v15, v4
	v_sub_nc_u32_e32 v4, v4, v5
	s_delay_alu instid0(VALU_DEP_1) | instskip(NEXT) | instid1(VALU_DEP_1)
	v_ashrrev_i32_e32 v5, 31, v4
	v_lshrrev_b32_e32 v5, 27, v5
	s_delay_alu instid0(VALU_DEP_1) | instskip(NEXT) | instid1(VALU_DEP_1)
	v_add_nc_u32_e32 v5, v4, v5
	v_and_b32_e32 v8, 0x7fffffe0, v5
	s_delay_alu instid0(VALU_DEP_1) | instskip(NEXT) | instid1(VALU_DEP_1)
	v_dual_lshlrev_b32 v5, 1, v5 :: v_dual_sub_nc_u32 v4, v4, v8
	v_and_b32_e32 v5, 0xffffffc0, v5
	s_delay_alu instid0(VALU_DEP_2) | instskip(NEXT) | instid1(VALU_DEP_1)
	v_lshlrev_b32_e32 v4, 1, v4
	v_add3_u32 v4, v5, v4, v1
	s_delay_alu instid0(VALU_DEP_1) | instskip(NEXT) | instid1(VALU_DEP_1)
	v_sub_nc_u32_e32 v1, v43, v4
	v_cmp_lt_i32_e32 vcc_lo, 1, v1
	s_and_b32 exec_lo, exec_lo, vcc_lo
	s_cbranch_execz .LBB10_2349
; %bb.2339:                             ;   in Loop: Header=BB10_1307 Depth=2
	s_trap 2
	ds_load_b64 v[10:11], v0
	ds_load_b32 v15, v0
	v_add_nc_u32_e32 v4, v4, v14
	s_mov_b32 s14, 0
	s_delay_alu instid0(VALU_DEP_1) | instskip(NEXT) | instid1(VALU_DEP_1)
	v_ashrrev_i32_e32 v5, 31, v4
	v_add_nc_u64_e32 v[8:9], v[4:5], v[56:57]
	v_add_nc_u64_e32 v[12:13], v[4:5], v[58:59]
	s_wait_dscnt 0x1
	v_add_nc_u64_e32 v[10:11], v[10:11], v[4:5]
	s_wait_dscnt 0x0
	v_lshlrev_b32_e32 v4, 16, v15
	s_branch .LBB10_2341
.LBB10_2340:                            ;   in Loop: Header=BB10_2341 Depth=3
	s_or_b32 exec_lo, exec_lo, s15
	v_sub_nc_u32_e32 v1, v1, v82
	flat_store_d16_hi_b16 v[12:13], v5 th:TH_STORE_NT
	v_add_nc_u64_e32 v[8:9], v[8:9], v[82:83]
	v_add_nc_u64_e32 v[10:11], v[10:11], v[82:83]
	s_wait_xcnt 0x0
	v_add_nc_u64_e32 v[12:13], v[12:13], v[82:83]
	v_cmp_gt_i32_e32 vcc_lo, 2, v1
	s_or_b32 s14, vcc_lo, s14
	s_delay_alu instid0(SALU_CYCLE_1)
	s_and_not1_b32 exec_lo, exec_lo, s14
	s_cbranch_execz .LBB10_2349
.LBB10_2341:                            ;   Parent Loop BB10_47 Depth=1
                                        ;     Parent Loop BB10_1307 Depth=2
                                        ; =>    This Inner Loop Header: Depth=3
	flat_load_u16 v5, v[8:9] th:TH_LOAD_NT
	s_wait_loadcnt_dscnt 0x0
	v_lshlrev_b32_e32 v5, 16, v5
	s_delay_alu instid0(VALU_DEP_1) | instskip(NEXT) | instid1(VALU_DEP_1)
	v_mul_f32_e32 v5, v4, v5
	v_and_b32_e32 v14, 0x7f800000, v5
	s_delay_alu instid0(VALU_DEP_1) | instskip(SKIP_2) | instid1(SALU_CYCLE_1)
	v_cmp_ne_u32_e32 vcc_lo, 0x7f800000, v14
                                        ; implicit-def: $vgpr14
	s_wait_xcnt 0x0
	s_and_saveexec_b32 s15, vcc_lo
	s_xor_b32 s15, exec_lo, s15
; %bb.2342:                             ;   in Loop: Header=BB10_2341 Depth=3
	v_bfe_u32 v14, v5, 16, 1
	s_delay_alu instid0(VALU_DEP_1)
	v_add3_u32 v14, v5, v14, 0x7fff
                                        ; implicit-def: $vgpr5
; %bb.2343:                             ;   in Loop: Header=BB10_2341 Depth=3
	s_and_not1_saveexec_b32 s15, s15
; %bb.2344:                             ;   in Loop: Header=BB10_2341 Depth=3
	v_and_b32_e32 v14, 0xffff, v5
	v_or_b32_e32 v15, 0x10000, v5
	s_delay_alu instid0(VALU_DEP_2) | instskip(NEXT) | instid1(VALU_DEP_2)
	v_cmp_eq_u32_e32 vcc_lo, 0, v14
	v_cndmask_b32_e32 v14, v15, v5, vcc_lo
; %bb.2345:                             ;   in Loop: Header=BB10_2341 Depth=3
	s_or_b32 exec_lo, exec_lo, s15
	flat_load_u16 v5, v[10:11] th:TH_LOAD_NT
	v_and_b32_e32 v14, 0xffff0000, v14
	s_wait_loadcnt_dscnt 0x0
	v_lshlrev_b32_e32 v5, 16, v5
	s_delay_alu instid0(VALU_DEP_1) | instskip(NEXT) | instid1(VALU_DEP_1)
	v_add_f32_e32 v14, v14, v5
	v_and_b32_e32 v5, 0x7f800000, v14
	s_delay_alu instid0(VALU_DEP_1) | instskip(SKIP_2) | instid1(SALU_CYCLE_1)
	v_cmp_ne_u32_e32 vcc_lo, 0x7f800000, v5
                                        ; implicit-def: $vgpr5
	s_wait_xcnt 0x0
	s_and_saveexec_b32 s15, vcc_lo
	s_xor_b32 s15, exec_lo, s15
; %bb.2346:                             ;   in Loop: Header=BB10_2341 Depth=3
	v_bfe_u32 v5, v14, 16, 1
	s_delay_alu instid0(VALU_DEP_1)
	v_add3_u32 v5, v14, v5, 0x7fff
                                        ; implicit-def: $vgpr14
; %bb.2347:                             ;   in Loop: Header=BB10_2341 Depth=3
	s_and_not1_saveexec_b32 s15, s15
	s_cbranch_execz .LBB10_2340
; %bb.2348:                             ;   in Loop: Header=BB10_2341 Depth=3
	v_and_b32_e32 v5, 0xffff, v14
	v_or_b32_e32 v15, 0x10000, v14
	s_delay_alu instid0(VALU_DEP_2) | instskip(NEXT) | instid1(VALU_DEP_2)
	v_cmp_eq_u32_e32 vcc_lo, 0, v5
	v_cndmask_b32_e32 v5, v15, v14, vcc_lo
	s_branch .LBB10_2340
.LBB10_2349:                            ;   in Loop: Header=BB10_1307 Depth=2
	s_or_b32 exec_lo, exec_lo, s13
.LBB10_2350:                            ;   in Loop: Header=BB10_1307 Depth=2
	v_cmp_lt_i32_e64 s13, 0, v2
	s_and_saveexec_b32 s14, s2
	s_cbranch_execz .LBB10_1383
.LBB10_2351:                            ;   in Loop: Header=BB10_1307 Depth=2
	s_and_saveexec_b32 s15, s3
	s_delay_alu instid0(SALU_CYCLE_1)
	s_xor_b32 s15, exec_lo, s15
	s_cbranch_execz .LBB10_2366
; %bb.2352:                             ;   in Loop: Header=BB10_1307 Depth=2
	s_and_saveexec_b32 s40, s6
	s_cbranch_execz .LBB10_2365
; %bb.2353:                             ;   in Loop: Header=BB10_1307 Depth=2
	s_mov_b32 s62, exec_lo
	s_mov_b32 s41, exec_lo
	v_mbcnt_lo_u32_b32 v1, s62, 0
	global_wb scope:SCOPE_DEV
	s_wait_storecnt 0x0
	s_wait_loadcnt_dscnt 0x0
	global_inv scope:SCOPE_DEV
	v_cmpx_eq_u32_e32 0, v1
	s_cbranch_execz .LBB10_2355
; %bb.2354:                             ;   in Loop: Header=BB10_1307 Depth=2
	s_bcnt1_i32_b32 s62, s62
	s_delay_alu instid0(SALU_CYCLE_1)
	v_mov_b32_e32 v2, s62
	s_wait_loadcnt 0x0
	ds_add_u64 v0, v[2:3]
	s_trap 2
.LBB10_2355:                            ;   in Loop: Header=BB10_1307 Depth=2
	s_or_b32 exec_lo, exec_lo, s41
	s_trap 2
	ds_load_b64 v[4:5], v0
	s_wait_dscnt 0x0
	v_add_nc_u64_e32 v[48:49], v[48:49], v[52:53]
	s_mov_b32 s41, exec_lo
	s_delay_alu instid0(VALU_DEP_1)
	v_cmpx_lt_u64_e64 v[4:5], v[48:49]
	s_cbranch_execz .LBB10_2364
; %bb.2356:                             ;   in Loop: Header=BB10_1307 Depth=2
	s_mov_b32 s62, 0
	s_mov_b32 s73, 0
                                        ; implicit-def: $sgpr63
                                        ; implicit-def: $sgpr72
	s_branch .LBB10_2358
.LBB10_2357:                            ;   in Loop: Header=BB10_2358 Depth=3
	s_or_b32 exec_lo, exec_lo, s75
	s_delay_alu instid0(SALU_CYCLE_1) | instskip(NEXT) | instid1(SALU_CYCLE_1)
	s_and_b32 s74, exec_lo, s76
	s_or_b32 s62, s74, s62
	s_and_not1_b32 s63, s63, exec_lo
	s_and_b32 s74, s72, exec_lo
	s_delay_alu instid0(SALU_CYCLE_1)
	s_or_b32 s63, s63, s74
	s_and_not1_b32 exec_lo, exec_lo, s62
	s_cbranch_execz .LBB10_2362
.LBB10_2358:                            ;   Parent Loop BB10_47 Depth=1
                                        ;     Parent Loop BB10_1307 Depth=2
                                        ; =>    This Inner Loop Header: Depth=3
	s_add_co_i32 s73, s73, 1
	s_delay_alu instid0(SALU_CYCLE_1) | instskip(SKIP_1) | instid1(SALU_CYCLE_1)
	s_cmp_lg_u32 s73, 0x2710
	s_cselect_b32 s74, -1, 0
	s_and_b32 vcc_lo, exec_lo, s74
	s_cbranch_vccz .LBB10_2360
; %bb.2359:                             ;   in Loop: Header=BB10_2358 Depth=3
	s_mov_b32 s76, -1
	s_or_b32 s72, s72, exec_lo
	s_and_saveexec_b32 s75, s74
	s_cbranch_execz .LBB10_2357
	s_branch .LBB10_2361
.LBB10_2360:                            ;   in Loop: Header=BB10_2358 Depth=3
	s_trap 2
	ds_load_b64 v[4:5], v0
	s_and_not1_b32 s74, s74, exec_lo
	s_mov_b32 s73, 0
	s_wait_loadcnt_dscnt 0x0
	flat_load_b32 v1, v[4:5] scope:SCOPE_SYS
	s_wait_loadcnt_dscnt 0x0
	global_inv scope:SCOPE_SYS
	v_cmp_eq_u32_e32 vcc_lo, 0, v1
	s_and_b32 s75, vcc_lo, exec_lo
	s_delay_alu instid0(SALU_CYCLE_1)
	s_or_b32 s74, s74, s75
	s_mov_b32 s76, -1
	s_or_b32 s72, s72, exec_lo
	s_wait_xcnt 0x0
	s_and_saveexec_b32 s75, s74
	s_cbranch_execz .LBB10_2357
.LBB10_2361:                            ;   in Loop: Header=BB10_2358 Depth=3
	s_sleep 1
	s_trap 2
	ds_load_b64 v[4:5], v0
	s_wait_dscnt 0x0
	s_and_not1_b32 s72, s72, exec_lo
	v_cmp_ge_u64_e32 vcc_lo, v[4:5], v[48:49]
	s_or_not1_b32 s76, vcc_lo, exec_lo
	s_branch .LBB10_2357
.LBB10_2362:                            ;   in Loop: Header=BB10_1307 Depth=2
	s_or_b32 exec_lo, exec_lo, s62
	s_and_saveexec_b32 s62, s63
	s_delay_alu instid0(SALU_CYCLE_1)
	s_xor_b32 s62, exec_lo, s62
	s_cbranch_execz .LBB10_2364
; %bb.2363:                             ;   in Loop: Header=BB10_1307 Depth=2
	ds_store_b32 v0, v89
	s_trap 2
.LBB10_2364:                            ;   in Loop: Header=BB10_1307 Depth=2
	s_or_b32 exec_lo, exec_lo, s41
	;;#ASMSTART
	s_wakeup
	;;#ASMEND
.LBB10_2365:                            ;   in Loop: Header=BB10_1307 Depth=2
	s_or_b32 exec_lo, exec_lo, s40
.LBB10_2366:                            ;   in Loop: Header=BB10_1307 Depth=2
	s_and_not1_saveexec_b32 s15, s15
	s_cbranch_execz .LBB10_2368
; %bb.2367:                             ;   in Loop: Header=BB10_1307 Depth=2
	global_wb scope:SCOPE_DEV
	s_wait_storecnt 0x0
	s_wait_loadcnt_dscnt 0x0
	global_inv scope:SCOPE_DEV
	s_barrier_signal -1
	s_barrier_wait -1
.LBB10_2368:                            ;   in Loop: Header=BB10_1307 Depth=2
	s_or_b32 exec_lo, exec_lo, s15
	s_delay_alu instid0(SALU_CYCLE_1) | instskip(SKIP_1) | instid1(SALU_CYCLE_1)
	s_or_b32 exec_lo, exec_lo, s14
                                        ; implicit-def: $vgpr1
	s_and_saveexec_b32 s14, s12
	s_xor_b32 s14, exec_lo, s14
	s_cbranch_execnz .LBB10_1384
.LBB10_2369:                            ;   in Loop: Header=BB10_1307 Depth=2
	s_and_not1_saveexec_b32 s13, s14
	s_cbranch_execz .LBB10_2388
.LBB10_2370:                            ;   in Loop: Header=BB10_1307 Depth=2
	s_and_saveexec_b32 s14, s3
	s_delay_alu instid0(SALU_CYCLE_1)
	s_xor_b32 s14, exec_lo, s14
	s_cbranch_execz .LBB10_2385
; %bb.2371:                             ;   in Loop: Header=BB10_1307 Depth=2
	s_and_saveexec_b32 s15, s6
	s_cbranch_execz .LBB10_2384
; %bb.2372:                             ;   in Loop: Header=BB10_1307 Depth=2
	s_mov_b32 s41, exec_lo
	s_mov_b32 s40, exec_lo
	v_mbcnt_lo_u32_b32 v1, s41, 0
	;;#ASMSTART
	s_waitcnt lgkmcnt(0) vmcnt(0)
	;;#ASMEND
	s_delay_alu instid0(VALU_DEP_1)
	v_cmpx_eq_u32_e32 0, v1
	s_cbranch_execz .LBB10_2374
; %bb.2373:                             ;   in Loop: Header=BB10_1307 Depth=2
	s_bcnt1_i32_b32 s41, s41
	s_delay_alu instid0(SALU_CYCLE_1)
	v_mov_b32_e32 v2, s41
	s_wait_storecnt 0x0
	s_wait_loadcnt_dscnt 0x0
	ds_add_u64 v0, v[2:3]
	s_trap 2
.LBB10_2374:                            ;   in Loop: Header=BB10_1307 Depth=2
	s_or_b32 exec_lo, exec_lo, s40
	s_trap 2
	ds_load_b64 v[4:5], v0
	s_wait_dscnt 0x0
	v_add_nc_u64_e32 v[48:49], v[48:49], v[52:53]
	s_mov_b32 s40, exec_lo
	s_delay_alu instid0(VALU_DEP_1)
	v_cmpx_lt_u64_e64 v[4:5], v[48:49]
	s_cbranch_execz .LBB10_2383
; %bb.2375:                             ;   in Loop: Header=BB10_1307 Depth=2
	s_mov_b32 s41, 0
	s_mov_b32 s72, 0
                                        ; implicit-def: $sgpr62
                                        ; implicit-def: $sgpr63
	s_branch .LBB10_2377
.LBB10_2376:                            ;   in Loop: Header=BB10_2377 Depth=3
	s_or_b32 exec_lo, exec_lo, s74
	s_delay_alu instid0(SALU_CYCLE_1) | instskip(NEXT) | instid1(SALU_CYCLE_1)
	s_and_b32 s73, exec_lo, s75
	s_or_b32 s41, s73, s41
	s_and_not1_b32 s62, s62, exec_lo
	s_and_b32 s73, s63, exec_lo
	s_delay_alu instid0(SALU_CYCLE_1)
	s_or_b32 s62, s62, s73
	s_and_not1_b32 exec_lo, exec_lo, s41
	s_cbranch_execz .LBB10_2381
.LBB10_2377:                            ;   Parent Loop BB10_47 Depth=1
                                        ;     Parent Loop BB10_1307 Depth=2
                                        ; =>    This Inner Loop Header: Depth=3
	s_add_co_i32 s72, s72, 1
	s_delay_alu instid0(SALU_CYCLE_1) | instskip(SKIP_1) | instid1(SALU_CYCLE_1)
	s_cmp_lg_u32 s72, 0x2710
	s_cselect_b32 s73, -1, 0
	s_and_b32 vcc_lo, exec_lo, s73
	s_cbranch_vccz .LBB10_2379
; %bb.2378:                             ;   in Loop: Header=BB10_2377 Depth=3
	s_mov_b32 s75, -1
	s_or_b32 s63, s63, exec_lo
	s_and_saveexec_b32 s74, s73
	s_cbranch_execz .LBB10_2376
	s_branch .LBB10_2380
.LBB10_2379:                            ;   in Loop: Header=BB10_2377 Depth=3
	s_trap 2
	ds_load_b64 v[4:5], v0
	s_and_not1_b32 s73, s73, exec_lo
	s_mov_b32 s72, 0
	s_wait_storecnt 0x0
	s_wait_loadcnt_dscnt 0x0
	flat_load_b32 v1, v[4:5] scope:SCOPE_SYS
	s_wait_loadcnt_dscnt 0x0
	global_inv scope:SCOPE_SYS
	v_cmp_eq_u32_e32 vcc_lo, 0, v1
	s_and_b32 s74, vcc_lo, exec_lo
	s_delay_alu instid0(SALU_CYCLE_1)
	s_or_b32 s73, s73, s74
	s_mov_b32 s75, -1
	s_or_b32 s63, s63, exec_lo
	s_wait_xcnt 0x0
	s_and_saveexec_b32 s74, s73
	s_cbranch_execz .LBB10_2376
.LBB10_2380:                            ;   in Loop: Header=BB10_2377 Depth=3
	s_sleep 1
	s_trap 2
	ds_load_b64 v[4:5], v0
	s_wait_dscnt 0x0
	s_and_not1_b32 s63, s63, exec_lo
	v_cmp_ge_u64_e32 vcc_lo, v[4:5], v[48:49]
	s_or_not1_b32 s75, vcc_lo, exec_lo
	s_branch .LBB10_2376
.LBB10_2381:                            ;   in Loop: Header=BB10_1307 Depth=2
	s_or_b32 exec_lo, exec_lo, s41
	s_and_saveexec_b32 s41, s62
	s_delay_alu instid0(SALU_CYCLE_1)
	s_xor_b32 s41, exec_lo, s41
	s_cbranch_execz .LBB10_2383
; %bb.2382:                             ;   in Loop: Header=BB10_1307 Depth=2
	ds_store_b32 v0, v89
	s_trap 2
.LBB10_2383:                            ;   in Loop: Header=BB10_1307 Depth=2
	s_or_b32 exec_lo, exec_lo, s40
	;;#ASMSTART
	s_wakeup
	;;#ASMEND
.LBB10_2384:                            ;   in Loop: Header=BB10_1307 Depth=2
	s_or_b32 exec_lo, exec_lo, s15
.LBB10_2385:                            ;   in Loop: Header=BB10_1307 Depth=2
	s_and_not1_saveexec_b32 s14, s14
	s_cbranch_execz .LBB10_2387
; %bb.2386:                             ;   in Loop: Header=BB10_1307 Depth=2
	;;#ASMSTART
	s_waitcnt lgkmcnt(0) vmcnt(0)
	;;#ASMEND
	s_barrier_signal -1
	s_barrier_wait -1
.LBB10_2387:                            ;   in Loop: Header=BB10_1307 Depth=2
	s_or_b32 exec_lo, exec_lo, s14
	v_and_b32_e32 v1, 16, v30
.LBB10_2388:                            ;   in Loop: Header=BB10_1307 Depth=2
	s_or_b32 exec_lo, exec_lo, s13
	s_delay_alu instid0(VALU_DEP_1) | instskip(SKIP_1) | instid1(SALU_CYCLE_1)
	v_cmp_ne_u32_e32 vcc_lo, 0, v1
	s_xor_b32 s13, s4, -1
	s_and_b32 s14, vcc_lo, s13
	s_delay_alu instid0(SALU_CYCLE_1)
	s_and_saveexec_b32 s13, s14
	s_cbranch_execz .LBB10_2390
; %bb.2389:                             ;   in Loop: Header=BB10_1307 Depth=2
	global_wb scope:SCOPE_SYS
	s_wait_storecnt 0x0
	s_wait_loadcnt_dscnt 0x0
	flat_store_b32 v[38:39], v89 scope:SCOPE_SYS
.LBB10_2390:                            ;   in Loop: Header=BB10_1307 Depth=2
	s_wait_xcnt 0x0
	s_or_b32 exec_lo, exec_lo, s13
	v_and_b32_e32 v1, 48, v30
	s_mov_b32 s13, exec_lo
	s_delay_alu instid0(VALU_DEP_1)
	v_cmpx_ne_u32_e32 0, v1
	s_cbranch_execz .LBB10_1306
; %bb.2391:                             ;   in Loop: Header=BB10_1307 Depth=2
	v_add_nc_u64_e32 v[116:117], 2, v[116:117]
	global_wb scope:SCOPE_SYS
	s_wait_storecnt 0x0
	s_wait_loadcnt_dscnt 0x0
	flat_store_b64 v[32:33], v[116:117] scope:SCOPE_SYS
	s_branch .LBB10_1306
.LBB10_2392:                            ;   in Loop: Header=BB10_47 Depth=1
	s_or_b32 exec_lo, exec_lo, s27
.LBB10_2393:                            ;   in Loop: Header=BB10_47 Depth=1
	s_delay_alu instid0(SALU_CYCLE_1)
	s_or_b32 exec_lo, exec_lo, s18
	s_clause 0x1
	scratch_load_b64 v[40:41], off, s33 offset:220
	scratch_load_b64 v[46:47], off, s33 offset:228
	s_mov_b32 s14, exec_lo
	s_wait_xcnt 0x0
	v_cmpx_gt_i32_e32 2, v1
	s_cbranch_execz .LBB10_2469
; %bb.2394:                             ;   in Loop: Header=BB10_47 Depth=1
	v_cmp_eq_u32_e64 s18, 0, v1
	s_mov_b32 s15, 0
	s_branch .LBB10_2396
.LBB10_2395:                            ;   in Loop: Header=BB10_2396 Depth=2
	s_wait_xcnt 0x0
	s_or_b32 exec_lo, exec_lo, s13
	v_add_nc_u32_e32 v44, v42, v44
	s_mov_b32 s18, 0
	s_and_not1_b32 exec_lo, exec_lo, s15
	s_cbranch_execz .LBB10_2468
.LBB10_2396:                            ;   Parent Loop BB10_47 Depth=1
                                        ; =>  This Loop Header: Depth=2
                                        ;       Child Loop BB10_2402 Depth 3
                                        ;       Child Loop BB10_2430 Depth 3
	;; [unrolled: 1-line block ×3, first 2 shown]
	s_delay_alu instid0(VALU_DEP_1) | instskip(SKIP_1) | instid1(VALU_DEP_1)
	v_dual_sub_nc_u32 v1, v92, v44 :: v_dual_bitop2_b32 v2, 12, v30 bitop3:0x40
	s_mov_b32 s27, exec_lo
	v_min_i32_e32 v42, v42, v1
	s_delay_alu instid0(VALU_DEP_2)
	v_cmpx_ne_u32_e32 0, v2
	s_cbranch_execz .LBB10_2422
; %bb.2397:                             ;   in Loop: Header=BB10_2396 Depth=2
	v_and_b32_e32 v2, 8, v30
	v_add_nc_u64_e32 v[8:9], 2, v[116:117]
	s_mov_b32 s40, exec_lo
	s_wait_loadcnt_dscnt 0x1
	s_delay_alu instid0(VALU_DEP_2) | instskip(NEXT) | instid1(VALU_DEP_1)
	v_add_nc_u64_e32 v[4:5], v[50:51], v[2:3]
	v_cmpx_lt_u64_e64 v[4:5], v[8:9]
	s_cbranch_execz .LBB10_2409
; %bb.2398:                             ;   in Loop: Header=BB10_2396 Depth=2
	v_and_b32_e32 v1, 64, v30
	s_mov_b32 s41, 0
	s_mov_b32 s63, 0
                                        ; implicit-def: $sgpr60
                                        ; implicit-def: $sgpr61
                                        ; implicit-def: $sgpr62
	s_delay_alu instid0(VALU_DEP_1)
	v_cmp_eq_u32_e32 vcc_lo, 0, v1
	s_branch .LBB10_2402
.LBB10_2399:                            ;   in Loop: Header=BB10_2402 Depth=3
	s_wait_loadcnt_dscnt 0x0
	v_add_nc_u64_e32 v[4:5], v[50:51], v[2:3]
	s_or_b32 s74, s74, exec_lo
	s_delay_alu instid0(VALU_DEP_1)
	v_cmp_ge_u64_e64 s13, v[4:5], v[8:9]
	s_or_not1_b32 s73, s13, exec_lo
.LBB10_2400:                            ;   in Loop: Header=BB10_2402 Depth=3
	s_or_b32 exec_lo, exec_lo, s76
	s_delay_alu instid0(SALU_CYCLE_1)
	s_and_not1_b32 s13, s62, exec_lo
	s_and_b32 s62, s74, exec_lo
	s_and_not1_b32 s61, s61, exec_lo
	s_and_b32 s73, s73, exec_lo
	s_or_b32 s62, s13, s62
	s_or_b32 s61, s61, s73
.LBB10_2401:                            ;   in Loop: Header=BB10_2402 Depth=3
	s_or_b32 exec_lo, exec_lo, s72
	s_delay_alu instid0(SALU_CYCLE_1) | instskip(NEXT) | instid1(SALU_CYCLE_1)
	s_and_b32 s13, exec_lo, s61
	s_or_b32 s41, s13, s41
	s_and_not1_b32 s13, s60, exec_lo
	s_and_b32 s60, s62, exec_lo
	s_delay_alu instid0(SALU_CYCLE_1)
	s_or_b32 s60, s13, s60
	s_and_not1_b32 exec_lo, exec_lo, s41
	s_cbranch_execz .LBB10_2406
.LBB10_2402:                            ;   Parent Loop BB10_47 Depth=1
                                        ;     Parent Loop BB10_2396 Depth=2
                                        ; =>    This Inner Loop Header: Depth=3
	s_sleep 1
	s_wait_loadcnt_dscnt 0x0
	flat_load_b64 v[50:51], v[32:33] scope:SCOPE_SYS
	s_or_b32 s62, s62, exec_lo
	s_or_b32 s61, s61, exec_lo
                                        ; implicit-def: $vgpr1
	s_wait_xcnt 0x0
	s_and_saveexec_b32 s72, vcc_lo
	s_cbranch_execz .LBB10_2401
; %bb.2403:                             ;   in Loop: Header=BB10_2402 Depth=3
	s_cmp_lt_i32 s63, 0x270f
	s_mov_b32 s73, -1
	s_cselect_b32 s75, -1, 0
	s_cmp_gt_i32 s63, 0x270e
	s_cbranch_scc0 .LBB10_2405
; %bb.2404:                             ;   in Loop: Header=BB10_2402 Depth=3
	s_trap 2
	ds_load_b64 v[4:5], v0
	s_and_not1_b32 s63, s75, exec_lo
	s_mov_b32 s74, 0
	s_wait_storecnt 0x0
	s_wait_loadcnt_dscnt 0x0
	flat_load_b32 v1, v[4:5] scope:SCOPE_SYS
	s_wait_loadcnt_dscnt 0x0
	global_inv scope:SCOPE_SYS
	v_cmp_eq_u32_e64 s13, 0, v1
	s_and_b32 s13, s13, exec_lo
	s_delay_alu instid0(SALU_CYCLE_1)
	s_or_b32 s75, s63, s13
	s_mov_b32 s63, 0
	s_wait_xcnt 0x0
	s_and_saveexec_b32 s76, s75
	s_cbranch_execz .LBB10_2400
	s_branch .LBB10_2399
.LBB10_2405:                            ;   in Loop: Header=BB10_2402 Depth=3
	s_add_co_i32 s63, s63, 1
	s_mov_b32 s74, -1
                                        ; implicit-def: $vgpr1
	s_and_saveexec_b32 s76, s75
	s_cbranch_execz .LBB10_2400
	s_branch .LBB10_2399
.LBB10_2406:                            ;   in Loop: Header=BB10_2396 Depth=2
	s_or_b32 exec_lo, exec_lo, s41
	s_xor_b32 s13, s60, -1
	s_delay_alu instid0(SALU_CYCLE_1) | instskip(NEXT) | instid1(SALU_CYCLE_1)
	s_and_saveexec_b32 s41, s13
	s_xor_b32 s13, exec_lo, s41
	s_cbranch_execz .LBB10_2408
; %bb.2407:                             ;   in Loop: Header=BB10_2396 Depth=2
	v_or_b32_e32 v30, 64, v30
	s_wait_storecnt 0x0
	s_wait_loadcnt_dscnt 0x0
	ds_store_b32 v0, v1
	s_trap 2
.LBB10_2408:                            ;   in Loop: Header=BB10_2396 Depth=2
	s_or_b32 exec_lo, exec_lo, s13
.LBB10_2409:                            ;   in Loop: Header=BB10_2396 Depth=2
	s_delay_alu instid0(SALU_CYCLE_1) | instskip(SKIP_3) | instid1(VALU_DEP_1)
	s_or_b32 exec_lo, exec_lo, s40
	v_and_b32_e32 v1, 0x108, v30
	s_mov_b32 s13, exec_lo
	;;#ASMSTART
	s_wakeup
	;;#ASMEND
                                        ; implicit-def: $vgpr10_vgpr11
	v_cmpx_ne_u32_e32 0x108, v1
	s_xor_b32 s13, exec_lo, s13
; %bb.2410:                             ;   in Loop: Header=BB10_2396 Depth=2
	v_dual_mov_b32 v11, v3 :: v_dual_bitop2_b32 v10, 7, v116 bitop3:0x40
                                        ; implicit-def: $vgpr116_vgpr117
; %bb.2411:                             ;   in Loop: Header=BB10_2396 Depth=2
	s_and_not1_saveexec_b32 s13, s13
	s_cbranch_execz .LBB10_2413
; %bb.2412:                             ;   in Loop: Header=BB10_2396 Depth=2
	v_dual_ashrrev_i32 v43, 31, v42 :: v_dual_bitop2_b32 v10, 7, v116 bitop3:0x40
	v_mov_b32_e32 v11, v3
	s_delay_alu instid0(VALU_DEP_2) | instskip(NEXT) | instid1(VALU_DEP_3)
	v_mad_nc_u64_u32 v[4:5], v10, 24, v[6:7]
	v_lshlrev_b64_e32 v[12:13], 1, v[42:43]
	flat_store_b64 v[4:5], v[12:13] offset:8
.LBB10_2413:                            ;   in Loop: Header=BB10_2396 Depth=2
	s_wait_xcnt 0x0
	s_or_b32 exec_lo, exec_lo, s13
	v_and_b32_e32 v1, 0x100, v30
	s_mov_b32 s13, -1
	s_mov_b32 s40, exec_lo
                                        ; implicit-def: $vgpr12_vgpr13
	s_delay_alu instid0(VALU_DEP_1)
	v_cmpx_ne_u32_e32 0, v1
	s_cbranch_execz .LBB10_2417
; %bb.2414:                             ;   in Loop: Header=BB10_2396 Depth=2
	v_mad_nc_u64_u32 v[14:15], v10, 24, v[6:7]
	s_mov_b32 s41, exec_lo
                                        ; implicit-def: $vgpr12_vgpr13
	s_delay_alu instid0(VALU_DEP_1)
	v_mad_u32 v15, v11, 24, v15
	flat_load_b32 v1, v[14:15]
	s_wait_loadcnt_dscnt 0x0
	v_cmp_ne_u32_e32 vcc_lo, 1, v1
	s_wait_xcnt 0x0
	v_cmpx_eq_u32_e32 1, v1
	s_cbranch_execz .LBB10_2416
; %bb.2415:                             ;   in Loop: Header=BB10_2396 Depth=2
	flat_load_b32 v4, v[14:15] offset:4 scope:SCOPE_SYS
	s_wait_loadcnt_dscnt 0x0
	v_ashrrev_i32_e32 v5, 31, v4
	s_delay_alu instid0(VALU_DEP_1)
	v_lshrrev_b64 v[12:13], 1, v[4:5]
.LBB10_2416:                            ;   in Loop: Header=BB10_2396 Depth=2
	s_wait_xcnt 0x0
	s_or_b32 exec_lo, exec_lo, s41
	s_delay_alu instid0(SALU_CYCLE_1)
	s_or_not1_b32 s13, vcc_lo, exec_lo
.LBB10_2417:                            ;   in Loop: Header=BB10_2396 Depth=2
	s_or_b32 exec_lo, exec_lo, s40
	s_and_saveexec_b32 s40, s13
; %bb.2418:                             ;   in Loop: Header=BB10_2396 Depth=2
	v_mul_u64_e32 v[12:13], v[10:11], v[34:35]
; %bb.2419:                             ;   in Loop: Header=BB10_2396 Depth=2
	s_or_b32 exec_lo, exec_lo, s40
	v_cmp_eq_u32_e32 vcc_lo, 0, v2
	v_and_b32_e32 v2, 0x2000, v30
	s_delay_alu instid0(VALU_DEP_3) | instskip(SKIP_2) | instid1(VALU_DEP_1)
	v_lshl_add_u64 v[4:5], v[12:13], 1, v[36:37]
	s_mov_b32 s13, exec_lo
	v_cndmask_b32_e32 v1, 0xd0, v90, vcc_lo
	v_add_nc_u32_e32 v1, v0, v1
	ds_store_b64 v1, v[4:5] offset:584
	v_cmpx_ne_u32_e32 0, v2
	s_cbranch_execz .LBB10_2421
; %bb.2420:                             ;   in Loop: Header=BB10_2396 Depth=2
	ds_load_b64 v[4:5], v0 offset:872
	s_wait_dscnt 0x0
	v_add_nc_u64_e32 v[4:5], 1, v[4:5]
	ds_store_b64 v0, v[4:5] offset:872
.LBB10_2421:                            ;   in Loop: Header=BB10_2396 Depth=2
	s_or_b32 exec_lo, exec_lo, s13
	v_mov_b64_e32 v[116:117], v[8:9]
.LBB10_2422:                            ;   in Loop: Header=BB10_2396 Depth=2
	s_or_b32 exec_lo, exec_lo, s27
	s_xor_b32 s13, s18, -1
	s_delay_alu instid0(SALU_CYCLE_1) | instskip(NEXT) | instid1(SALU_CYCLE_1)
	s_and_b32 s13, exec_lo, s13
	s_or_b32 s15, s13, s15
	s_and_saveexec_b32 s13, s2
	s_cbranch_execz .LBB10_2441
; %bb.2423:                             ;   in Loop: Header=BB10_2396 Depth=2
	s_and_saveexec_b32 s18, s3
	s_delay_alu instid0(SALU_CYCLE_1)
	s_xor_b32 s18, exec_lo, s18
	s_cbranch_execz .LBB10_2438
; %bb.2424:                             ;   in Loop: Header=BB10_2396 Depth=2
	s_and_saveexec_b32 s27, s6
	s_cbranch_execz .LBB10_2437
; %bb.2425:                             ;   in Loop: Header=BB10_2396 Depth=2
	s_mov_b32 s41, exec_lo
	s_mov_b32 s40, exec_lo
	v_mbcnt_lo_u32_b32 v1, s41, 0
	global_wb scope:SCOPE_DEV
	s_wait_storecnt 0x0
	s_wait_loadcnt_dscnt 0x0
	global_inv scope:SCOPE_DEV
	v_cmpx_eq_u32_e32 0, v1
	s_cbranch_execz .LBB10_2427
; %bb.2426:                             ;   in Loop: Header=BB10_2396 Depth=2
	s_bcnt1_i32_b32 s41, s41
	s_delay_alu instid0(SALU_CYCLE_1)
	v_mov_b32_e32 v2, s41
	s_wait_loadcnt 0x0
	ds_add_u64 v0, v[2:3]
	s_trap 2
.LBB10_2427:                            ;   in Loop: Header=BB10_2396 Depth=2
	s_or_b32 exec_lo, exec_lo, s40
	s_trap 2
	ds_load_b64 v[4:5], v0
	s_wait_dscnt 0x0
	v_add_nc_u64_e32 v[48:49], v[48:49], v[52:53]
	s_mov_b32 s40, exec_lo
	s_delay_alu instid0(VALU_DEP_1)
	v_cmpx_lt_u64_e64 v[4:5], v[48:49]
	s_cbranch_execz .LBB10_2436
; %bb.2428:                             ;   in Loop: Header=BB10_2396 Depth=2
	s_mov_b32 s41, 0
	s_mov_b32 s62, 0
                                        ; implicit-def: $sgpr60
                                        ; implicit-def: $sgpr61
	s_branch .LBB10_2430
.LBB10_2429:                            ;   in Loop: Header=BB10_2430 Depth=3
	s_or_b32 exec_lo, exec_lo, s72
	s_delay_alu instid0(SALU_CYCLE_1) | instskip(NEXT) | instid1(SALU_CYCLE_1)
	s_and_b32 s63, exec_lo, s73
	s_or_b32 s41, s63, s41
	s_and_not1_b32 s60, s60, exec_lo
	s_and_b32 s63, s61, exec_lo
	s_delay_alu instid0(SALU_CYCLE_1)
	s_or_b32 s60, s60, s63
	s_and_not1_b32 exec_lo, exec_lo, s41
	s_cbranch_execz .LBB10_2434
.LBB10_2430:                            ;   Parent Loop BB10_47 Depth=1
                                        ;     Parent Loop BB10_2396 Depth=2
                                        ; =>    This Inner Loop Header: Depth=3
	s_add_co_i32 s62, s62, 1
	s_delay_alu instid0(SALU_CYCLE_1) | instskip(SKIP_1) | instid1(SALU_CYCLE_1)
	s_cmp_lg_u32 s62, 0x2710
	s_cselect_b32 s63, -1, 0
	s_and_b32 vcc_lo, exec_lo, s63
	s_cbranch_vccz .LBB10_2432
; %bb.2431:                             ;   in Loop: Header=BB10_2430 Depth=3
	s_mov_b32 s73, -1
	s_or_b32 s61, s61, exec_lo
	s_and_saveexec_b32 s72, s63
	s_cbranch_execz .LBB10_2429
	s_branch .LBB10_2433
.LBB10_2432:                            ;   in Loop: Header=BB10_2430 Depth=3
	s_trap 2
	ds_load_b64 v[4:5], v0
	s_and_not1_b32 s63, s63, exec_lo
	s_mov_b32 s62, 0
	s_wait_loadcnt_dscnt 0x0
	flat_load_b32 v1, v[4:5] scope:SCOPE_SYS
	s_wait_loadcnt_dscnt 0x0
	global_inv scope:SCOPE_SYS
	v_cmp_eq_u32_e32 vcc_lo, 0, v1
	s_and_b32 s72, vcc_lo, exec_lo
	s_delay_alu instid0(SALU_CYCLE_1)
	s_or_b32 s63, s63, s72
	s_mov_b32 s73, -1
	s_or_b32 s61, s61, exec_lo
	s_wait_xcnt 0x0
	s_and_saveexec_b32 s72, s63
	s_cbranch_execz .LBB10_2429
.LBB10_2433:                            ;   in Loop: Header=BB10_2430 Depth=3
	s_sleep 1
	s_trap 2
	ds_load_b64 v[4:5], v0
	s_wait_dscnt 0x0
	s_and_not1_b32 s61, s61, exec_lo
	v_cmp_ge_u64_e32 vcc_lo, v[4:5], v[48:49]
	s_or_not1_b32 s73, vcc_lo, exec_lo
	s_branch .LBB10_2429
.LBB10_2434:                            ;   in Loop: Header=BB10_2396 Depth=2
	s_or_b32 exec_lo, exec_lo, s41
	s_and_saveexec_b32 s41, s60
	s_delay_alu instid0(SALU_CYCLE_1)
	s_xor_b32 s41, exec_lo, s41
	s_cbranch_execz .LBB10_2436
; %bb.2435:                             ;   in Loop: Header=BB10_2396 Depth=2
	ds_store_b32 v0, v89
	s_trap 2
.LBB10_2436:                            ;   in Loop: Header=BB10_2396 Depth=2
	s_or_b32 exec_lo, exec_lo, s40
	;;#ASMSTART
	s_wakeup
	;;#ASMEND
.LBB10_2437:                            ;   in Loop: Header=BB10_2396 Depth=2
	s_or_b32 exec_lo, exec_lo, s27
.LBB10_2438:                            ;   in Loop: Header=BB10_2396 Depth=2
	s_and_not1_saveexec_b32 s18, s18
	s_cbranch_execz .LBB10_2440
; %bb.2439:                             ;   in Loop: Header=BB10_2396 Depth=2
	global_wb scope:SCOPE_DEV
	s_wait_storecnt 0x0
	s_wait_loadcnt_dscnt 0x0
	global_inv scope:SCOPE_DEV
	s_barrier_signal -1
	s_barrier_wait -1
.LBB10_2440:                            ;   in Loop: Header=BB10_2396 Depth=2
	s_or_b32 exec_lo, exec_lo, s18
.LBB10_2441:                            ;   in Loop: Header=BB10_2396 Depth=2
	s_delay_alu instid0(SALU_CYCLE_1) | instskip(SKIP_1) | instid1(SALU_CYCLE_1)
	s_or_b32 exec_lo, exec_lo, s13
                                        ; implicit-def: $vgpr1
	s_and_saveexec_b32 s13, s12
	s_xor_b32 s18, exec_lo, s13
	s_cbranch_execz .LBB10_2445
; %bb.2442:                             ;   in Loop: Header=BB10_2396 Depth=2
	s_trap 2
	ds_load_b32 v1, v0
	v_cmp_lt_i32_e32 vcc_lo, 0, v42
	s_wait_dscnt 0x0
	v_readfirstlane_b32 s13, v1
	v_and_b32_e32 v1, 16, v30
	s_cmp_eq_u32 s13, 0
	s_delay_alu instid0(VALU_DEP_1) | instskip(SKIP_3) | instid1(SALU_CYCLE_1)
	v_cmp_ne_u32_e64 s13, 0, v1
	s_cselect_b32 s27, -1, 0
	v_and_b32_e32 v1, 16, v30
	s_and_b32 s27, vcc_lo, s27
	s_and_b32 s27, s13, s27
	s_delay_alu instid0(SALU_CYCLE_1)
	s_and_saveexec_b32 s13, s27
	s_cbranch_execz .LBB10_2444
; %bb.2443:                             ;   in Loop: Header=BB10_2396 Depth=2
	v_mov_b32_e32 v1, 1
	global_wb scope:SCOPE_SYS
	s_wait_loadcnt 0x0
	s_wait_storecnt 0x0
	global_inv scope:SCOPE_SYS
.LBB10_2444:                            ;   in Loop: Header=BB10_2396 Depth=2
	s_or_b32 exec_lo, exec_lo, s13
	s_and_not1_saveexec_b32 s13, s18
	s_cbranch_execz .LBB10_2464
	s_branch .LBB10_2446
.LBB10_2445:                            ;   in Loop: Header=BB10_2396 Depth=2
	s_and_not1_saveexec_b32 s13, s18
	s_cbranch_execz .LBB10_2464
.LBB10_2446:                            ;   in Loop: Header=BB10_2396 Depth=2
	s_and_saveexec_b32 s18, s3
	s_delay_alu instid0(SALU_CYCLE_1)
	s_xor_b32 s18, exec_lo, s18
	s_cbranch_execz .LBB10_2461
; %bb.2447:                             ;   in Loop: Header=BB10_2396 Depth=2
	s_and_saveexec_b32 s27, s6
	s_cbranch_execz .LBB10_2460
; %bb.2448:                             ;   in Loop: Header=BB10_2396 Depth=2
	s_mov_b32 s41, exec_lo
	s_mov_b32 s40, exec_lo
	v_mbcnt_lo_u32_b32 v1, s41, 0
	;;#ASMSTART
	s_waitcnt lgkmcnt(0) vmcnt(0)
	;;#ASMEND
	s_delay_alu instid0(VALU_DEP_1)
	v_cmpx_eq_u32_e32 0, v1
	s_cbranch_execz .LBB10_2450
; %bb.2449:                             ;   in Loop: Header=BB10_2396 Depth=2
	s_bcnt1_i32_b32 s41, s41
	s_delay_alu instid0(SALU_CYCLE_1)
	v_mov_b32_e32 v2, s41
	s_wait_storecnt 0x0
	s_wait_loadcnt_dscnt 0x0
	ds_add_u64 v0, v[2:3]
	s_trap 2
.LBB10_2450:                            ;   in Loop: Header=BB10_2396 Depth=2
	s_or_b32 exec_lo, exec_lo, s40
	s_trap 2
	ds_load_b64 v[4:5], v0
	s_wait_dscnt 0x0
	v_add_nc_u64_e32 v[48:49], v[48:49], v[52:53]
	s_mov_b32 s40, exec_lo
	s_delay_alu instid0(VALU_DEP_1)
	v_cmpx_lt_u64_e64 v[4:5], v[48:49]
	s_cbranch_execz .LBB10_2459
; %bb.2451:                             ;   in Loop: Header=BB10_2396 Depth=2
	s_mov_b32 s41, 0
	s_mov_b32 s62, 0
                                        ; implicit-def: $sgpr60
                                        ; implicit-def: $sgpr61
	s_branch .LBB10_2453
.LBB10_2452:                            ;   in Loop: Header=BB10_2453 Depth=3
	s_or_b32 exec_lo, exec_lo, s72
	s_delay_alu instid0(SALU_CYCLE_1) | instskip(NEXT) | instid1(SALU_CYCLE_1)
	s_and_b32 s63, exec_lo, s73
	s_or_b32 s41, s63, s41
	s_and_not1_b32 s60, s60, exec_lo
	s_and_b32 s63, s61, exec_lo
	s_delay_alu instid0(SALU_CYCLE_1)
	s_or_b32 s60, s60, s63
	s_and_not1_b32 exec_lo, exec_lo, s41
	s_cbranch_execz .LBB10_2457
.LBB10_2453:                            ;   Parent Loop BB10_47 Depth=1
                                        ;     Parent Loop BB10_2396 Depth=2
                                        ; =>    This Inner Loop Header: Depth=3
	s_add_co_i32 s62, s62, 1
	s_delay_alu instid0(SALU_CYCLE_1) | instskip(SKIP_1) | instid1(SALU_CYCLE_1)
	s_cmp_lg_u32 s62, 0x2710
	s_cselect_b32 s63, -1, 0
	s_and_b32 vcc_lo, exec_lo, s63
	s_cbranch_vccz .LBB10_2455
; %bb.2454:                             ;   in Loop: Header=BB10_2453 Depth=3
	s_mov_b32 s73, -1
	s_or_b32 s61, s61, exec_lo
	s_and_saveexec_b32 s72, s63
	s_cbranch_execz .LBB10_2452
	s_branch .LBB10_2456
.LBB10_2455:                            ;   in Loop: Header=BB10_2453 Depth=3
	s_trap 2
	ds_load_b64 v[4:5], v0
	s_and_not1_b32 s63, s63, exec_lo
	s_mov_b32 s62, 0
	s_wait_storecnt 0x0
	s_wait_loadcnt_dscnt 0x0
	flat_load_b32 v1, v[4:5] scope:SCOPE_SYS
	s_wait_loadcnt_dscnt 0x0
	global_inv scope:SCOPE_SYS
	v_cmp_eq_u32_e32 vcc_lo, 0, v1
	s_and_b32 s72, vcc_lo, exec_lo
	s_delay_alu instid0(SALU_CYCLE_1)
	s_or_b32 s63, s63, s72
	s_mov_b32 s73, -1
	s_or_b32 s61, s61, exec_lo
	s_wait_xcnt 0x0
	s_and_saveexec_b32 s72, s63
	s_cbranch_execz .LBB10_2452
.LBB10_2456:                            ;   in Loop: Header=BB10_2453 Depth=3
	s_sleep 1
	s_trap 2
	ds_load_b64 v[4:5], v0
	s_wait_dscnt 0x0
	s_and_not1_b32 s61, s61, exec_lo
	v_cmp_ge_u64_e32 vcc_lo, v[4:5], v[48:49]
	s_or_not1_b32 s73, vcc_lo, exec_lo
	s_branch .LBB10_2452
.LBB10_2457:                            ;   in Loop: Header=BB10_2396 Depth=2
	s_or_b32 exec_lo, exec_lo, s41
	s_and_saveexec_b32 s41, s60
	s_delay_alu instid0(SALU_CYCLE_1)
	s_xor_b32 s41, exec_lo, s41
	s_cbranch_execz .LBB10_2459
; %bb.2458:                             ;   in Loop: Header=BB10_2396 Depth=2
	ds_store_b32 v0, v89
	s_trap 2
.LBB10_2459:                            ;   in Loop: Header=BB10_2396 Depth=2
	s_or_b32 exec_lo, exec_lo, s40
	;;#ASMSTART
	s_wakeup
	;;#ASMEND
.LBB10_2460:                            ;   in Loop: Header=BB10_2396 Depth=2
	s_or_b32 exec_lo, exec_lo, s27
.LBB10_2461:                            ;   in Loop: Header=BB10_2396 Depth=2
	s_and_not1_saveexec_b32 s18, s18
	s_cbranch_execz .LBB10_2463
; %bb.2462:                             ;   in Loop: Header=BB10_2396 Depth=2
	;;#ASMSTART
	s_waitcnt lgkmcnt(0) vmcnt(0)
	;;#ASMEND
	s_barrier_signal -1
	s_barrier_wait -1
.LBB10_2463:                            ;   in Loop: Header=BB10_2396 Depth=2
	s_or_b32 exec_lo, exec_lo, s18
	v_and_b32_e32 v1, 16, v30
.LBB10_2464:                            ;   in Loop: Header=BB10_2396 Depth=2
	s_or_b32 exec_lo, exec_lo, s13
	s_delay_alu instid0(VALU_DEP_1) | instskip(SKIP_1) | instid1(SALU_CYCLE_1)
	v_cmp_ne_u32_e32 vcc_lo, 0, v1
	s_xor_b32 s13, s4, -1
	s_and_b32 s18, vcc_lo, s13
	s_delay_alu instid0(SALU_CYCLE_1)
	s_and_saveexec_b32 s13, s18
	s_cbranch_execz .LBB10_2466
; %bb.2465:                             ;   in Loop: Header=BB10_2396 Depth=2
	global_wb scope:SCOPE_SYS
	s_wait_storecnt 0x0
	s_wait_loadcnt_dscnt 0x0
	flat_store_b32 v[38:39], v89 scope:SCOPE_SYS
.LBB10_2466:                            ;   in Loop: Header=BB10_2396 Depth=2
	s_wait_xcnt 0x0
	s_or_b32 exec_lo, exec_lo, s13
	v_and_b32_e32 v1, 48, v30
	s_mov_b32 s13, exec_lo
	s_delay_alu instid0(VALU_DEP_1)
	v_cmpx_ne_u32_e32 0, v1
	s_cbranch_execz .LBB10_2395
; %bb.2467:                             ;   in Loop: Header=BB10_2396 Depth=2
	v_add_nc_u64_e32 v[116:117], 2, v[116:117]
	global_wb scope:SCOPE_SYS
	s_wait_storecnt 0x0
	s_wait_loadcnt_dscnt 0x0
	flat_store_b64 v[32:33], v[116:117] scope:SCOPE_SYS
	s_branch .LBB10_2395
.LBB10_2468:                            ;   in Loop: Header=BB10_47 Depth=1
	s_or_b32 exec_lo, exec_lo, s15
.LBB10_2469:                            ;   in Loop: Header=BB10_47 Depth=1
	s_delay_alu instid0(SALU_CYCLE_1) | instskip(NEXT) | instid1(SALU_CYCLE_1)
	s_or_b32 exec_lo, exec_lo, s14
	s_and_not1_b32 vcc_lo, exec_lo, s46
	s_cbranch_vccnz .LBB10_2726
; %bb.2470:                             ;   in Loop: Header=BB10_47 Depth=1
	s_mov_b32 s18, 1
.LBB10_2471:                            ;   Parent Loop BB10_47 Depth=1
                                        ; =>  This Loop Header: Depth=2
                                        ;       Child Loop BB10_2474 Depth 3
                                        ;         Child Loop BB10_2482 Depth 4
                                        ;         Child Loop BB10_2510 Depth 4
	;; [unrolled: 1-line block ×5, first 2 shown]
                                        ;           Child Loop BB10_2562 Depth 5
                                        ;         Child Loop BB10_2569 Depth 4
                                        ;         Child Loop BB10_2574 Depth 4
                                        ;           Child Loop BB10_2575 Depth 5
                                        ;         Child Loop BB10_2587 Depth 4
                                        ;         Child Loop BB10_2592 Depth 4
	;; [unrolled: 1-line block ×6, first 2 shown]
                                        ;       Child Loop BB10_2651 Depth 3
                                        ;         Child Loop BB10_2657 Depth 4
                                        ;         Child Loop BB10_2685 Depth 4
	;; [unrolled: 1-line block ×3, first 2 shown]
	s_clause 0x1
	scratch_load_b64 v[10:11], off, s33 offset:204
	scratch_load_b64 v[4:5], off, s33 offset:196
	s_sub_co_i32 s13, s44, s18
	s_mov_b32 s60, 0
	s_cmp_ge_i32 s13, s16
	v_mov_b32_e32 v14, 0
	s_cselect_b32 s14, s16, 0
	s_delay_alu instid0(SALU_CYCLE_1) | instskip(NEXT) | instid1(SALU_CYCLE_1)
	s_sub_co_i32 s14, s13, s14
	s_ashr_i32 s15, s14, 31
	s_wait_loadcnt 0x1
	v_mul_u64_e32 v[8:9], s[14:15], v[10:11]
	s_wait_loadcnt 0x0
	s_delay_alu instid0(VALU_DEP_1) | instskip(NEXT) | instid1(VALU_DEP_1)
	v_sub_nc_u64_e32 v[4:5], v[4:5], v[8:9]
	v_min_i64 v[4:5], v[10:11], v[4:5]
	s_delay_alu instid0(VALU_DEP_1) | instskip(SKIP_1) | instid1(VALU_DEP_2)
	v_max_i32_e32 v56, 0, v4
	v_cmp_lt_i32_e32 vcc_lo, 0, v4
	v_add_nc_u32_e32 v1, 31, v56
	s_and_b32 s13, s57, vcc_lo
	s_delay_alu instid0(VALU_DEP_1) | instskip(NEXT) | instid1(VALU_DEP_1)
	v_lshrrev_b32_e32 v1, 1, v1
	v_and_b32_e32 v2, 0x3ffffff0, v1
	s_delay_alu instid0(VALU_DEP_1)
	v_dual_mov_b32 v1, 0 :: v_dual_max_i32 v12, s45, v2
	s_wait_xcnt 0x0
	s_and_saveexec_b32 s27, s13
	s_cbranch_execz .LBB10_2648
; %bb.2472:                             ;   in Loop: Header=BB10_2471 Depth=2
	scratch_load_b64 v[4:5], off, s33 offset:188 ; 8-byte Folded Reload
	v_mov_b32_e32 v14, 0
	s_mov_b32 s62, 1
	s_mov_b32 s61, -1
	s_wait_loadcnt 0x0
	v_add_nc_u64_e32 v[4:5], v[8:9], v[4:5]
	s_delay_alu instid0(VALU_DEP_1)
	v_lshlrev_b64_e32 v[16:17], 1, v[4:5]
	s_branch .LBB10_2474
.LBB10_2473:                            ;   in Loop: Header=BB10_2474 Depth=3
	s_wait_xcnt 0x0
	s_or_b32 exec_lo, exec_lo, s13
	v_dual_mov_b32 v1, s62 :: v_dual_add_nc_u32 v14, v12, v14
	s_xor_b32 s13, s61, -1
	s_mov_b32 s61, 0
	s_mov_b32 s62, 2
	s_delay_alu instid0(VALU_DEP_1) | instskip(SKIP_1) | instid1(SALU_CYCLE_1)
	v_cmp_ge_i32_e32 vcc_lo, v14, v56
	s_or_b32 s13, s13, vcc_lo
	s_and_b32 s13, exec_lo, s13
	s_delay_alu instid0(SALU_CYCLE_1) | instskip(NEXT) | instid1(SALU_CYCLE_1)
	s_or_b32 s60, s13, s60
	s_and_not1_b32 exec_lo, exec_lo, s60
	s_cbranch_execz .LBB10_2647
.LBB10_2474:                            ;   Parent Loop BB10_47 Depth=1
                                        ;     Parent Loop BB10_2471 Depth=2
                                        ; =>    This Loop Header: Depth=3
                                        ;         Child Loop BB10_2482 Depth 4
                                        ;         Child Loop BB10_2510 Depth 4
	;; [unrolled: 1-line block ×5, first 2 shown]
                                        ;           Child Loop BB10_2562 Depth 5
                                        ;         Child Loop BB10_2569 Depth 4
                                        ;         Child Loop BB10_2574 Depth 4
                                        ;           Child Loop BB10_2575 Depth 5
                                        ;         Child Loop BB10_2587 Depth 4
                                        ;         Child Loop BB10_2592 Depth 4
	;; [unrolled: 1-line block ×6, first 2 shown]
	s_wait_xcnt 0x0
	s_and_saveexec_b32 s13, s0
	s_cbranch_execz .LBB10_2476
; %bb.2475:                             ;   in Loop: Header=BB10_2474 Depth=3
	s_trap 2
	ds_load_b128 v[8:11], v0
	s_wait_dscnt 0x0
	v_cmp_ne_u64_e32 vcc_lo, 0, v[10:11]
	v_ashrrev_i32_e32 v15, 31, v14
	v_add_nc_u64_e32 v[18:19], v[10:11], v[16:17]
	v_add_nc_u64_e32 v[8:9], v[8:9], v[16:17]
	s_delay_alu instid0(VALU_DEP_3) | instskip(NEXT) | instid1(VALU_DEP_1)
	v_lshlrev_b64_e32 v[4:5], 1, v[14:15]
	v_add_nc_u64_e32 v[18:19], v[18:19], v[4:5]
	s_delay_alu instid0(VALU_DEP_3) | instskip(NEXT) | instid1(VALU_DEP_2)
	v_add_nc_u64_e32 v[4:5], v[8:9], v[4:5]
	v_dual_cndmask_b32 v9, 0, v19 :: v_dual_cndmask_b32 v8, 0, v18
	ds_store_b64 v0, v[4:5]
	ds_store_b64 v0, v[8:9]
.LBB10_2476:                            ;   in Loop: Header=BB10_2474 Depth=3
	s_or_b32 exec_lo, exec_lo, s13
	v_sub_nc_u32_e32 v1, v56, v14
	v_and_b32_e32 v2, 12, v30
	s_mov_b32 s14, exec_lo
	s_delay_alu instid0(VALU_DEP_2) | instskip(NEXT) | instid1(VALU_DEP_2)
	v_min_i32_e32 v12, v12, v1
	v_cmpx_ne_u32_e32 0, v2
	s_cbranch_execz .LBB10_2502
; %bb.2477:                             ;   in Loop: Header=BB10_2474 Depth=3
	v_and_b32_e32 v2, 8, v30
	v_add_nc_u64_e32 v[8:9], 2, v[116:117]
	s_mov_b32 s15, exec_lo
	s_wait_loadcnt_dscnt 0x1
	s_delay_alu instid0(VALU_DEP_2) | instskip(NEXT) | instid1(VALU_DEP_1)
	v_add_nc_u64_e32 v[4:5], v[50:51], v[2:3]
	v_cmpx_lt_u64_e64 v[4:5], v[8:9]
	s_cbranch_execz .LBB10_2489
; %bb.2478:                             ;   in Loop: Header=BB10_2474 Depth=3
	v_and_b32_e32 v1, 64, v30
	s_mov_b32 s40, 0
	s_mov_b32 s73, 0
                                        ; implicit-def: $sgpr41
                                        ; implicit-def: $sgpr63
                                        ; implicit-def: $sgpr72
	s_delay_alu instid0(VALU_DEP_1)
	v_cmp_eq_u32_e32 vcc_lo, 0, v1
	s_branch .LBB10_2482
.LBB10_2479:                            ;   in Loop: Header=BB10_2482 Depth=4
	s_wait_loadcnt_dscnt 0x0
	v_add_nc_u64_e32 v[4:5], v[50:51], v[2:3]
	s_or_b32 s76, s76, exec_lo
	s_delay_alu instid0(VALU_DEP_1)
	v_cmp_ge_u64_e64 s13, v[4:5], v[8:9]
	s_or_not1_b32 s75, s13, exec_lo
.LBB10_2480:                            ;   in Loop: Header=BB10_2482 Depth=4
	s_or_b32 exec_lo, exec_lo, s78
	s_delay_alu instid0(SALU_CYCLE_1)
	s_and_not1_b32 s13, s72, exec_lo
	s_and_b32 s72, s76, exec_lo
	s_and_not1_b32 s63, s63, exec_lo
	s_and_b32 s75, s75, exec_lo
	s_or_b32 s72, s13, s72
	s_or_b32 s63, s63, s75
.LBB10_2481:                            ;   in Loop: Header=BB10_2482 Depth=4
	s_or_b32 exec_lo, exec_lo, s74
	s_delay_alu instid0(SALU_CYCLE_1) | instskip(NEXT) | instid1(SALU_CYCLE_1)
	s_and_b32 s13, exec_lo, s63
	s_or_b32 s40, s13, s40
	s_and_not1_b32 s13, s41, exec_lo
	s_and_b32 s41, s72, exec_lo
	s_delay_alu instid0(SALU_CYCLE_1)
	s_or_b32 s41, s13, s41
	s_and_not1_b32 exec_lo, exec_lo, s40
	s_cbranch_execz .LBB10_2486
.LBB10_2482:                            ;   Parent Loop BB10_47 Depth=1
                                        ;     Parent Loop BB10_2471 Depth=2
                                        ;       Parent Loop BB10_2474 Depth=3
                                        ; =>      This Inner Loop Header: Depth=4
	s_sleep 1
	s_wait_loadcnt_dscnt 0x0
	flat_load_b64 v[50:51], v[32:33] scope:SCOPE_SYS
	s_or_b32 s72, s72, exec_lo
	s_or_b32 s63, s63, exec_lo
                                        ; implicit-def: $vgpr1
	s_wait_xcnt 0x0
	s_and_saveexec_b32 s74, vcc_lo
	s_cbranch_execz .LBB10_2481
; %bb.2483:                             ;   in Loop: Header=BB10_2482 Depth=4
	s_cmp_lt_i32 s73, 0x270f
	s_mov_b32 s75, -1
	s_cselect_b32 s77, -1, 0
	s_cmp_gt_i32 s73, 0x270e
	s_cbranch_scc0 .LBB10_2485
; %bb.2484:                             ;   in Loop: Header=BB10_2482 Depth=4
	s_trap 2
	ds_load_b64 v[4:5], v0
	s_and_not1_b32 s73, s77, exec_lo
	s_mov_b32 s76, 0
	s_wait_storecnt 0x0
	s_wait_loadcnt_dscnt 0x0
	flat_load_b32 v1, v[4:5] scope:SCOPE_SYS
	s_wait_loadcnt_dscnt 0x0
	global_inv scope:SCOPE_SYS
	v_cmp_eq_u32_e64 s13, 0, v1
	s_and_b32 s13, s13, exec_lo
	s_delay_alu instid0(SALU_CYCLE_1)
	s_or_b32 s77, s73, s13
	s_mov_b32 s73, 0
	s_wait_xcnt 0x0
	s_and_saveexec_b32 s78, s77
	s_cbranch_execz .LBB10_2480
	s_branch .LBB10_2479
.LBB10_2485:                            ;   in Loop: Header=BB10_2482 Depth=4
	s_add_co_i32 s73, s73, 1
	s_mov_b32 s76, -1
                                        ; implicit-def: $vgpr1
	s_and_saveexec_b32 s78, s77
	s_cbranch_execz .LBB10_2480
	s_branch .LBB10_2479
.LBB10_2486:                            ;   in Loop: Header=BB10_2474 Depth=3
	s_or_b32 exec_lo, exec_lo, s40
	s_xor_b32 s13, s41, -1
	s_delay_alu instid0(SALU_CYCLE_1) | instskip(NEXT) | instid1(SALU_CYCLE_1)
	s_and_saveexec_b32 s40, s13
	s_xor_b32 s13, exec_lo, s40
	s_cbranch_execz .LBB10_2488
; %bb.2487:                             ;   in Loop: Header=BB10_2474 Depth=3
	v_or_b32_e32 v30, 64, v30
	s_wait_storecnt 0x0
	s_wait_loadcnt_dscnt 0x0
	ds_store_b32 v0, v1
	s_trap 2
.LBB10_2488:                            ;   in Loop: Header=BB10_2474 Depth=3
	s_or_b32 exec_lo, exec_lo, s13
.LBB10_2489:                            ;   in Loop: Header=BB10_2474 Depth=3
	s_delay_alu instid0(SALU_CYCLE_1) | instskip(SKIP_3) | instid1(VALU_DEP_1)
	s_or_b32 exec_lo, exec_lo, s15
	v_and_b32_e32 v1, 0x108, v30
	s_mov_b32 s13, exec_lo
	;;#ASMSTART
	s_wakeup
	;;#ASMEND
                                        ; implicit-def: $vgpr10_vgpr11
	v_cmpx_ne_u32_e32 0x108, v1
	s_xor_b32 s13, exec_lo, s13
; %bb.2490:                             ;   in Loop: Header=BB10_2474 Depth=3
	v_dual_mov_b32 v11, v3 :: v_dual_bitop2_b32 v10, 7, v116 bitop3:0x40
                                        ; implicit-def: $vgpr116_vgpr117
; %bb.2491:                             ;   in Loop: Header=BB10_2474 Depth=3
	s_and_not1_saveexec_b32 s13, s13
	s_cbranch_execz .LBB10_2493
; %bb.2492:                             ;   in Loop: Header=BB10_2474 Depth=3
	v_dual_mov_b32 v11, v3 :: v_dual_bitop2_b32 v10, 7, v116 bitop3:0x40
	v_ashrrev_i32_e32 v13, 31, v12
	s_delay_alu instid0(VALU_DEP_2) | instskip(NEXT) | instid1(VALU_DEP_2)
	v_mad_nc_u64_u32 v[4:5], v10, 24, v[6:7]
	v_lshlrev_b64_e32 v[18:19], 1, v[12:13]
	flat_store_b64 v[4:5], v[18:19] offset:8
.LBB10_2493:                            ;   in Loop: Header=BB10_2474 Depth=3
	s_wait_xcnt 0x0
	s_or_b32 exec_lo, exec_lo, s13
	v_and_b32_e32 v1, 0x100, v30
	s_mov_b32 s13, -1
	s_mov_b32 s15, exec_lo
                                        ; implicit-def: $vgpr18_vgpr19
	s_delay_alu instid0(VALU_DEP_1)
	v_cmpx_ne_u32_e32 0, v1
	s_cbranch_execz .LBB10_2497
; %bb.2494:                             ;   in Loop: Header=BB10_2474 Depth=3
	v_mad_nc_u64_u32 v[20:21], v10, 24, v[6:7]
	s_mov_b32 s40, exec_lo
                                        ; implicit-def: $vgpr18_vgpr19
	s_delay_alu instid0(VALU_DEP_1)
	v_mad_u32 v21, v11, 24, v21
	flat_load_b32 v1, v[20:21]
	s_wait_loadcnt_dscnt 0x0
	v_cmp_ne_u32_e32 vcc_lo, 1, v1
	s_wait_xcnt 0x0
	v_cmpx_eq_u32_e32 1, v1
	s_cbranch_execz .LBB10_2496
; %bb.2495:                             ;   in Loop: Header=BB10_2474 Depth=3
	flat_load_b32 v4, v[20:21] offset:4 scope:SCOPE_SYS
	s_wait_loadcnt_dscnt 0x0
	v_ashrrev_i32_e32 v5, 31, v4
	s_delay_alu instid0(VALU_DEP_1)
	v_lshrrev_b64 v[18:19], 1, v[4:5]
.LBB10_2496:                            ;   in Loop: Header=BB10_2474 Depth=3
	s_wait_xcnt 0x0
	s_or_b32 exec_lo, exec_lo, s40
	s_delay_alu instid0(SALU_CYCLE_1)
	s_or_not1_b32 s13, vcc_lo, exec_lo
.LBB10_2497:                            ;   in Loop: Header=BB10_2474 Depth=3
	s_or_b32 exec_lo, exec_lo, s15
	s_and_saveexec_b32 s15, s13
; %bb.2498:                             ;   in Loop: Header=BB10_2474 Depth=3
	v_mul_u64_e32 v[18:19], v[10:11], v[34:35]
; %bb.2499:                             ;   in Loop: Header=BB10_2474 Depth=3
	s_or_b32 exec_lo, exec_lo, s15
	v_cmp_eq_u32_e32 vcc_lo, 0, v2
	v_and_b32_e32 v2, 0x2000, v30
	s_delay_alu instid0(VALU_DEP_3) | instskip(SKIP_2) | instid1(VALU_DEP_1)
	v_lshl_add_u64 v[4:5], v[18:19], 1, v[36:37]
	s_mov_b32 s13, exec_lo
	v_cndmask_b32_e32 v1, 0xd0, v91, vcc_lo
	v_add_nc_u32_e32 v1, v0, v1
	ds_store_b64 v1, v[4:5] offset:584
	v_cmpx_ne_u32_e32 0, v2
	s_cbranch_execz .LBB10_2501
; %bb.2500:                             ;   in Loop: Header=BB10_2474 Depth=3
	ds_load_b64 v[4:5], v0 offset:872
	s_wait_dscnt 0x0
	v_add_nc_u64_e32 v[4:5], 1, v[4:5]
	ds_store_b64 v0, v[4:5] offset:872
.LBB10_2501:                            ;   in Loop: Header=BB10_2474 Depth=3
	s_or_b32 exec_lo, exec_lo, s13
	v_mov_b64_e32 v[116:117], v[8:9]
.LBB10_2502:                            ;   in Loop: Header=BB10_2474 Depth=3
	s_or_b32 exec_lo, exec_lo, s14
	s_and_saveexec_b32 s13, s2
	s_cbranch_execz .LBB10_2521
; %bb.2503:                             ;   in Loop: Header=BB10_2474 Depth=3
	s_and_saveexec_b32 s14, s3
	s_delay_alu instid0(SALU_CYCLE_1)
	s_xor_b32 s14, exec_lo, s14
	s_cbranch_execz .LBB10_2518
; %bb.2504:                             ;   in Loop: Header=BB10_2474 Depth=3
	s_and_saveexec_b32 s15, s6
	s_cbranch_execz .LBB10_2517
; %bb.2505:                             ;   in Loop: Header=BB10_2474 Depth=3
	s_mov_b32 s41, exec_lo
	s_mov_b32 s40, exec_lo
	v_mbcnt_lo_u32_b32 v1, s41, 0
	global_wb scope:SCOPE_DEV
	s_wait_storecnt 0x0
	s_wait_loadcnt_dscnt 0x0
	global_inv scope:SCOPE_DEV
	v_cmpx_eq_u32_e32 0, v1
	s_cbranch_execz .LBB10_2507
; %bb.2506:                             ;   in Loop: Header=BB10_2474 Depth=3
	s_bcnt1_i32_b32 s41, s41
	s_delay_alu instid0(SALU_CYCLE_1)
	v_mov_b32_e32 v2, s41
	s_wait_loadcnt 0x0
	ds_add_u64 v0, v[2:3]
	s_trap 2
.LBB10_2507:                            ;   in Loop: Header=BB10_2474 Depth=3
	s_or_b32 exec_lo, exec_lo, s40
	s_trap 2
	ds_load_b64 v[4:5], v0
	s_wait_dscnt 0x0
	v_add_nc_u64_e32 v[48:49], v[48:49], v[52:53]
	s_mov_b32 s40, exec_lo
	s_delay_alu instid0(VALU_DEP_1)
	v_cmpx_lt_u64_e64 v[4:5], v[48:49]
	s_cbranch_execz .LBB10_2516
; %bb.2508:                             ;   in Loop: Header=BB10_2474 Depth=3
	s_mov_b32 s41, 0
	s_mov_b32 s73, 0
                                        ; implicit-def: $sgpr63
                                        ; implicit-def: $sgpr72
	s_branch .LBB10_2510
.LBB10_2509:                            ;   in Loop: Header=BB10_2510 Depth=4
	s_or_b32 exec_lo, exec_lo, s75
	s_delay_alu instid0(SALU_CYCLE_1) | instskip(NEXT) | instid1(SALU_CYCLE_1)
	s_and_b32 s74, exec_lo, s76
	s_or_b32 s41, s74, s41
	s_and_not1_b32 s63, s63, exec_lo
	s_and_b32 s74, s72, exec_lo
	s_delay_alu instid0(SALU_CYCLE_1)
	s_or_b32 s63, s63, s74
	s_and_not1_b32 exec_lo, exec_lo, s41
	s_cbranch_execz .LBB10_2514
.LBB10_2510:                            ;   Parent Loop BB10_47 Depth=1
                                        ;     Parent Loop BB10_2471 Depth=2
                                        ;       Parent Loop BB10_2474 Depth=3
                                        ; =>      This Inner Loop Header: Depth=4
	s_add_co_i32 s73, s73, 1
	s_delay_alu instid0(SALU_CYCLE_1) | instskip(SKIP_1) | instid1(SALU_CYCLE_1)
	s_cmp_lg_u32 s73, 0x2710
	s_cselect_b32 s74, -1, 0
	s_and_b32 vcc_lo, exec_lo, s74
	s_cbranch_vccz .LBB10_2512
; %bb.2511:                             ;   in Loop: Header=BB10_2510 Depth=4
	s_mov_b32 s76, -1
	s_or_b32 s72, s72, exec_lo
	s_and_saveexec_b32 s75, s74
	s_cbranch_execz .LBB10_2509
	s_branch .LBB10_2513
.LBB10_2512:                            ;   in Loop: Header=BB10_2510 Depth=4
	s_trap 2
	ds_load_b64 v[4:5], v0
	s_and_not1_b32 s74, s74, exec_lo
	s_mov_b32 s73, 0
	s_wait_loadcnt_dscnt 0x0
	flat_load_b32 v1, v[4:5] scope:SCOPE_SYS
	s_wait_loadcnt_dscnt 0x0
	global_inv scope:SCOPE_SYS
	v_cmp_eq_u32_e32 vcc_lo, 0, v1
	s_and_b32 s75, vcc_lo, exec_lo
	s_delay_alu instid0(SALU_CYCLE_1)
	s_or_b32 s74, s74, s75
	s_mov_b32 s76, -1
	s_or_b32 s72, s72, exec_lo
	s_wait_xcnt 0x0
	s_and_saveexec_b32 s75, s74
	s_cbranch_execz .LBB10_2509
.LBB10_2513:                            ;   in Loop: Header=BB10_2510 Depth=4
	s_sleep 1
	s_trap 2
	ds_load_b64 v[4:5], v0
	s_wait_dscnt 0x0
	s_and_not1_b32 s72, s72, exec_lo
	v_cmp_ge_u64_e32 vcc_lo, v[4:5], v[48:49]
	s_or_not1_b32 s76, vcc_lo, exec_lo
	s_branch .LBB10_2509
.LBB10_2514:                            ;   in Loop: Header=BB10_2474 Depth=3
	s_or_b32 exec_lo, exec_lo, s41
	s_and_saveexec_b32 s41, s63
	s_delay_alu instid0(SALU_CYCLE_1)
	s_xor_b32 s41, exec_lo, s41
	s_cbranch_execz .LBB10_2516
; %bb.2515:                             ;   in Loop: Header=BB10_2474 Depth=3
	ds_store_b32 v0, v89
	s_trap 2
.LBB10_2516:                            ;   in Loop: Header=BB10_2474 Depth=3
	s_or_b32 exec_lo, exec_lo, s40
	;;#ASMSTART
	s_wakeup
	;;#ASMEND
.LBB10_2517:                            ;   in Loop: Header=BB10_2474 Depth=3
	s_or_b32 exec_lo, exec_lo, s15
.LBB10_2518:                            ;   in Loop: Header=BB10_2474 Depth=3
	s_and_not1_saveexec_b32 s14, s14
	s_cbranch_execz .LBB10_2520
; %bb.2519:                             ;   in Loop: Header=BB10_2474 Depth=3
	global_wb scope:SCOPE_DEV
	s_wait_storecnt 0x0
	s_wait_loadcnt_dscnt 0x0
	global_inv scope:SCOPE_DEV
	s_barrier_signal -1
	s_barrier_wait -1
.LBB10_2520:                            ;   in Loop: Header=BB10_2474 Depth=3
	s_or_b32 exec_lo, exec_lo, s14
.LBB10_2521:                            ;   in Loop: Header=BB10_2474 Depth=3
	s_delay_alu instid0(SALU_CYCLE_1) | instskip(SKIP_4) | instid1(VALU_DEP_1)
	s_or_b32 exec_lo, exec_lo, s13
	s_trap 2
	ds_load_b32 v1, v0
	v_and_b32_e32 v2, 0x4000, v30
	s_xor_b32 s13, s1, -1
	v_cmp_ne_u32_e32 vcc_lo, 0, v2
	s_and_b32 s14, s13, vcc_lo
	s_delay_alu instid0(SALU_CYCLE_1)
	s_and_saveexec_b32 s13, s14
	s_cbranch_execz .LBB10_2540
; %bb.2522:                             ;   in Loop: Header=BB10_2474 Depth=3
	s_and_saveexec_b32 s14, s3
	s_delay_alu instid0(SALU_CYCLE_1)
	s_xor_b32 s14, exec_lo, s14
	s_cbranch_execz .LBB10_2537
; %bb.2523:                             ;   in Loop: Header=BB10_2474 Depth=3
	s_and_saveexec_b32 s15, s6
	s_cbranch_execz .LBB10_2536
; %bb.2524:                             ;   in Loop: Header=BB10_2474 Depth=3
	s_mov_b32 s41, exec_lo
	s_mov_b32 s40, exec_lo
	v_mbcnt_lo_u32_b32 v2, s41, 0
	global_wb scope:SCOPE_DEV
	s_wait_storecnt 0x0
	s_wait_loadcnt_dscnt 0x0
	global_inv scope:SCOPE_DEV
	v_cmpx_eq_u32_e32 0, v2
	s_cbranch_execz .LBB10_2526
; %bb.2525:                             ;   in Loop: Header=BB10_2474 Depth=3
	s_bcnt1_i32_b32 s41, s41
	s_delay_alu instid0(SALU_CYCLE_1)
	v_mov_b32_e32 v2, s41
	s_wait_loadcnt 0x0
	ds_add_u64 v0, v[2:3]
	s_trap 2
.LBB10_2526:                            ;   in Loop: Header=BB10_2474 Depth=3
	s_or_b32 exec_lo, exec_lo, s40
	s_trap 2
	ds_load_b64 v[4:5], v0
	s_wait_dscnt 0x0
	v_add_nc_u64_e32 v[48:49], v[48:49], v[52:53]
	s_mov_b32 s40, exec_lo
	s_delay_alu instid0(VALU_DEP_1)
	v_cmpx_lt_u64_e64 v[4:5], v[48:49]
	s_cbranch_execz .LBB10_2535
; %bb.2527:                             ;   in Loop: Header=BB10_2474 Depth=3
	s_mov_b32 s41, 0
	s_mov_b32 s73, 0
                                        ; implicit-def: $sgpr63
                                        ; implicit-def: $sgpr72
	s_branch .LBB10_2529
.LBB10_2528:                            ;   in Loop: Header=BB10_2529 Depth=4
	s_or_b32 exec_lo, exec_lo, s75
	s_delay_alu instid0(SALU_CYCLE_1) | instskip(NEXT) | instid1(SALU_CYCLE_1)
	s_and_b32 s74, exec_lo, s76
	s_or_b32 s41, s74, s41
	s_and_not1_b32 s63, s63, exec_lo
	s_and_b32 s74, s72, exec_lo
	s_delay_alu instid0(SALU_CYCLE_1)
	s_or_b32 s63, s63, s74
	s_and_not1_b32 exec_lo, exec_lo, s41
	s_cbranch_execz .LBB10_2533
.LBB10_2529:                            ;   Parent Loop BB10_47 Depth=1
                                        ;     Parent Loop BB10_2471 Depth=2
                                        ;       Parent Loop BB10_2474 Depth=3
                                        ; =>      This Inner Loop Header: Depth=4
	s_add_co_i32 s73, s73, 1
	s_delay_alu instid0(SALU_CYCLE_1) | instskip(SKIP_1) | instid1(SALU_CYCLE_1)
	s_cmp_lg_u32 s73, 0x2710
	s_cselect_b32 s74, -1, 0
	s_and_b32 vcc_lo, exec_lo, s74
	s_cbranch_vccz .LBB10_2531
; %bb.2530:                             ;   in Loop: Header=BB10_2529 Depth=4
	s_mov_b32 s76, -1
	s_or_b32 s72, s72, exec_lo
	s_and_saveexec_b32 s75, s74
	s_cbranch_execz .LBB10_2528
	s_branch .LBB10_2532
.LBB10_2531:                            ;   in Loop: Header=BB10_2529 Depth=4
	s_trap 2
	ds_load_b64 v[4:5], v0
	s_and_not1_b32 s74, s74, exec_lo
	s_mov_b32 s73, 0
	s_wait_loadcnt_dscnt 0x0
	flat_load_b32 v2, v[4:5] scope:SCOPE_SYS
	s_wait_loadcnt_dscnt 0x0
	global_inv scope:SCOPE_SYS
	v_cmp_eq_u32_e32 vcc_lo, 0, v2
	s_and_b32 s75, vcc_lo, exec_lo
	s_delay_alu instid0(SALU_CYCLE_1)
	s_or_b32 s74, s74, s75
	s_mov_b32 s76, -1
	s_or_b32 s72, s72, exec_lo
	s_wait_xcnt 0x0
	s_and_saveexec_b32 s75, s74
	s_cbranch_execz .LBB10_2528
.LBB10_2532:                            ;   in Loop: Header=BB10_2529 Depth=4
	s_sleep 1
	s_trap 2
	ds_load_b64 v[4:5], v0
	s_wait_dscnt 0x0
	s_and_not1_b32 s72, s72, exec_lo
	v_cmp_ge_u64_e32 vcc_lo, v[4:5], v[48:49]
	s_or_not1_b32 s76, vcc_lo, exec_lo
	s_branch .LBB10_2528
.LBB10_2533:                            ;   in Loop: Header=BB10_2474 Depth=3
	s_or_b32 exec_lo, exec_lo, s41
	s_and_saveexec_b32 s41, s63
	s_delay_alu instid0(SALU_CYCLE_1)
	s_xor_b32 s41, exec_lo, s41
	s_cbranch_execz .LBB10_2535
; %bb.2534:                             ;   in Loop: Header=BB10_2474 Depth=3
	ds_store_b32 v0, v89
	s_trap 2
.LBB10_2535:                            ;   in Loop: Header=BB10_2474 Depth=3
	s_or_b32 exec_lo, exec_lo, s40
	;;#ASMSTART
	s_wakeup
	;;#ASMEND
.LBB10_2536:                            ;   in Loop: Header=BB10_2474 Depth=3
	s_or_b32 exec_lo, exec_lo, s15
.LBB10_2537:                            ;   in Loop: Header=BB10_2474 Depth=3
	s_and_not1_saveexec_b32 s14, s14
	s_cbranch_execz .LBB10_2539
; %bb.2538:                             ;   in Loop: Header=BB10_2474 Depth=3
	global_wb scope:SCOPE_DEV
	s_wait_storecnt 0x0
	s_wait_loadcnt_dscnt 0x0
	global_inv scope:SCOPE_DEV
	s_barrier_signal -1
	s_barrier_wait -1
.LBB10_2539:                            ;   in Loop: Header=BB10_2474 Depth=3
	s_or_b32 exec_lo, exec_lo, s14
.LBB10_2540:                            ;   in Loop: Header=BB10_2474 Depth=3
	s_delay_alu instid0(SALU_CYCLE_1)
	s_or_b32 exec_lo, exec_lo, s13
	s_trap 2
	ds_load_b64 v[18:19], v0
	s_wait_dscnt 0x0
	v_cmp_eq_u64_e32 vcc_lo, 0, v[18:19]
	s_cbranch_vccnz .LBB10_2549
; %bb.2541:                             ;   in Loop: Header=BB10_2474 Depth=3
	s_trap 2
	ds_load_b64 v[20:21], v0
	s_wait_dscnt 0x0
	v_cmp_eq_u64_e32 vcc_lo, 0, v[20:21]
	s_cbranch_vccnz .LBB10_2549
; %bb.2542:                             ;   in Loop: Header=BB10_2474 Depth=3
	s_trap 2
	ds_load_b64 v[22:23], v0
	v_cmp_eq_u32_e32 vcc_lo, 0, v1
	s_mov_b32 s13, -1
	v_cndmask_b32_e32 v2, 0, v12, vcc_lo
	s_delay_alu instid0(VALU_DEP_1)
	v_lshlrev_b32_e32 v4, 1, v2
	s_wait_dscnt 0x0
	v_cmp_ne_u64_e32 vcc_lo, 0, v[22:23]
	s_cbranch_vccz .LBB10_2578
; %bb.2543:                             ;   in Loop: Header=BB10_2474 Depth=3
	s_and_saveexec_b32 s14, s10
	s_cbranch_execz .LBB10_2545
; %bb.2544:                             ;   in Loop: Header=BB10_2474 Depth=3
	ds_load_b32 v1, v0 offset:720
	s_wait_dscnt 0x0
	v_and_b32_e32 v1, 15, v1
	s_delay_alu instid0(VALU_DEP_1)
	v_cmp_eq_u32_e32 vcc_lo, 0, v1
	s_or_not1_b32 s13, vcc_lo, exec_lo
.LBB10_2545:                            ;   in Loop: Header=BB10_2474 Depth=3
	s_or_b32 exec_lo, exec_lo, s14
	s_and_saveexec_b32 s14, s11
	s_cbranch_execz .LBB10_2547
; %bb.2546:                             ;   in Loop: Header=BB10_2474 Depth=3
	ds_load_b32 v1, v0 offset:784
	s_wait_dscnt 0x0
	v_and_b32_e32 v1, 15, v1
	s_delay_alu instid0(VALU_DEP_1) | instskip(SKIP_3) | instid1(SALU_CYCLE_1)
	v_cmp_eq_u32_e32 vcc_lo, 0, v1
	s_and_b32 s15, s13, vcc_lo
	s_and_not1_b32 s13, s13, exec_lo
	s_and_b32 s15, s15, exec_lo
	s_or_b32 s13, s13, s15
.LBB10_2547:                            ;   in Loop: Header=BB10_2474 Depth=3
	s_or_b32 exec_lo, exec_lo, s14
	s_xor_b32 s13, s13, -1
	v_mov_b32_e32 v13, v0
	v_cndmask_b32_e64 v1, 0, 1, s13
	s_mov_b32 s13, -1
	v_mov_b32_e32 v5, v4
	s_delay_alu instid0(VALU_DEP_2)
	v_cmp_ne_u32_e32 vcc_lo, 0, v1
	v_mov_b32_e32 v1, 0
	s_cbranch_vccz .LBB10_2554
; %bb.2548:                             ;   in Loop: Header=BB10_2474 Depth=3
	s_and_saveexec_b32 s15, s13
	s_cbranch_execnz .LBB10_2567
	s_branch .LBB10_2577
.LBB10_2549:                            ;   in Loop: Header=BB10_2474 Depth=3
	s_mov_b32 s13, 0
	s_and_saveexec_b32 s14, s2
	s_cbranch_execnz .LBB10_2606
.LBB10_2550:                            ;   in Loop: Header=BB10_2474 Depth=3
	s_or_b32 exec_lo, exec_lo, s14
                                        ; implicit-def: $vgpr1
	s_and_saveexec_b32 s14, s12
	s_delay_alu instid0(SALU_CYCLE_1)
	s_xor_b32 s14, exec_lo, s14
	s_cbranch_execz .LBB10_2624
.LBB10_2551:                            ;   in Loop: Header=BB10_2474 Depth=3
	v_and_b32_e32 v1, 16, v30
	s_delay_alu instid0(VALU_DEP_1) | instskip(SKIP_2) | instid1(SALU_CYCLE_1)
	v_cmp_ne_u32_e32 vcc_lo, 0, v1
	v_and_b32_e32 v1, 16, v30
	s_and_b32 s15, vcc_lo, s13
	s_and_saveexec_b32 s13, s15
	s_cbranch_execz .LBB10_2553
; %bb.2552:                             ;   in Loop: Header=BB10_2474 Depth=3
	v_mov_b32_e32 v1, 1
	global_wb scope:SCOPE_SYS
	s_wait_storecnt 0x0
	s_wait_loadcnt_dscnt 0x0
	global_inv scope:SCOPE_SYS
.LBB10_2553:                            ;   in Loop: Header=BB10_2474 Depth=3
	s_or_b32 exec_lo, exec_lo, s13
	s_and_not1_saveexec_b32 s13, s14
	s_cbranch_execz .LBB10_2643
	s_branch .LBB10_2625
.LBB10_2554:                            ;   in Loop: Header=BB10_2474 Depth=3
	v_ashrrev_i32_e32 v1, 31, v4
	s_mov_b32 s13, exec_lo
	s_delay_alu instid0(VALU_DEP_1) | instskip(NEXT) | instid1(VALU_DEP_1)
	v_dual_lshrrev_b32 v5, 5, v0 :: v_dual_lshrrev_b32 v1, 21, v1
	v_add_nc_u32_e32 v1, v4, v1
	s_delay_alu instid0(VALU_DEP_1) | instskip(NEXT) | instid1(VALU_DEP_1)
	v_ashrrev_i32_e32 v1, 11, v1
	v_sub_nc_u32_e32 v24, v1, v5
	s_delay_alu instid0(VALU_DEP_1)
	v_cmpx_lt_i32_e32 0, v24
	s_cbranch_execz .LBB10_2558
; %bb.2555:                             ;   in Loop: Header=BB10_2474 Depth=3
	scratch_load_b64 v[26:27], off, s33 offset:212 ; 8-byte Folded Reload
	s_mov_b32 s14, 0
	s_wait_loadcnt 0x0
	v_add_nc_u64_e32 v[8:9], v[18:19], v[26:27]
	v_add_nc_u64_e32 v[10:11], v[20:21], v[26:27]
	;; [unrolled: 1-line block ×3, first 2 shown]
.LBB10_2556:                            ;   Parent Loop BB10_47 Depth=1
                                        ;     Parent Loop BB10_2471 Depth=2
                                        ;       Parent Loop BB10_2474 Depth=3
                                        ; =>      This Inner Loop Header: Depth=4
	s_clause 0x3
	global_load_b128 v[26:29], v[8:9], off th:TH_LOAD_NT
	global_load_b128 v[64:67], v[8:9], off offset:512 th:TH_LOAD_NT
	global_load_b128 v[112:115], v[8:9], off offset:1024 th:TH_LOAD_NT
	;; [unrolled: 1-line block ×3, first 2 shown]
	v_sub_nc_u32_e32 v24, v24, v52
	s_wait_xcnt 0x0
	v_add_nc_u64_e32 v[8:9], v[8:9], v[86:87]
	s_wait_loadcnt 0x3
	global_store_b128 v[10:11], v[26:29], off th:TH_STORE_NT
	s_wait_loadcnt 0x2
	global_store_b128 v[10:11], v[64:67], off offset:512 th:TH_STORE_NT
	s_wait_loadcnt 0x1
	global_store_b128 v[10:11], v[112:115], off offset:1024 th:TH_STORE_NT
	;; [unrolled: 2-line block ×3, first 2 shown]
	s_clause 0x3
	global_store_b128 v[42:43], v[26:29], off th:TH_STORE_NT
	global_store_b128 v[42:43], v[64:67], off offset:512 th:TH_STORE_NT
	global_store_b128 v[42:43], v[112:115], off offset:1024 th:TH_STORE_NT
	global_store_b128 v[42:43], v[44:47], off offset:1536 th:TH_STORE_NT
	v_cmp_gt_i32_e32 vcc_lo, 1, v24
	s_wait_xcnt 0x4
	v_add_nc_u64_e32 v[10:11], v[10:11], v[86:87]
	s_wait_xcnt 0x0
	v_add_nc_u64_e32 v[42:43], v[42:43], v[86:87]
	s_or_b32 s14, vcc_lo, s14
	s_delay_alu instid0(SALU_CYCLE_1)
	s_and_not1_b32 exec_lo, exec_lo, s14
	s_cbranch_execnz .LBB10_2556
; %bb.2557:                             ;   in Loop: Header=BB10_2474 Depth=3
	s_or_b32 exec_lo, exec_lo, s14
	s_clause 0x1
	scratch_load_b64 v[40:41], off, s33 offset:220
	scratch_load_b64 v[46:47], off, s33 offset:228
.LBB10_2558:                            ;   in Loop: Header=BB10_2474 Depth=3
	s_wait_xcnt 0x0
	s_or_b32 exec_lo, exec_lo, s13
	v_dual_lshlrev_b32 v15, 11, v1 :: v_dual_mov_b32 v1, 0
	s_mov_b32 s13, 0
	s_mov_b32 s63, exec_lo
                                        ; implicit-def: $vgpr5
                                        ; implicit-def: $vgpr13
	s_delay_alu instid0(VALU_DEP_1)
	v_cmpx_ne_u32_e64 v4, v15
	s_cbranch_execz .LBB10_2566
; %bb.2559:                             ;   in Loop: Header=BB10_2474 Depth=3
	v_dual_lshlrev_b32 v1, 5, v24 :: v_dual_sub_nc_u32 v9, v4, v15
	v_and_b32_e32 v5, 31, v0
	s_mov_b32 s72, exec_lo
	s_delay_alu instid0(VALU_DEP_2) | instskip(NEXT) | instid1(VALU_DEP_1)
	v_ashrrev_i32_e32 v8, 31, v9
	v_dual_sub_nc_u32 v1, v5, v1 :: v_dual_lshrrev_b32 v8, 23, v8
	s_delay_alu instid0(VALU_DEP_1) | instskip(NEXT) | instid1(VALU_DEP_1)
	v_dual_ashrrev_i32 v5, 31, v1 :: v_dual_add_nc_u32 v8, v9, v8
	v_dual_lshrrev_b32 v5, 27, v5 :: v_dual_ashrrev_i32 v24, 9, v8
	s_delay_alu instid0(VALU_DEP_1) | instskip(NEXT) | instid1(VALU_DEP_1)
	v_add_nc_u32_e32 v5, v1, v5
	v_and_b32_e32 v10, 0xffffffe0, v5
	s_delay_alu instid0(VALU_DEP_1) | instskip(SKIP_1) | instid1(VALU_DEP_2)
	v_dual_sub_nc_u32 v13, v1, v10 :: v_dual_ashrrev_i32 v10, 5, v5
	v_and_b32_e32 v1, 0xfffffe00, v8
	v_lshlrev_b32_e32 v11, 4, v13
	s_delay_alu instid0(VALU_DEP_1) | instskip(NEXT) | instid1(VALU_DEP_1)
	v_lshl_add_u32 v8, v10, 9, v11
	v_dual_sub_nc_u32 v25, v9, v8 :: v_dual_sub_nc_u32 v5, v9, v1
	s_delay_alu instid0(VALU_DEP_1) | instskip(NEXT) | instid1(VALU_DEP_1)
	v_cmp_lt_i32_e64 s13, 15, v5
	v_add_co_ci_u32_e64 v11, null, 0, v24, s13
	s_delay_alu instid0(VALU_DEP_1) | instskip(NEXT) | instid1(VALU_DEP_4)
	v_sub_nc_u32_e32 v24, v11, v10
	v_cmpx_lt_i32_e32 15, v25
	s_cbranch_execz .LBB10_2565
; %bb.2560:                             ;   in Loop: Header=BB10_2474 Depth=3
	v_add_nc_u32_e32 v8, v8, v15
	s_mov_b32 s73, 0
	s_delay_alu instid0(VALU_DEP_1) | instskip(NEXT) | instid1(VALU_DEP_1)
	v_ashrrev_i32_e32 v9, 31, v8
	v_add_nc_u64_e32 v[42:43], v[8:9], v[18:19]
	v_add_nc_u64_e32 v[44:45], v[8:9], v[20:21]
	s_wait_loadcnt 0x0
	v_add_nc_u64_e32 v[46:47], v[8:9], v[22:23]
.LBB10_2561:                            ;   Parent Loop BB10_47 Depth=1
                                        ;     Parent Loop BB10_2471 Depth=2
                                        ;       Parent Loop BB10_2474 Depth=3
                                        ; =>      This Loop Header: Depth=4
                                        ;           Child Loop BB10_2562 Depth 5
	global_load_b128 v[8:11], v[42:43], off th:TH_LOAD_NT
	s_mov_b64 s[40:41], 0
	s_mov_b32 s74, -1
.LBB10_2562:                            ;   Parent Loop BB10_47 Depth=1
                                        ;     Parent Loop BB10_2471 Depth=2
                                        ;       Parent Loop BB10_2474 Depth=3
                                        ;         Parent Loop BB10_2561 Depth=4
                                        ; =>        This Inner Loop Header: Depth=5
	s_cmp_eq_u32 s40, 1
	s_cselect_b32 vcc_lo, -1, 0
	s_cmp_eq_u32 s40, 0
	s_wait_xcnt 0x0
	v_dual_cndmask_b32 v27, v45, v47 :: v_dual_cndmask_b32 v26, v44, v46
	s_cselect_b32 s14, -1, 0
	s_and_b32 s15, exec_lo, s74
	s_mov_b64 s[40:41], 1
	s_mov_b32 s74, 0
	v_add_nc_u64_e32 v[28:29], 0x200, v[26:27]
	s_wait_loadcnt 0x0
	global_store_b128 v[26:27], v[8:11], off th:TH_STORE_NT
	v_dual_cndmask_b32 v47, v47, v29 :: v_dual_cndmask_b32 v46, v46, v28
	v_dual_cndmask_b32 v45, v45, v29, s14 :: v_dual_cndmask_b32 v44, v44, v28, s14
	s_mov_b32 vcc_lo, s15
	s_cbranch_vccnz .LBB10_2562
; %bb.2563:                             ;   in Loop: Header=BB10_2561 Depth=4
	s_wait_xcnt 0x0
	v_add_nc_u64_e32 v[8:9], 0x200, v[98:99]
	v_dual_sub_nc_u32 v25, v25, v70 :: v_dual_sub_nc_u32 v24, v24, v52
	v_add_nc_u64_e32 v[44:45], v[44:45], v[98:99]
	v_add_nc_u64_e32 v[46:47], v[46:47], v[98:99]
	s_delay_alu instid0(VALU_DEP_3) | instskip(SKIP_2) | instid1(SALU_CYCLE_1)
	v_cmp_gt_i32_e32 vcc_lo, 16, v25
	v_add_nc_u64_e32 v[42:43], v[8:9], v[42:43]
	s_or_b32 s73, vcc_lo, s73
	s_and_not1_b32 exec_lo, exec_lo, s73
	s_cbranch_execnz .LBB10_2561
; %bb.2564:                             ;   in Loop: Header=BB10_2474 Depth=3
	s_or_b32 exec_lo, exec_lo, s73
	s_clause 0x1
	scratch_load_b64 v[40:41], off, s33 offset:220
	scratch_load_b64 v[46:47], off, s33 offset:228
.LBB10_2565:                            ;   in Loop: Header=BB10_2474 Depth=3
	s_wait_xcnt 0x0
	s_or_b32 exec_lo, exec_lo, s72
	v_and_b32_e32 v8, 14, v4
	v_cmp_lt_i32_e32 vcc_lo, 0, v24
	s_delay_alu instid0(VALU_DEP_2) | instskip(NEXT) | instid1(VALU_DEP_1)
	v_dual_sub_nc_u32 v9, v5, v8 :: v_dual_cndmask_b32 v5, v5, v8, s13
	v_dual_cndmask_b32 v10, 0, v52, vcc_lo :: v_dual_cndmask_b32 v8, 0, v9, s13
	s_delay_alu instid0(VALU_DEP_2) | instskip(NEXT) | instid1(VALU_DEP_2)
	v_cmp_ne_u32_e32 vcc_lo, 0, v5
	v_sub_nc_u32_e32 v9, v10, v24
	s_delay_alu instid0(VALU_DEP_3) | instskip(SKIP_1) | instid1(VALU_DEP_2)
	v_add3_u32 v1, v1, v15, v8
	s_and_b32 s13, vcc_lo, exec_lo
	v_lshl_add_u32 v13, v9, 5, v13
.LBB10_2566:                            ;   in Loop: Header=BB10_2474 Depth=3
	s_or_b32 exec_lo, exec_lo, s63
	s_and_saveexec_b32 s15, s13
	s_cbranch_execz .LBB10_2577
.LBB10_2567:                            ;   in Loop: Header=BB10_2474 Depth=3
	v_ashrrev_i32_e32 v9, 31, v5
	s_mov_b32 s13, exec_lo
	s_delay_alu instid0(VALU_DEP_1) | instskip(NEXT) | instid1(VALU_DEP_1)
	v_lshrrev_b32_e32 v9, 22, v9
	v_add_nc_u32_e32 v9, v5, v9
	s_delay_alu instid0(VALU_DEP_1) | instskip(SKIP_1) | instid1(VALU_DEP_1)
	v_ashrrev_i32_e32 v25, 10, v9
	v_ashrrev_i32_e32 v8, 31, v13
	v_lshrrev_b32_e32 v8, 27, v8
	s_delay_alu instid0(VALU_DEP_1) | instskip(NEXT) | instid1(VALU_DEP_1)
	v_add_nc_u32_e32 v8, v13, v8
	v_ashrrev_i32_e32 v15, 5, v8
	s_delay_alu instid0(VALU_DEP_1) | instskip(NEXT) | instid1(VALU_DEP_1)
	v_sub_nc_u32_e32 v24, v25, v15
	v_cmpx_lt_i32_e32 0, v24
	s_cbranch_execz .LBB10_2571
; %bb.2568:                             ;   in Loop: Header=BB10_2474 Depth=3
	v_and_b32_e32 v8, 0x7fffffe0, v8
	v_add_nc_u64_e32 v[28:29], 0x3c0, v[18:19]
	s_mov_b32 s14, 0
	s_delay_alu instid0(VALU_DEP_2) | instskip(NEXT) | instid1(VALU_DEP_1)
	v_dual_lshlrev_b32 v9, 10, v15 :: v_dual_sub_nc_u32 v8, v13, v8
	v_lshlrev_b32_e32 v8, 1, v8
	s_delay_alu instid0(VALU_DEP_1) | instskip(NEXT) | instid1(VALU_DEP_1)
	v_add3_u32 v26, v8, v1, v9
	v_ashrrev_i32_e32 v27, 31, v26
	s_delay_alu instid0(VALU_DEP_1)
	v_add_nc_u64_e32 v[8:9], v[26:27], v[20:21]
	v_add_nc_u64_e32 v[10:11], v[26:27], v[22:23]
	;; [unrolled: 1-line block ×3, first 2 shown]
.LBB10_2569:                            ;   Parent Loop BB10_47 Depth=1
                                        ;     Parent Loop BB10_2471 Depth=2
                                        ;       Parent Loop BB10_2474 Depth=3
                                        ; =>      This Inner Loop Header: Depth=4
	s_clause 0xf
	flat_load_u16 v26, v[42:43] offset:-960 th:TH_LOAD_NT
	flat_load_u16 v27, v[42:43] offset:-896 th:TH_LOAD_NT
	;; [unrolled: 1-line block ×15, first 2 shown]
	flat_load_u16 v114, v[42:43] th:TH_LOAD_NT
	v_sub_nc_u32_e32 v24, v24, v52
	s_wait_xcnt 0x0
	v_add_nc_u64_e32 v[42:43], v[42:43], v[80:81]
	s_wait_loadcnt_dscnt 0xf0f
	flat_store_b16 v[8:9], v26 th:TH_STORE_NT
	s_wait_loadcnt_dscnt 0xe0f
	flat_store_b16 v[8:9], v27 offset:64 th:TH_STORE_NT
	s_wait_loadcnt_dscnt 0xd0f
	flat_store_b16 v[8:9], v28 offset:128 th:TH_STORE_NT
	;; [unrolled: 2-line block ×15, first 2 shown]
	s_clause 0xf
	flat_store_b16 v[10:11], v26 th:TH_STORE_NT
	flat_store_b16 v[10:11], v27 offset:64 th:TH_STORE_NT
	flat_store_b16 v[10:11], v28 offset:128 th:TH_STORE_NT
	;; [unrolled: 1-line block ×15, first 2 shown]
	v_cmp_gt_i32_e32 vcc_lo, 1, v24
	s_wait_xcnt 0x10
	v_add_nc_u64_e32 v[8:9], v[8:9], v[80:81]
	s_wait_xcnt 0x0
	v_add_nc_u64_e32 v[10:11], v[10:11], v[80:81]
	s_or_b32 s14, vcc_lo, s14
	s_delay_alu instid0(SALU_CYCLE_1)
	s_and_not1_b32 exec_lo, exec_lo, s14
	s_cbranch_execnz .LBB10_2569
; %bb.2570:                             ;   in Loop: Header=BB10_2474 Depth=3
	s_or_b32 exec_lo, exec_lo, s14
.LBB10_2571:                            ;   in Loop: Header=BB10_2474 Depth=3
	s_delay_alu instid0(SALU_CYCLE_1) | instskip(SKIP_1) | instid1(VALU_DEP_1)
	s_or_b32 exec_lo, exec_lo, s13
	v_lshlrev_b32_e32 v8, 10, v25
	v_cmp_ne_u32_e32 vcc_lo, v5, v8
	s_and_b32 exec_lo, exec_lo, vcc_lo
	s_cbranch_execz .LBB10_2577
; %bb.2572:                             ;   in Loop: Header=BB10_2474 Depth=3
	v_dual_lshlrev_b32 v9, 5, v15 :: v_dual_lshlrev_b32 v10, 5, v24
	s_delay_alu instid0(VALU_DEP_1) | instskip(NEXT) | instid1(VALU_DEP_1)
	v_sub_nc_u32_e32 v9, v13, v9
	v_sub_nc_u32_e32 v9, v9, v10
	s_delay_alu instid0(VALU_DEP_1) | instskip(NEXT) | instid1(VALU_DEP_1)
	v_ashrrev_i32_e32 v10, 31, v9
	v_lshrrev_b32_e32 v10, 27, v10
	s_delay_alu instid0(VALU_DEP_1) | instskip(NEXT) | instid1(VALU_DEP_1)
	v_add_nc_u32_e32 v10, v9, v10
	v_and_b32_e32 v11, 0x7fffffe0, v10
	s_delay_alu instid0(VALU_DEP_1) | instskip(NEXT) | instid1(VALU_DEP_1)
	v_dual_lshlrev_b32 v10, 1, v10 :: v_dual_sub_nc_u32 v9, v9, v11
	v_and_b32_e32 v10, 0xffffffc0, v10
	s_delay_alu instid0(VALU_DEP_2) | instskip(NEXT) | instid1(VALU_DEP_1)
	v_lshlrev_b32_e32 v9, 1, v9
	v_add3_u32 v8, v10, v9, v8
	s_delay_alu instid0(VALU_DEP_1) | instskip(NEXT) | instid1(VALU_DEP_1)
	v_sub_nc_u32_e32 v5, v5, v8
	v_cmp_lt_i32_e32 vcc_lo, 1, v5
	s_and_b32 exec_lo, exec_lo, vcc_lo
	s_cbranch_execz .LBB10_2577
; %bb.2573:                             ;   in Loop: Header=BB10_2474 Depth=3
	v_add_nc_u32_e32 v24, v8, v1
	s_mov_b32 s63, 0
	s_delay_alu instid0(VALU_DEP_1) | instskip(NEXT) | instid1(VALU_DEP_1)
	v_ashrrev_i32_e32 v25, 31, v24
	v_add_nc_u64_e32 v[8:9], v[24:25], v[18:19]
	v_add_nc_u64_e32 v[10:11], v[24:25], v[20:21]
	v_add_nc_u64_e32 v[22:23], v[24:25], v[22:23]
.LBB10_2574:                            ;   Parent Loop BB10_47 Depth=1
                                        ;     Parent Loop BB10_2471 Depth=2
                                        ;       Parent Loop BB10_2474 Depth=3
                                        ; =>      This Loop Header: Depth=4
                                        ;           Child Loop BB10_2575 Depth 5
	flat_load_u16 v1, v[8:9] th:TH_LOAD_NT
	s_mov_b64 s[40:41], 0
	s_mov_b32 s72, -1
.LBB10_2575:                            ;   Parent Loop BB10_47 Depth=1
                                        ;     Parent Loop BB10_2471 Depth=2
                                        ;       Parent Loop BB10_2474 Depth=3
                                        ;         Parent Loop BB10_2574 Depth=4
                                        ; =>        This Inner Loop Header: Depth=5
	s_cmp_eq_u32 s40, 1
	s_cselect_b32 vcc_lo, -1, 0
	s_cmp_eq_u32 s40, 0
	s_wait_xcnt 0x0
	v_dual_cndmask_b32 v25, v11, v23 :: v_dual_cndmask_b32 v24, v10, v22
	s_cselect_b32 s13, -1, 0
	s_and_b32 s14, exec_lo, s72
	s_mov_b64 s[40:41], 1
	s_mov_b32 s72, 0
	v_add_nc_u64_e32 v[26:27], 64, v[24:25]
	s_wait_loadcnt_dscnt 0x0
	flat_store_b16 v[24:25], v1 th:TH_STORE_NT
	v_dual_cndmask_b32 v23, v23, v27 :: v_dual_cndmask_b32 v22, v22, v26
	v_dual_cndmask_b32 v11, v11, v27, s13 :: v_dual_cndmask_b32 v10, v10, v26, s13
	s_mov_b32 vcc_lo, s14
	s_cbranch_vccnz .LBB10_2575
; %bb.2576:                             ;   in Loop: Header=BB10_2574 Depth=4
	v_sub_nc_u32_e32 v5, v5, v82
	s_delay_alu instid0(VALU_DEP_2)
	v_add_nc_u64_e32 v[10:11], v[10:11], v[100:101]
	v_add_nc_u64_e32 v[22:23], v[22:23], v[100:101]
	s_wait_xcnt 0x1
	v_add_nc_u64_e32 v[8:9], v[102:103], v[8:9]
	v_cmp_gt_i32_e32 vcc_lo, 2, v5
	s_or_b32 s63, vcc_lo, s63
	s_wait_xcnt 0x0
	s_and_not1_b32 exec_lo, exec_lo, s63
	s_cbranch_execnz .LBB10_2574
.LBB10_2577:                            ;   in Loop: Header=BB10_2474 Depth=3
	s_or_b32 exec_lo, exec_lo, s15
	s_mov_b32 s13, 0
.LBB10_2578:                            ;   in Loop: Header=BB10_2474 Depth=3
	s_delay_alu instid0(SALU_CYCLE_1)
	s_and_b32 vcc_lo, exec_lo, s13
	s_cbranch_vccz .LBB10_2605
; %bb.2579:                             ;   in Loop: Header=BB10_2474 Depth=3
	s_mov_b32 s13, -1
	s_and_saveexec_b32 s14, s10
	s_cbranch_execz .LBB10_2581
; %bb.2580:                             ;   in Loop: Header=BB10_2474 Depth=3
	ds_load_b32 v1, v0 offset:720
	s_wait_dscnt 0x0
	v_and_b32_e32 v1, 15, v1
	s_delay_alu instid0(VALU_DEP_1)
	v_cmp_eq_u32_e32 vcc_lo, 0, v1
	s_or_not1_b32 s13, vcc_lo, exec_lo
.LBB10_2581:                            ;   in Loop: Header=BB10_2474 Depth=3
	s_or_b32 exec_lo, exec_lo, s14
	s_and_saveexec_b32 s14, s7
	s_cbranch_execz .LBB10_2583
; %bb.2582:                             ;   in Loop: Header=BB10_2474 Depth=3
	ds_load_b32 v1, v0 offset:784
	s_wait_dscnt 0x0
	v_and_b32_e32 v1, 15, v1
	s_delay_alu instid0(VALU_DEP_1) | instskip(SKIP_3) | instid1(SALU_CYCLE_1)
	v_cmp_eq_u32_e32 vcc_lo, 0, v1
	s_and_b32 s15, s13, vcc_lo
	s_and_not1_b32 s13, s13, exec_lo
	s_and_b32 s15, s15, exec_lo
	s_or_b32 s13, s13, s15
.LBB10_2583:                            ;   in Loop: Header=BB10_2474 Depth=3
	s_or_b32 exec_lo, exec_lo, s14
	s_xor_b32 s13, s13, -1
	s_mov_b32 s15, -1
	v_cndmask_b32_e64 v1, 0, 1, s13
	s_delay_alu instid0(VALU_DEP_1)
	v_cmp_ne_u32_e32 vcc_lo, 0, v1
	v_mov_b32_e32 v1, 0
	s_cbranch_vccz .LBB10_2585
; %bb.2584:                             ;   in Loop: Header=BB10_2474 Depth=3
	v_mov_b32_e32 v5, v0
	s_and_saveexec_b32 s13, s15
	s_cbranch_execnz .LBB10_2596
	s_branch .LBB10_2604
.LBB10_2585:                            ;   in Loop: Header=BB10_2474 Depth=3
	v_ashrrev_i32_e32 v1, 31, v4
	s_mov_b32 s13, exec_lo
	s_delay_alu instid0(VALU_DEP_1) | instskip(NEXT) | instid1(VALU_DEP_1)
	v_dual_lshrrev_b32 v5, 5, v0 :: v_dual_lshrrev_b32 v1, 20, v1
	v_add_nc_u32_e32 v1, v4, v1
	s_delay_alu instid0(VALU_DEP_1) | instskip(NEXT) | instid1(VALU_DEP_1)
	v_ashrrev_i32_e32 v1, 12, v1
	v_sub_nc_u32_e32 v13, v1, v5
	s_delay_alu instid0(VALU_DEP_1)
	v_cmpx_lt_i32_e32 0, v13
	s_cbranch_execz .LBB10_2589
; %bb.2586:                             ;   in Loop: Header=BB10_2474 Depth=3
	v_mov_b64_e32 v[8:9], v[20:21]
	v_mov_b64_e32 v[10:11], v[18:19]
	s_mov_b32 s14, 0
.LBB10_2587:                            ;   Parent Loop BB10_47 Depth=1
                                        ;     Parent Loop BB10_2471 Depth=2
                                        ;       Parent Loop BB10_2474 Depth=3
                                        ; =>      This Inner Loop Header: Depth=4
	s_delay_alu instid0(VALU_DEP_1)
	v_add_nc_u64_e32 v[54:55], v[96:97], v[10:11]
	v_sub_nc_u32_e32 v13, v13, v52
	v_add_nc_u64_e32 v[10:11], v[10:11], v[68:69]
	s_clause 0x3
	global_load_b128 v[22:25], v[54:55], off th:TH_LOAD_NT
	global_load_b128 v[26:29], v[54:55], off offset:512 th:TH_LOAD_NT
	global_load_b128 v[64:67], v[54:55], off offset:1024 th:TH_LOAD_NT
	;; [unrolled: 1-line block ×3, first 2 shown]
	s_wait_loadcnt 0x5
	global_load_b128 v[40:43], v[54:55], off offset:2048 th:TH_LOAD_NT
	s_wait_loadcnt 0x5
	s_clause 0x2
	global_load_b128 v[44:47], v[54:55], off offset:2560 th:TH_LOAD_NT
	global_load_b128 v[58:61], v[54:55], off offset:3072 th:TH_LOAD_NT
	;; [unrolled: 1-line block ×3, first 2 shown]
	s_wait_xcnt 0x0
	v_add_nc_u64_e32 v[54:55], v[96:97], v[8:9]
	v_add_nc_u64_e32 v[8:9], v[8:9], v[68:69]
	v_cmp_gt_i32_e32 vcc_lo, 1, v13
	s_wait_loadcnt 0x7
	global_store_b128 v[54:55], v[22:25], off th:TH_STORE_NT
	s_wait_loadcnt 0x6
	global_store_b128 v[54:55], v[26:29], off offset:512 th:TH_STORE_NT
	s_wait_loadcnt 0x5
	global_store_b128 v[54:55], v[64:67], off offset:1024 th:TH_STORE_NT
	s_wait_loadcnt 0x4
	global_store_b128 v[54:55], v[112:115], off offset:1536 th:TH_STORE_NT
	s_wait_loadcnt 0x3
	global_store_b128 v[54:55], v[40:43], off offset:2048 th:TH_STORE_NT
	s_wait_loadcnt 0x2
	global_store_b128 v[54:55], v[44:47], off offset:2560 th:TH_STORE_NT
	s_wait_loadcnt 0x1
	global_store_b128 v[54:55], v[58:61], off offset:3072 th:TH_STORE_NT
	s_wait_loadcnt 0x0
	global_store_b128 v[54:55], v[72:75], off offset:3584 th:TH_STORE_NT
	s_or_b32 s14, vcc_lo, s14
	s_wait_xcnt 0x0
	s_and_not1_b32 exec_lo, exec_lo, s14
	s_cbranch_execnz .LBB10_2587
; %bb.2588:                             ;   in Loop: Header=BB10_2474 Depth=3
	s_or_b32 exec_lo, exec_lo, s14
	s_clause 0x1
	scratch_load_b64 v[40:41], off, s33 offset:220
	scratch_load_b64 v[46:47], off, s33 offset:228
.LBB10_2589:                            ;   in Loop: Header=BB10_2474 Depth=3
	s_wait_xcnt 0x0
	s_or_b32 exec_lo, exec_lo, s13
	v_dual_mov_b32 v1, 0 :: v_dual_lshlrev_b32 v10, 12, v1
	s_mov_b32 s15, 0
	s_mov_b32 s14, exec_lo
                                        ; implicit-def: $vgpr5
	s_delay_alu instid0(VALU_DEP_1)
	v_cmpx_ne_u32_e64 v4, v10
	s_cbranch_execz .LBB10_2595
; %bb.2590:                             ;   in Loop: Header=BB10_2474 Depth=3
	v_dual_lshlrev_b32 v1, 5, v13 :: v_dual_bitop2_b32 v5, 31, v0 bitop3:0x40
	s_mov_b32 s15, exec_lo
	s_delay_alu instid0(VALU_DEP_1) | instskip(NEXT) | instid1(VALU_DEP_1)
	v_dual_sub_nc_u32 v9, v4, v10 :: v_dual_sub_nc_u32 v1, v5, v1
	v_ashrrev_i32_e32 v5, 31, v1
	s_delay_alu instid0(VALU_DEP_1) | instskip(NEXT) | instid1(VALU_DEP_1)
	v_lshrrev_b32_e32 v5, 27, v5
	v_add_nc_u32_e32 v11, v1, v5
	s_delay_alu instid0(VALU_DEP_1) | instskip(NEXT) | instid1(VALU_DEP_1)
	v_dual_ashrrev_i32 v22, 5, v11 :: v_dual_ashrrev_i32 v8, 31, v9
	v_lshrrev_b32_e32 v5, 23, v8
	v_and_b32_e32 v8, 0xffffffe0, v11
	s_delay_alu instid0(VALU_DEP_2) | instskip(NEXT) | instid1(VALU_DEP_2)
	v_add_nc_u32_e32 v13, v9, v5
	v_sub_nc_u32_e32 v5, v1, v8
	s_delay_alu instid0(VALU_DEP_1) | instskip(NEXT) | instid1(VALU_DEP_3)
	v_lshlrev_b32_e32 v8, 4, v5
	v_and_b32_e32 v1, 0xfffffe00, v13
	v_ashrrev_i32_e32 v13, 9, v13
	s_delay_alu instid0(VALU_DEP_3) | instskip(NEXT) | instid1(VALU_DEP_1)
	v_lshl_add_u32 v8, v22, 9, v8
	v_dual_sub_nc_u32 v11, v9, v1 :: v_dual_sub_nc_u32 v15, v9, v8
	s_delay_alu instid0(VALU_DEP_1) | instskip(NEXT) | instid1(VALU_DEP_4)
	v_cmp_lt_i32_e32 vcc_lo, 15, v11
	v_add_co_ci_u32_e64 v13, null, 0, v13, vcc_lo
	s_delay_alu instid0(VALU_DEP_1) | instskip(NEXT) | instid1(VALU_DEP_4)
	v_sub_nc_u32_e32 v13, v13, v22
	v_cmpx_lt_i32_e32 15, v15
	s_cbranch_execz .LBB10_2594
; %bb.2591:                             ;   in Loop: Header=BB10_2474 Depth=3
	v_add_nc_u32_e32 v8, v8, v10
	s_mov_b32 s40, 0
	s_delay_alu instid0(VALU_DEP_1)
	v_ashrrev_i32_e32 v9, 31, v8
.LBB10_2592:                            ;   Parent Loop BB10_47 Depth=1
                                        ;     Parent Loop BB10_2471 Depth=2
                                        ;       Parent Loop BB10_2474 Depth=3
                                        ; =>      This Inner Loop Header: Depth=4
	s_delay_alu instid0(VALU_DEP_1) | instskip(SKIP_3) | instid1(VALU_DEP_3)
	v_add_nc_u64_e32 v[22:23], v[18:19], v[8:9]
	v_dual_sub_nc_u32 v15, v15, v70 :: v_dual_sub_nc_u32 v13, v13, v52
	v_add_nc_u64_e32 v[26:27], v[20:21], v[8:9]
	v_add_nc_u64_e32 v[8:9], v[8:9], v[70:71]
	v_cmp_gt_i32_e64 s13, 16, v15
	global_load_b128 v[22:25], v[22:23], off th:TH_LOAD_NT
	s_or_b32 s40, s13, s40
	s_wait_loadcnt 0x0
	global_store_b128 v[26:27], v[22:25], off th:TH_STORE_NT
	s_wait_xcnt 0x0
	s_and_not1_b32 exec_lo, exec_lo, s40
	s_cbranch_execnz .LBB10_2592
; %bb.2593:                             ;   in Loop: Header=BB10_2474 Depth=3
	s_or_b32 exec_lo, exec_lo, s40
.LBB10_2594:                            ;   in Loop: Header=BB10_2474 Depth=3
	s_delay_alu instid0(SALU_CYCLE_1) | instskip(NEXT) | instid1(VALU_DEP_2)
	s_or_b32 exec_lo, exec_lo, s15
	v_cmp_lt_i32_e64 s13, 0, v13
	s_delay_alu instid0(VALU_DEP_1) | instskip(NEXT) | instid1(VALU_DEP_1)
	v_cndmask_b32_e64 v9, 0, v52, s13
	v_dual_sub_nc_u32 v9, v9, v13 :: v_dual_bitop2_b32 v4, 14, v4 bitop3:0x40
	s_delay_alu instid0(VALU_DEP_1) | instskip(NEXT) | instid1(VALU_DEP_2)
	v_dual_sub_nc_u32 v8, v11, v4 :: v_dual_cndmask_b32 v4, v11, v4, vcc_lo
	v_lshl_add_u32 v5, v9, 5, v5
	s_delay_alu instid0(VALU_DEP_2) | instskip(NEXT) | instid1(VALU_DEP_3)
	v_cndmask_b32_e32 v8, 0, v8, vcc_lo
	v_cmp_ne_u32_e32 vcc_lo, 0, v4
	s_delay_alu instid0(VALU_DEP_2)
	v_add3_u32 v1, v1, v10, v8
	s_and_b32 s15, vcc_lo, exec_lo
.LBB10_2595:                            ;   in Loop: Header=BB10_2474 Depth=3
	s_or_b32 exec_lo, exec_lo, s14
	s_and_saveexec_b32 s13, s15
	s_cbranch_execz .LBB10_2604
.LBB10_2596:                            ;   in Loop: Header=BB10_2474 Depth=3
	s_delay_alu instid0(VALU_DEP_1) | instskip(SKIP_1) | instid1(VALU_DEP_1)
	v_dual_ashrrev_i32 v8, 31, v5 :: v_dual_ashrrev_i32 v9, 31, v4
	s_mov_b32 s14, exec_lo
	v_dual_lshrrev_b32 v8, 27, v8 :: v_dual_lshrrev_b32 v9, 22, v9
	s_delay_alu instid0(VALU_DEP_1) | instskip(NEXT) | instid1(VALU_DEP_1)
	v_dual_add_nc_u32 v8, v5, v8 :: v_dual_add_nc_u32 v9, v4, v9
	v_dual_ashrrev_i32 v13, 5, v8 :: v_dual_ashrrev_i32 v24, 10, v9
	s_delay_alu instid0(VALU_DEP_1) | instskip(NEXT) | instid1(VALU_DEP_1)
	v_sub_nc_u32_e32 v15, v24, v13
	v_cmpx_lt_i32_e32 0, v15
	s_cbranch_execz .LBB10_2600
; %bb.2597:                             ;   in Loop: Header=BB10_2474 Depth=3
	v_and_b32_e32 v8, 0x7fffffe0, v8
	v_mov_b64_e32 v[10:11], v[20:21]
	v_mov_b64_e32 v[22:23], v[18:19]
	s_mov_b32 s15, 0
	s_delay_alu instid0(VALU_DEP_3) | instskip(NEXT) | instid1(VALU_DEP_1)
	v_dual_lshlrev_b32 v9, 10, v13 :: v_dual_sub_nc_u32 v8, v5, v8
	v_lshlrev_b32_e32 v8, 1, v8
	s_delay_alu instid0(VALU_DEP_1) | instskip(NEXT) | instid1(VALU_DEP_1)
	v_add3_u32 v8, v8, v1, v9
	v_ashrrev_i32_e32 v9, 31, v8
.LBB10_2598:                            ;   Parent Loop BB10_47 Depth=1
                                        ;     Parent Loop BB10_2471 Depth=2
                                        ;       Parent Loop BB10_2474 Depth=3
                                        ; =>      This Inner Loop Header: Depth=4
	s_delay_alu instid0(VALU_DEP_1)
	v_add_nc_u64_e32 v[26:27], v[8:9], v[22:23]
	v_sub_nc_u32_e32 v15, v15, v52
	v_add_nc_u64_e32 v[22:23], v[22:23], v[80:81]
	s_clause 0xf
	flat_load_u16 v25, v[26:27] th:TH_LOAD_NT
	flat_load_u16 v28, v[26:27] offset:64 th:TH_LOAD_NT
	flat_load_u16 v29, v[26:27] offset:128 th:TH_LOAD_NT
	;; [unrolled: 1-line block ×15, first 2 shown]
	s_wait_xcnt 0x0
	v_add_nc_u64_e32 v[26:27], v[8:9], v[10:11]
	v_add_nc_u64_e32 v[10:11], v[10:11], v[80:81]
	v_cmp_gt_i32_e32 vcc_lo, 1, v15
	s_wait_loadcnt_dscnt 0xf0f
	flat_store_b16 v[26:27], v25 th:TH_STORE_NT
	s_wait_loadcnt_dscnt 0xe0f
	flat_store_b16 v[26:27], v28 offset:64 th:TH_STORE_NT
	s_wait_loadcnt_dscnt 0xd0f
	flat_store_b16 v[26:27], v29 offset:128 th:TH_STORE_NT
	;; [unrolled: 2-line block ×15, first 2 shown]
	s_or_b32 s15, vcc_lo, s15
	s_wait_xcnt 0x0
	s_and_not1_b32 exec_lo, exec_lo, s15
	s_cbranch_execnz .LBB10_2598
; %bb.2599:                             ;   in Loop: Header=BB10_2474 Depth=3
	s_or_b32 exec_lo, exec_lo, s15
.LBB10_2600:                            ;   in Loop: Header=BB10_2474 Depth=3
	s_delay_alu instid0(SALU_CYCLE_1) | instskip(SKIP_1) | instid1(VALU_DEP_1)
	s_or_b32 exec_lo, exec_lo, s14
	v_lshlrev_b32_e32 v8, 10, v24
	v_cmp_ne_u32_e32 vcc_lo, v4, v8
	s_and_b32 exec_lo, exec_lo, vcc_lo
	s_cbranch_execz .LBB10_2604
; %bb.2601:                             ;   in Loop: Header=BB10_2474 Depth=3
	v_lshlrev_b32_e32 v9, 5, v13
	s_delay_alu instid0(VALU_DEP_1) | instskip(NEXT) | instid1(VALU_DEP_1)
	v_dual_sub_nc_u32 v5, v5, v9 :: v_dual_lshlrev_b32 v9, 5, v15
	v_sub_nc_u32_e32 v5, v5, v9
	s_delay_alu instid0(VALU_DEP_1) | instskip(NEXT) | instid1(VALU_DEP_1)
	v_ashrrev_i32_e32 v9, 31, v5
	v_lshrrev_b32_e32 v9, 27, v9
	s_delay_alu instid0(VALU_DEP_1) | instskip(NEXT) | instid1(VALU_DEP_1)
	v_add_nc_u32_e32 v9, v5, v9
	v_and_b32_e32 v10, 0x7fffffe0, v9
	s_delay_alu instid0(VALU_DEP_1) | instskip(NEXT) | instid1(VALU_DEP_1)
	v_dual_lshlrev_b32 v9, 1, v9 :: v_dual_sub_nc_u32 v5, v5, v10
	v_and_b32_e32 v9, 0xffffffc0, v9
	s_delay_alu instid0(VALU_DEP_2) | instskip(NEXT) | instid1(VALU_DEP_1)
	v_lshlrev_b32_e32 v5, 1, v5
	v_add3_u32 v5, v9, v5, v8
	s_delay_alu instid0(VALU_DEP_1) | instskip(NEXT) | instid1(VALU_DEP_1)
	v_sub_nc_u32_e32 v4, v4, v5
	v_cmp_lt_i32_e32 vcc_lo, 1, v4
	s_and_b32 exec_lo, exec_lo, vcc_lo
	s_cbranch_execz .LBB10_2604
; %bb.2602:                             ;   in Loop: Header=BB10_2474 Depth=3
	v_add_nc_u32_e32 v8, v5, v1
	s_mov_b32 s14, 0
	s_delay_alu instid0(VALU_DEP_1)
	v_ashrrev_i32_e32 v9, 31, v8
.LBB10_2603:                            ;   Parent Loop BB10_47 Depth=1
                                        ;     Parent Loop BB10_2471 Depth=2
                                        ;       Parent Loop BB10_2474 Depth=3
                                        ; =>      This Inner Loop Header: Depth=4
	s_delay_alu instid0(VALU_DEP_1) | instskip(SKIP_1) | instid1(VALU_DEP_1)
	v_add_nc_u64_e32 v[10:11], v[18:19], v[8:9]
	v_sub_nc_u32_e32 v4, v4, v82
	v_cmp_gt_i32_e32 vcc_lo, 2, v4
	flat_load_u16 v1, v[10:11] th:TH_LOAD_NT
	s_wait_xcnt 0x0
	v_add_nc_u64_e32 v[10:11], v[20:21], v[8:9]
	v_add_nc_u64_e32 v[8:9], v[8:9], v[82:83]
	s_or_b32 s14, vcc_lo, s14
	s_wait_loadcnt_dscnt 0x0
	flat_store_b16 v[10:11], v1 th:TH_STORE_NT
	s_wait_xcnt 0x0
	s_and_not1_b32 exec_lo, exec_lo, s14
	s_cbranch_execnz .LBB10_2603
.LBB10_2604:                            ;   in Loop: Header=BB10_2474 Depth=3
	s_or_b32 exec_lo, exec_lo, s13
.LBB10_2605:                            ;   in Loop: Header=BB10_2474 Depth=3
	v_cmp_lt_i32_e64 s13, 0, v2
	s_and_saveexec_b32 s14, s2
	s_cbranch_execz .LBB10_2550
.LBB10_2606:                            ;   in Loop: Header=BB10_2474 Depth=3
	s_and_saveexec_b32 s15, s3
	s_delay_alu instid0(SALU_CYCLE_1)
	s_xor_b32 s15, exec_lo, s15
	s_cbranch_execz .LBB10_2621
; %bb.2607:                             ;   in Loop: Header=BB10_2474 Depth=3
	s_and_saveexec_b32 s40, s6
	s_cbranch_execz .LBB10_2620
; %bb.2608:                             ;   in Loop: Header=BB10_2474 Depth=3
	s_mov_b32 s63, exec_lo
	s_mov_b32 s41, exec_lo
	v_mbcnt_lo_u32_b32 v1, s63, 0
	global_wb scope:SCOPE_DEV
	s_wait_storecnt 0x0
	s_wait_loadcnt_dscnt 0x0
	global_inv scope:SCOPE_DEV
	v_cmpx_eq_u32_e32 0, v1
	s_cbranch_execz .LBB10_2610
; %bb.2609:                             ;   in Loop: Header=BB10_2474 Depth=3
	s_bcnt1_i32_b32 s63, s63
	s_delay_alu instid0(SALU_CYCLE_1)
	v_mov_b32_e32 v2, s63
	s_wait_loadcnt 0x0
	ds_add_u64 v0, v[2:3]
	s_trap 2
.LBB10_2610:                            ;   in Loop: Header=BB10_2474 Depth=3
	s_or_b32 exec_lo, exec_lo, s41
	s_trap 2
	ds_load_b64 v[4:5], v0
	s_wait_dscnt 0x0
	v_add_nc_u64_e32 v[48:49], v[48:49], v[52:53]
	s_mov_b32 s41, exec_lo
	s_delay_alu instid0(VALU_DEP_1)
	v_cmpx_lt_u64_e64 v[4:5], v[48:49]
	s_cbranch_execz .LBB10_2619
; %bb.2611:                             ;   in Loop: Header=BB10_2474 Depth=3
	s_mov_b32 s63, 0
	s_mov_b32 s74, 0
                                        ; implicit-def: $sgpr72
                                        ; implicit-def: $sgpr73
	s_branch .LBB10_2613
.LBB10_2612:                            ;   in Loop: Header=BB10_2613 Depth=4
	s_or_b32 exec_lo, exec_lo, s76
	s_delay_alu instid0(SALU_CYCLE_1) | instskip(NEXT) | instid1(SALU_CYCLE_1)
	s_and_b32 s75, exec_lo, s77
	s_or_b32 s63, s75, s63
	s_and_not1_b32 s72, s72, exec_lo
	s_and_b32 s75, s73, exec_lo
	s_delay_alu instid0(SALU_CYCLE_1)
	s_or_b32 s72, s72, s75
	s_and_not1_b32 exec_lo, exec_lo, s63
	s_cbranch_execz .LBB10_2617
.LBB10_2613:                            ;   Parent Loop BB10_47 Depth=1
                                        ;     Parent Loop BB10_2471 Depth=2
                                        ;       Parent Loop BB10_2474 Depth=3
                                        ; =>      This Inner Loop Header: Depth=4
	s_add_co_i32 s74, s74, 1
	s_delay_alu instid0(SALU_CYCLE_1) | instskip(SKIP_1) | instid1(SALU_CYCLE_1)
	s_cmp_lg_u32 s74, 0x2710
	s_cselect_b32 s75, -1, 0
	s_and_b32 vcc_lo, exec_lo, s75
	s_cbranch_vccz .LBB10_2615
; %bb.2614:                             ;   in Loop: Header=BB10_2613 Depth=4
	s_mov_b32 s77, -1
	s_or_b32 s73, s73, exec_lo
	s_and_saveexec_b32 s76, s75
	s_cbranch_execz .LBB10_2612
	s_branch .LBB10_2616
.LBB10_2615:                            ;   in Loop: Header=BB10_2613 Depth=4
	s_trap 2
	ds_load_b64 v[4:5], v0
	s_and_not1_b32 s75, s75, exec_lo
	s_mov_b32 s74, 0
	s_wait_loadcnt_dscnt 0x0
	flat_load_b32 v1, v[4:5] scope:SCOPE_SYS
	s_wait_loadcnt_dscnt 0x0
	global_inv scope:SCOPE_SYS
	v_cmp_eq_u32_e32 vcc_lo, 0, v1
	s_and_b32 s76, vcc_lo, exec_lo
	s_delay_alu instid0(SALU_CYCLE_1)
	s_or_b32 s75, s75, s76
	s_mov_b32 s77, -1
	s_or_b32 s73, s73, exec_lo
	s_wait_xcnt 0x0
	s_and_saveexec_b32 s76, s75
	s_cbranch_execz .LBB10_2612
.LBB10_2616:                            ;   in Loop: Header=BB10_2613 Depth=4
	s_sleep 1
	s_trap 2
	ds_load_b64 v[4:5], v0
	s_wait_dscnt 0x0
	s_and_not1_b32 s73, s73, exec_lo
	v_cmp_ge_u64_e32 vcc_lo, v[4:5], v[48:49]
	s_or_not1_b32 s77, vcc_lo, exec_lo
	s_branch .LBB10_2612
.LBB10_2617:                            ;   in Loop: Header=BB10_2474 Depth=3
	s_or_b32 exec_lo, exec_lo, s63
	s_and_saveexec_b32 s63, s72
	s_delay_alu instid0(SALU_CYCLE_1)
	s_xor_b32 s63, exec_lo, s63
	s_cbranch_execz .LBB10_2619
; %bb.2618:                             ;   in Loop: Header=BB10_2474 Depth=3
	ds_store_b32 v0, v89
	s_trap 2
.LBB10_2619:                            ;   in Loop: Header=BB10_2474 Depth=3
	s_or_b32 exec_lo, exec_lo, s41
	;;#ASMSTART
	s_wakeup
	;;#ASMEND
.LBB10_2620:                            ;   in Loop: Header=BB10_2474 Depth=3
	s_or_b32 exec_lo, exec_lo, s40
.LBB10_2621:                            ;   in Loop: Header=BB10_2474 Depth=3
	s_and_not1_saveexec_b32 s15, s15
	s_cbranch_execz .LBB10_2623
; %bb.2622:                             ;   in Loop: Header=BB10_2474 Depth=3
	global_wb scope:SCOPE_DEV
	s_wait_storecnt 0x0
	s_wait_loadcnt_dscnt 0x0
	global_inv scope:SCOPE_DEV
	s_barrier_signal -1
	s_barrier_wait -1
.LBB10_2623:                            ;   in Loop: Header=BB10_2474 Depth=3
	s_or_b32 exec_lo, exec_lo, s15
	s_delay_alu instid0(SALU_CYCLE_1) | instskip(SKIP_1) | instid1(SALU_CYCLE_1)
	s_or_b32 exec_lo, exec_lo, s14
                                        ; implicit-def: $vgpr1
	s_and_saveexec_b32 s14, s12
	s_xor_b32 s14, exec_lo, s14
	s_cbranch_execnz .LBB10_2551
.LBB10_2624:                            ;   in Loop: Header=BB10_2474 Depth=3
	s_and_not1_saveexec_b32 s13, s14
	s_cbranch_execz .LBB10_2643
.LBB10_2625:                            ;   in Loop: Header=BB10_2474 Depth=3
	s_and_saveexec_b32 s14, s3
	s_delay_alu instid0(SALU_CYCLE_1)
	s_xor_b32 s14, exec_lo, s14
	s_cbranch_execz .LBB10_2640
; %bb.2626:                             ;   in Loop: Header=BB10_2474 Depth=3
	s_and_saveexec_b32 s15, s6
	s_cbranch_execz .LBB10_2639
; %bb.2627:                             ;   in Loop: Header=BB10_2474 Depth=3
	s_mov_b32 s41, exec_lo
	s_mov_b32 s40, exec_lo
	v_mbcnt_lo_u32_b32 v1, s41, 0
	;;#ASMSTART
	s_waitcnt lgkmcnt(0) vmcnt(0)
	;;#ASMEND
	s_delay_alu instid0(VALU_DEP_1)
	v_cmpx_eq_u32_e32 0, v1
	s_cbranch_execz .LBB10_2629
; %bb.2628:                             ;   in Loop: Header=BB10_2474 Depth=3
	s_bcnt1_i32_b32 s41, s41
	s_delay_alu instid0(SALU_CYCLE_1)
	v_mov_b32_e32 v2, s41
	s_wait_storecnt 0x0
	s_wait_loadcnt_dscnt 0x0
	ds_add_u64 v0, v[2:3]
	s_trap 2
.LBB10_2629:                            ;   in Loop: Header=BB10_2474 Depth=3
	s_or_b32 exec_lo, exec_lo, s40
	s_trap 2
	ds_load_b64 v[4:5], v0
	s_wait_dscnt 0x0
	v_add_nc_u64_e32 v[48:49], v[48:49], v[52:53]
	s_mov_b32 s40, exec_lo
	s_delay_alu instid0(VALU_DEP_1)
	v_cmpx_lt_u64_e64 v[4:5], v[48:49]
	s_cbranch_execz .LBB10_2638
; %bb.2630:                             ;   in Loop: Header=BB10_2474 Depth=3
	s_mov_b32 s41, 0
	s_mov_b32 s73, 0
                                        ; implicit-def: $sgpr63
                                        ; implicit-def: $sgpr72
	s_branch .LBB10_2632
.LBB10_2631:                            ;   in Loop: Header=BB10_2632 Depth=4
	s_or_b32 exec_lo, exec_lo, s75
	s_delay_alu instid0(SALU_CYCLE_1) | instskip(NEXT) | instid1(SALU_CYCLE_1)
	s_and_b32 s74, exec_lo, s76
	s_or_b32 s41, s74, s41
	s_and_not1_b32 s63, s63, exec_lo
	s_and_b32 s74, s72, exec_lo
	s_delay_alu instid0(SALU_CYCLE_1)
	s_or_b32 s63, s63, s74
	s_and_not1_b32 exec_lo, exec_lo, s41
	s_cbranch_execz .LBB10_2636
.LBB10_2632:                            ;   Parent Loop BB10_47 Depth=1
                                        ;     Parent Loop BB10_2471 Depth=2
                                        ;       Parent Loop BB10_2474 Depth=3
                                        ; =>      This Inner Loop Header: Depth=4
	s_add_co_i32 s73, s73, 1
	s_delay_alu instid0(SALU_CYCLE_1) | instskip(SKIP_1) | instid1(SALU_CYCLE_1)
	s_cmp_lg_u32 s73, 0x2710
	s_cselect_b32 s74, -1, 0
	s_and_b32 vcc_lo, exec_lo, s74
	s_cbranch_vccz .LBB10_2634
; %bb.2633:                             ;   in Loop: Header=BB10_2632 Depth=4
	s_mov_b32 s76, -1
	s_or_b32 s72, s72, exec_lo
	s_and_saveexec_b32 s75, s74
	s_cbranch_execz .LBB10_2631
	s_branch .LBB10_2635
.LBB10_2634:                            ;   in Loop: Header=BB10_2632 Depth=4
	s_trap 2
	ds_load_b64 v[4:5], v0
	s_and_not1_b32 s74, s74, exec_lo
	s_mov_b32 s73, 0
	s_wait_storecnt 0x0
	s_wait_loadcnt_dscnt 0x0
	flat_load_b32 v1, v[4:5] scope:SCOPE_SYS
	s_wait_loadcnt_dscnt 0x0
	global_inv scope:SCOPE_SYS
	v_cmp_eq_u32_e32 vcc_lo, 0, v1
	s_and_b32 s75, vcc_lo, exec_lo
	s_delay_alu instid0(SALU_CYCLE_1)
	s_or_b32 s74, s74, s75
	s_mov_b32 s76, -1
	s_or_b32 s72, s72, exec_lo
	s_wait_xcnt 0x0
	s_and_saveexec_b32 s75, s74
	s_cbranch_execz .LBB10_2631
.LBB10_2635:                            ;   in Loop: Header=BB10_2632 Depth=4
	s_sleep 1
	s_trap 2
	ds_load_b64 v[4:5], v0
	s_wait_dscnt 0x0
	s_and_not1_b32 s72, s72, exec_lo
	v_cmp_ge_u64_e32 vcc_lo, v[4:5], v[48:49]
	s_or_not1_b32 s76, vcc_lo, exec_lo
	s_branch .LBB10_2631
.LBB10_2636:                            ;   in Loop: Header=BB10_2474 Depth=3
	s_or_b32 exec_lo, exec_lo, s41
	s_and_saveexec_b32 s41, s63
	s_delay_alu instid0(SALU_CYCLE_1)
	s_xor_b32 s41, exec_lo, s41
	s_cbranch_execz .LBB10_2638
; %bb.2637:                             ;   in Loop: Header=BB10_2474 Depth=3
	ds_store_b32 v0, v89
	s_trap 2
.LBB10_2638:                            ;   in Loop: Header=BB10_2474 Depth=3
	s_or_b32 exec_lo, exec_lo, s40
	;;#ASMSTART
	s_wakeup
	;;#ASMEND
.LBB10_2639:                            ;   in Loop: Header=BB10_2474 Depth=3
	s_or_b32 exec_lo, exec_lo, s15
.LBB10_2640:                            ;   in Loop: Header=BB10_2474 Depth=3
	s_and_not1_saveexec_b32 s14, s14
	s_cbranch_execz .LBB10_2642
; %bb.2641:                             ;   in Loop: Header=BB10_2474 Depth=3
	;;#ASMSTART
	s_waitcnt lgkmcnt(0) vmcnt(0)
	;;#ASMEND
	s_barrier_signal -1
	s_barrier_wait -1
.LBB10_2642:                            ;   in Loop: Header=BB10_2474 Depth=3
	s_or_b32 exec_lo, exec_lo, s14
	v_and_b32_e32 v1, 16, v30
.LBB10_2643:                            ;   in Loop: Header=BB10_2474 Depth=3
	s_or_b32 exec_lo, exec_lo, s13
	s_delay_alu instid0(VALU_DEP_1) | instskip(SKIP_1) | instid1(SALU_CYCLE_1)
	v_cmp_ne_u32_e32 vcc_lo, 0, v1
	s_xor_b32 s13, s4, -1
	s_and_b32 s14, vcc_lo, s13
	s_delay_alu instid0(SALU_CYCLE_1)
	s_and_saveexec_b32 s13, s14
	s_cbranch_execz .LBB10_2645
; %bb.2644:                             ;   in Loop: Header=BB10_2474 Depth=3
	global_wb scope:SCOPE_SYS
	s_wait_storecnt 0x0
	s_wait_loadcnt_dscnt 0x0
	flat_store_b32 v[38:39], v89 scope:SCOPE_SYS
.LBB10_2645:                            ;   in Loop: Header=BB10_2474 Depth=3
	s_wait_xcnt 0x0
	s_or_b32 exec_lo, exec_lo, s13
	v_and_b32_e32 v1, 48, v30
	s_mov_b32 s13, exec_lo
	s_delay_alu instid0(VALU_DEP_1)
	v_cmpx_ne_u32_e32 0, v1
	s_cbranch_execz .LBB10_2473
; %bb.2646:                             ;   in Loop: Header=BB10_2474 Depth=3
	v_add_nc_u64_e32 v[116:117], 2, v[116:117]
	global_wb scope:SCOPE_SYS
	s_wait_storecnt 0x0
	s_wait_loadcnt_dscnt 0x0
	flat_store_b64 v[32:33], v[116:117] scope:SCOPE_SYS
	s_branch .LBB10_2473
.LBB10_2647:                            ;   in Loop: Header=BB10_2471 Depth=2
	s_or_b32 exec_lo, exec_lo, s60
.LBB10_2648:                            ;   in Loop: Header=BB10_2471 Depth=2
	s_delay_alu instid0(SALU_CYCLE_1) | instskip(NEXT) | instid1(SALU_CYCLE_1)
	s_or_b32 exec_lo, exec_lo, s27
	s_mov_b32 s14, exec_lo
	v_cmpx_gt_i32_e32 2, v1
	s_cbranch_execz .LBB10_2724
; %bb.2649:                             ;   in Loop: Header=BB10_2471 Depth=2
	v_cmp_eq_u32_e64 s27, 0, v1
	s_mov_b32 s15, 0
	s_branch .LBB10_2651
.LBB10_2650:                            ;   in Loop: Header=BB10_2651 Depth=3
	s_wait_xcnt 0x0
	s_or_b32 exec_lo, exec_lo, s13
	v_add_nc_u32_e32 v14, v12, v14
	s_mov_b32 s27, 0
	s_and_not1_b32 exec_lo, exec_lo, s15
	s_cbranch_execz .LBB10_2723
.LBB10_2651:                            ;   Parent Loop BB10_47 Depth=1
                                        ;     Parent Loop BB10_2471 Depth=2
                                        ; =>    This Loop Header: Depth=3
                                        ;         Child Loop BB10_2657 Depth 4
                                        ;         Child Loop BB10_2685 Depth 4
	;; [unrolled: 1-line block ×3, first 2 shown]
	s_delay_alu instid0(VALU_DEP_1) | instskip(SKIP_2) | instid1(VALU_DEP_2)
	v_sub_nc_u32_e32 v1, v56, v14
	v_and_b32_e32 v2, 12, v30
	s_mov_b32 s40, exec_lo
	v_min_i32_e32 v12, v12, v1
	s_delay_alu instid0(VALU_DEP_2)
	v_cmpx_ne_u32_e32 0, v2
	s_cbranch_execz .LBB10_2677
; %bb.2652:                             ;   in Loop: Header=BB10_2651 Depth=3
	v_and_b32_e32 v2, 8, v30
	v_add_nc_u64_e32 v[8:9], 2, v[116:117]
	s_mov_b32 s41, exec_lo
	s_wait_loadcnt_dscnt 0x1
	s_delay_alu instid0(VALU_DEP_2) | instskip(NEXT) | instid1(VALU_DEP_1)
	v_add_nc_u64_e32 v[4:5], v[50:51], v[2:3]
	v_cmpx_lt_u64_e64 v[4:5], v[8:9]
	s_cbranch_execz .LBB10_2664
; %bb.2653:                             ;   in Loop: Header=BB10_2651 Depth=3
	v_and_b32_e32 v1, 64, v30
	s_mov_b32 s60, 0
	s_mov_b32 s72, 0
                                        ; implicit-def: $sgpr61
                                        ; implicit-def: $sgpr62
                                        ; implicit-def: $sgpr63
	s_delay_alu instid0(VALU_DEP_1)
	v_cmp_eq_u32_e32 vcc_lo, 0, v1
	s_branch .LBB10_2657
.LBB10_2654:                            ;   in Loop: Header=BB10_2657 Depth=4
	s_wait_loadcnt_dscnt 0x0
	v_add_nc_u64_e32 v[4:5], v[50:51], v[2:3]
	s_or_b32 s75, s75, exec_lo
	s_delay_alu instid0(VALU_DEP_1)
	v_cmp_ge_u64_e64 s13, v[4:5], v[8:9]
	s_or_not1_b32 s74, s13, exec_lo
.LBB10_2655:                            ;   in Loop: Header=BB10_2657 Depth=4
	s_or_b32 exec_lo, exec_lo, s77
	s_delay_alu instid0(SALU_CYCLE_1)
	s_and_not1_b32 s13, s63, exec_lo
	s_and_b32 s63, s75, exec_lo
	s_and_not1_b32 s62, s62, exec_lo
	s_and_b32 s74, s74, exec_lo
	s_or_b32 s63, s13, s63
	s_or_b32 s62, s62, s74
.LBB10_2656:                            ;   in Loop: Header=BB10_2657 Depth=4
	s_or_b32 exec_lo, exec_lo, s73
	s_delay_alu instid0(SALU_CYCLE_1) | instskip(NEXT) | instid1(SALU_CYCLE_1)
	s_and_b32 s13, exec_lo, s62
	s_or_b32 s60, s13, s60
	s_and_not1_b32 s13, s61, exec_lo
	s_and_b32 s61, s63, exec_lo
	s_delay_alu instid0(SALU_CYCLE_1)
	s_or_b32 s61, s13, s61
	s_and_not1_b32 exec_lo, exec_lo, s60
	s_cbranch_execz .LBB10_2661
.LBB10_2657:                            ;   Parent Loop BB10_47 Depth=1
                                        ;     Parent Loop BB10_2471 Depth=2
                                        ;       Parent Loop BB10_2651 Depth=3
                                        ; =>      This Inner Loop Header: Depth=4
	s_sleep 1
	s_wait_loadcnt_dscnt 0x0
	flat_load_b64 v[50:51], v[32:33] scope:SCOPE_SYS
	s_or_b32 s63, s63, exec_lo
	s_or_b32 s62, s62, exec_lo
                                        ; implicit-def: $vgpr1
	s_wait_xcnt 0x0
	s_and_saveexec_b32 s73, vcc_lo
	s_cbranch_execz .LBB10_2656
; %bb.2658:                             ;   in Loop: Header=BB10_2657 Depth=4
	s_cmp_lt_i32 s72, 0x270f
	s_mov_b32 s74, -1
	s_cselect_b32 s76, -1, 0
	s_cmp_gt_i32 s72, 0x270e
	s_cbranch_scc0 .LBB10_2660
; %bb.2659:                             ;   in Loop: Header=BB10_2657 Depth=4
	s_trap 2
	ds_load_b64 v[4:5], v0
	s_and_not1_b32 s72, s76, exec_lo
	s_mov_b32 s75, 0
	s_wait_storecnt 0x0
	s_wait_loadcnt_dscnt 0x0
	flat_load_b32 v1, v[4:5] scope:SCOPE_SYS
	s_wait_loadcnt_dscnt 0x0
	global_inv scope:SCOPE_SYS
	v_cmp_eq_u32_e64 s13, 0, v1
	s_and_b32 s13, s13, exec_lo
	s_delay_alu instid0(SALU_CYCLE_1)
	s_or_b32 s76, s72, s13
	s_mov_b32 s72, 0
	s_wait_xcnt 0x0
	s_and_saveexec_b32 s77, s76
	s_cbranch_execz .LBB10_2655
	s_branch .LBB10_2654
.LBB10_2660:                            ;   in Loop: Header=BB10_2657 Depth=4
	s_add_co_i32 s72, s72, 1
	s_mov_b32 s75, -1
                                        ; implicit-def: $vgpr1
	s_and_saveexec_b32 s77, s76
	s_cbranch_execz .LBB10_2655
	s_branch .LBB10_2654
.LBB10_2661:                            ;   in Loop: Header=BB10_2651 Depth=3
	s_or_b32 exec_lo, exec_lo, s60
	s_xor_b32 s13, s61, -1
	s_delay_alu instid0(SALU_CYCLE_1) | instskip(NEXT) | instid1(SALU_CYCLE_1)
	s_and_saveexec_b32 s60, s13
	s_xor_b32 s13, exec_lo, s60
	s_cbranch_execz .LBB10_2663
; %bb.2662:                             ;   in Loop: Header=BB10_2651 Depth=3
	v_or_b32_e32 v30, 64, v30
	s_wait_storecnt 0x0
	s_wait_loadcnt_dscnt 0x0
	ds_store_b32 v0, v1
	s_trap 2
.LBB10_2663:                            ;   in Loop: Header=BB10_2651 Depth=3
	s_or_b32 exec_lo, exec_lo, s13
.LBB10_2664:                            ;   in Loop: Header=BB10_2651 Depth=3
	s_delay_alu instid0(SALU_CYCLE_1) | instskip(SKIP_3) | instid1(VALU_DEP_1)
	s_or_b32 exec_lo, exec_lo, s41
	v_and_b32_e32 v1, 0x108, v30
	s_mov_b32 s13, exec_lo
	;;#ASMSTART
	s_wakeup
	;;#ASMEND
                                        ; implicit-def: $vgpr10_vgpr11
	v_cmpx_ne_u32_e32 0x108, v1
	s_xor_b32 s13, exec_lo, s13
; %bb.2665:                             ;   in Loop: Header=BB10_2651 Depth=3
	v_dual_mov_b32 v11, v3 :: v_dual_bitop2_b32 v10, 7, v116 bitop3:0x40
                                        ; implicit-def: $vgpr116_vgpr117
; %bb.2666:                             ;   in Loop: Header=BB10_2651 Depth=3
	s_and_not1_saveexec_b32 s13, s13
	s_cbranch_execz .LBB10_2668
; %bb.2667:                             ;   in Loop: Header=BB10_2651 Depth=3
	v_dual_mov_b32 v11, v3 :: v_dual_bitop2_b32 v10, 7, v116 bitop3:0x40
	v_ashrrev_i32_e32 v13, 31, v12
	s_delay_alu instid0(VALU_DEP_2) | instskip(NEXT) | instid1(VALU_DEP_2)
	v_mad_nc_u64_u32 v[4:5], v10, 24, v[6:7]
	v_lshlrev_b64_e32 v[16:17], 1, v[12:13]
	flat_store_b64 v[4:5], v[16:17] offset:8
.LBB10_2668:                            ;   in Loop: Header=BB10_2651 Depth=3
	s_wait_xcnt 0x0
	s_or_b32 exec_lo, exec_lo, s13
	v_and_b32_e32 v1, 0x100, v30
	s_mov_b32 s13, -1
	s_mov_b32 s41, exec_lo
                                        ; implicit-def: $vgpr16_vgpr17
	s_delay_alu instid0(VALU_DEP_1)
	v_cmpx_ne_u32_e32 0, v1
	s_cbranch_execz .LBB10_2672
; %bb.2669:                             ;   in Loop: Header=BB10_2651 Depth=3
	v_mad_nc_u64_u32 v[18:19], v10, 24, v[6:7]
	s_mov_b32 s60, exec_lo
                                        ; implicit-def: $vgpr16_vgpr17
	s_delay_alu instid0(VALU_DEP_1)
	v_mad_u32 v19, v11, 24, v19
	flat_load_b32 v1, v[18:19]
	s_wait_loadcnt_dscnt 0x0
	v_cmp_ne_u32_e32 vcc_lo, 1, v1
	s_wait_xcnt 0x0
	v_cmpx_eq_u32_e32 1, v1
	s_cbranch_execz .LBB10_2671
; %bb.2670:                             ;   in Loop: Header=BB10_2651 Depth=3
	flat_load_b32 v4, v[18:19] offset:4 scope:SCOPE_SYS
	s_wait_loadcnt_dscnt 0x0
	v_ashrrev_i32_e32 v5, 31, v4
	s_delay_alu instid0(VALU_DEP_1)
	v_lshrrev_b64 v[16:17], 1, v[4:5]
.LBB10_2671:                            ;   in Loop: Header=BB10_2651 Depth=3
	s_wait_xcnt 0x0
	s_or_b32 exec_lo, exec_lo, s60
	s_delay_alu instid0(SALU_CYCLE_1)
	s_or_not1_b32 s13, vcc_lo, exec_lo
.LBB10_2672:                            ;   in Loop: Header=BB10_2651 Depth=3
	s_or_b32 exec_lo, exec_lo, s41
	s_and_saveexec_b32 s41, s13
; %bb.2673:                             ;   in Loop: Header=BB10_2651 Depth=3
	v_mul_u64_e32 v[16:17], v[10:11], v[34:35]
; %bb.2674:                             ;   in Loop: Header=BB10_2651 Depth=3
	s_or_b32 exec_lo, exec_lo, s41
	v_cmp_eq_u32_e32 vcc_lo, 0, v2
	v_and_b32_e32 v2, 0x2000, v30
	s_delay_alu instid0(VALU_DEP_3) | instskip(SKIP_2) | instid1(VALU_DEP_1)
	v_lshl_add_u64 v[4:5], v[16:17], 1, v[36:37]
	s_mov_b32 s13, exec_lo
	v_cndmask_b32_e32 v1, 0xd0, v91, vcc_lo
	v_add_nc_u32_e32 v1, v0, v1
	ds_store_b64 v1, v[4:5] offset:584
	v_cmpx_ne_u32_e32 0, v2
	s_cbranch_execz .LBB10_2676
; %bb.2675:                             ;   in Loop: Header=BB10_2651 Depth=3
	ds_load_b64 v[4:5], v0 offset:872
	s_wait_dscnt 0x0
	v_add_nc_u64_e32 v[4:5], 1, v[4:5]
	ds_store_b64 v0, v[4:5] offset:872
.LBB10_2676:                            ;   in Loop: Header=BB10_2651 Depth=3
	s_or_b32 exec_lo, exec_lo, s13
	v_mov_b64_e32 v[116:117], v[8:9]
.LBB10_2677:                            ;   in Loop: Header=BB10_2651 Depth=3
	s_or_b32 exec_lo, exec_lo, s40
	s_xor_b32 s13, s27, -1
	s_delay_alu instid0(SALU_CYCLE_1) | instskip(NEXT) | instid1(SALU_CYCLE_1)
	s_and_b32 s13, exec_lo, s13
	s_or_b32 s15, s13, s15
	s_and_saveexec_b32 s13, s2
	s_cbranch_execz .LBB10_2696
; %bb.2678:                             ;   in Loop: Header=BB10_2651 Depth=3
	s_and_saveexec_b32 s27, s3
	s_delay_alu instid0(SALU_CYCLE_1)
	s_xor_b32 s27, exec_lo, s27
	s_cbranch_execz .LBB10_2693
; %bb.2679:                             ;   in Loop: Header=BB10_2651 Depth=3
	s_and_saveexec_b32 s40, s6
	s_cbranch_execz .LBB10_2692
; %bb.2680:                             ;   in Loop: Header=BB10_2651 Depth=3
	s_mov_b32 s60, exec_lo
	s_mov_b32 s41, exec_lo
	v_mbcnt_lo_u32_b32 v1, s60, 0
	global_wb scope:SCOPE_DEV
	s_wait_storecnt 0x0
	s_wait_loadcnt_dscnt 0x0
	global_inv scope:SCOPE_DEV
	v_cmpx_eq_u32_e32 0, v1
	s_cbranch_execz .LBB10_2682
; %bb.2681:                             ;   in Loop: Header=BB10_2651 Depth=3
	s_bcnt1_i32_b32 s60, s60
	s_delay_alu instid0(SALU_CYCLE_1)
	v_mov_b32_e32 v2, s60
	s_wait_loadcnt 0x0
	ds_add_u64 v0, v[2:3]
	s_trap 2
.LBB10_2682:                            ;   in Loop: Header=BB10_2651 Depth=3
	s_or_b32 exec_lo, exec_lo, s41
	s_trap 2
	ds_load_b64 v[4:5], v0
	s_wait_dscnt 0x0
	v_add_nc_u64_e32 v[48:49], v[48:49], v[52:53]
	s_mov_b32 s41, exec_lo
	s_delay_alu instid0(VALU_DEP_1)
	v_cmpx_lt_u64_e64 v[4:5], v[48:49]
	s_cbranch_execz .LBB10_2691
; %bb.2683:                             ;   in Loop: Header=BB10_2651 Depth=3
	s_mov_b32 s60, 0
	s_mov_b32 s63, 0
                                        ; implicit-def: $sgpr61
                                        ; implicit-def: $sgpr62
	s_branch .LBB10_2685
.LBB10_2684:                            ;   in Loop: Header=BB10_2685 Depth=4
	s_or_b32 exec_lo, exec_lo, s73
	s_delay_alu instid0(SALU_CYCLE_1) | instskip(NEXT) | instid1(SALU_CYCLE_1)
	s_and_b32 s72, exec_lo, s74
	s_or_b32 s60, s72, s60
	s_and_not1_b32 s61, s61, exec_lo
	s_and_b32 s72, s62, exec_lo
	s_delay_alu instid0(SALU_CYCLE_1)
	s_or_b32 s61, s61, s72
	s_and_not1_b32 exec_lo, exec_lo, s60
	s_cbranch_execz .LBB10_2689
.LBB10_2685:                            ;   Parent Loop BB10_47 Depth=1
                                        ;     Parent Loop BB10_2471 Depth=2
                                        ;       Parent Loop BB10_2651 Depth=3
                                        ; =>      This Inner Loop Header: Depth=4
	s_add_co_i32 s63, s63, 1
	s_delay_alu instid0(SALU_CYCLE_1) | instskip(SKIP_1) | instid1(SALU_CYCLE_1)
	s_cmp_lg_u32 s63, 0x2710
	s_cselect_b32 s72, -1, 0
	s_and_b32 vcc_lo, exec_lo, s72
	s_cbranch_vccz .LBB10_2687
; %bb.2686:                             ;   in Loop: Header=BB10_2685 Depth=4
	s_mov_b32 s74, -1
	s_or_b32 s62, s62, exec_lo
	s_and_saveexec_b32 s73, s72
	s_cbranch_execz .LBB10_2684
	s_branch .LBB10_2688
.LBB10_2687:                            ;   in Loop: Header=BB10_2685 Depth=4
	s_trap 2
	ds_load_b64 v[4:5], v0
	s_and_not1_b32 s72, s72, exec_lo
	s_mov_b32 s63, 0
	s_wait_loadcnt_dscnt 0x0
	flat_load_b32 v1, v[4:5] scope:SCOPE_SYS
	s_wait_loadcnt_dscnt 0x0
	global_inv scope:SCOPE_SYS
	v_cmp_eq_u32_e32 vcc_lo, 0, v1
	s_and_b32 s73, vcc_lo, exec_lo
	s_delay_alu instid0(SALU_CYCLE_1)
	s_or_b32 s72, s72, s73
	s_mov_b32 s74, -1
	s_or_b32 s62, s62, exec_lo
	s_wait_xcnt 0x0
	s_and_saveexec_b32 s73, s72
	s_cbranch_execz .LBB10_2684
.LBB10_2688:                            ;   in Loop: Header=BB10_2685 Depth=4
	s_sleep 1
	s_trap 2
	ds_load_b64 v[4:5], v0
	s_wait_dscnt 0x0
	s_and_not1_b32 s62, s62, exec_lo
	v_cmp_ge_u64_e32 vcc_lo, v[4:5], v[48:49]
	s_or_not1_b32 s74, vcc_lo, exec_lo
	s_branch .LBB10_2684
.LBB10_2689:                            ;   in Loop: Header=BB10_2651 Depth=3
	s_or_b32 exec_lo, exec_lo, s60
	s_and_saveexec_b32 s60, s61
	s_delay_alu instid0(SALU_CYCLE_1)
	s_xor_b32 s60, exec_lo, s60
	s_cbranch_execz .LBB10_2691
; %bb.2690:                             ;   in Loop: Header=BB10_2651 Depth=3
	ds_store_b32 v0, v89
	s_trap 2
.LBB10_2691:                            ;   in Loop: Header=BB10_2651 Depth=3
	s_or_b32 exec_lo, exec_lo, s41
	;;#ASMSTART
	s_wakeup
	;;#ASMEND
.LBB10_2692:                            ;   in Loop: Header=BB10_2651 Depth=3
	s_or_b32 exec_lo, exec_lo, s40
.LBB10_2693:                            ;   in Loop: Header=BB10_2651 Depth=3
	s_and_not1_saveexec_b32 s27, s27
	s_cbranch_execz .LBB10_2695
; %bb.2694:                             ;   in Loop: Header=BB10_2651 Depth=3
	global_wb scope:SCOPE_DEV
	s_wait_storecnt 0x0
	s_wait_loadcnt_dscnt 0x0
	global_inv scope:SCOPE_DEV
	s_barrier_signal -1
	s_barrier_wait -1
.LBB10_2695:                            ;   in Loop: Header=BB10_2651 Depth=3
	s_or_b32 exec_lo, exec_lo, s27
.LBB10_2696:                            ;   in Loop: Header=BB10_2651 Depth=3
	s_delay_alu instid0(SALU_CYCLE_1) | instskip(SKIP_1) | instid1(SALU_CYCLE_1)
	s_or_b32 exec_lo, exec_lo, s13
                                        ; implicit-def: $vgpr1
	s_and_saveexec_b32 s13, s12
	s_xor_b32 s27, exec_lo, s13
	s_cbranch_execz .LBB10_2700
; %bb.2697:                             ;   in Loop: Header=BB10_2651 Depth=3
	s_trap 2
	ds_load_b32 v1, v0
	v_cmp_lt_i32_e32 vcc_lo, 0, v12
	s_wait_dscnt 0x0
	v_readfirstlane_b32 s13, v1
	v_and_b32_e32 v1, 16, v30
	s_cmp_eq_u32 s13, 0
	s_delay_alu instid0(VALU_DEP_1) | instskip(SKIP_3) | instid1(SALU_CYCLE_1)
	v_cmp_ne_u32_e64 s13, 0, v1
	s_cselect_b32 s40, -1, 0
	v_and_b32_e32 v1, 16, v30
	s_and_b32 s40, vcc_lo, s40
	s_and_b32 s40, s13, s40
	s_delay_alu instid0(SALU_CYCLE_1)
	s_and_saveexec_b32 s13, s40
	s_cbranch_execz .LBB10_2699
; %bb.2698:                             ;   in Loop: Header=BB10_2651 Depth=3
	v_mov_b32_e32 v1, 1
	global_wb scope:SCOPE_SYS
	s_wait_loadcnt 0x0
	s_wait_storecnt 0x0
	global_inv scope:SCOPE_SYS
.LBB10_2699:                            ;   in Loop: Header=BB10_2651 Depth=3
	s_or_b32 exec_lo, exec_lo, s13
	s_and_not1_saveexec_b32 s13, s27
	s_cbranch_execz .LBB10_2719
	s_branch .LBB10_2701
.LBB10_2700:                            ;   in Loop: Header=BB10_2651 Depth=3
	s_and_not1_saveexec_b32 s13, s27
	s_cbranch_execz .LBB10_2719
.LBB10_2701:                            ;   in Loop: Header=BB10_2651 Depth=3
	s_and_saveexec_b32 s27, s3
	s_delay_alu instid0(SALU_CYCLE_1)
	s_xor_b32 s27, exec_lo, s27
	s_cbranch_execz .LBB10_2716
; %bb.2702:                             ;   in Loop: Header=BB10_2651 Depth=3
	s_and_saveexec_b32 s40, s6
	s_cbranch_execz .LBB10_2715
; %bb.2703:                             ;   in Loop: Header=BB10_2651 Depth=3
	s_mov_b32 s60, exec_lo
	s_mov_b32 s41, exec_lo
	v_mbcnt_lo_u32_b32 v1, s60, 0
	;;#ASMSTART
	s_waitcnt lgkmcnt(0) vmcnt(0)
	;;#ASMEND
	s_delay_alu instid0(VALU_DEP_1)
	v_cmpx_eq_u32_e32 0, v1
	s_cbranch_execz .LBB10_2705
; %bb.2704:                             ;   in Loop: Header=BB10_2651 Depth=3
	s_bcnt1_i32_b32 s60, s60
	s_delay_alu instid0(SALU_CYCLE_1)
	v_mov_b32_e32 v2, s60
	s_wait_storecnt 0x0
	s_wait_loadcnt_dscnt 0x0
	ds_add_u64 v0, v[2:3]
	s_trap 2
.LBB10_2705:                            ;   in Loop: Header=BB10_2651 Depth=3
	s_or_b32 exec_lo, exec_lo, s41
	s_trap 2
	ds_load_b64 v[4:5], v0
	s_wait_dscnt 0x0
	v_add_nc_u64_e32 v[48:49], v[48:49], v[52:53]
	s_mov_b32 s41, exec_lo
	s_delay_alu instid0(VALU_DEP_1)
	v_cmpx_lt_u64_e64 v[4:5], v[48:49]
	s_cbranch_execz .LBB10_2714
; %bb.2706:                             ;   in Loop: Header=BB10_2651 Depth=3
	s_mov_b32 s60, 0
	s_mov_b32 s63, 0
                                        ; implicit-def: $sgpr61
                                        ; implicit-def: $sgpr62
	s_branch .LBB10_2708
.LBB10_2707:                            ;   in Loop: Header=BB10_2708 Depth=4
	s_or_b32 exec_lo, exec_lo, s73
	s_delay_alu instid0(SALU_CYCLE_1) | instskip(NEXT) | instid1(SALU_CYCLE_1)
	s_and_b32 s72, exec_lo, s74
	s_or_b32 s60, s72, s60
	s_and_not1_b32 s61, s61, exec_lo
	s_and_b32 s72, s62, exec_lo
	s_delay_alu instid0(SALU_CYCLE_1)
	s_or_b32 s61, s61, s72
	s_and_not1_b32 exec_lo, exec_lo, s60
	s_cbranch_execz .LBB10_2712
.LBB10_2708:                            ;   Parent Loop BB10_47 Depth=1
                                        ;     Parent Loop BB10_2471 Depth=2
                                        ;       Parent Loop BB10_2651 Depth=3
                                        ; =>      This Inner Loop Header: Depth=4
	s_add_co_i32 s63, s63, 1
	s_delay_alu instid0(SALU_CYCLE_1) | instskip(SKIP_1) | instid1(SALU_CYCLE_1)
	s_cmp_lg_u32 s63, 0x2710
	s_cselect_b32 s72, -1, 0
	s_and_b32 vcc_lo, exec_lo, s72
	s_cbranch_vccz .LBB10_2710
; %bb.2709:                             ;   in Loop: Header=BB10_2708 Depth=4
	s_mov_b32 s74, -1
	s_or_b32 s62, s62, exec_lo
	s_and_saveexec_b32 s73, s72
	s_cbranch_execz .LBB10_2707
	s_branch .LBB10_2711
.LBB10_2710:                            ;   in Loop: Header=BB10_2708 Depth=4
	s_trap 2
	ds_load_b64 v[4:5], v0
	s_and_not1_b32 s72, s72, exec_lo
	s_mov_b32 s63, 0
	s_wait_storecnt 0x0
	s_wait_loadcnt_dscnt 0x0
	flat_load_b32 v1, v[4:5] scope:SCOPE_SYS
	s_wait_loadcnt_dscnt 0x0
	global_inv scope:SCOPE_SYS
	v_cmp_eq_u32_e32 vcc_lo, 0, v1
	s_and_b32 s73, vcc_lo, exec_lo
	s_delay_alu instid0(SALU_CYCLE_1)
	s_or_b32 s72, s72, s73
	s_mov_b32 s74, -1
	s_or_b32 s62, s62, exec_lo
	s_wait_xcnt 0x0
	s_and_saveexec_b32 s73, s72
	s_cbranch_execz .LBB10_2707
.LBB10_2711:                            ;   in Loop: Header=BB10_2708 Depth=4
	s_sleep 1
	s_trap 2
	ds_load_b64 v[4:5], v0
	s_wait_dscnt 0x0
	s_and_not1_b32 s62, s62, exec_lo
	v_cmp_ge_u64_e32 vcc_lo, v[4:5], v[48:49]
	s_or_not1_b32 s74, vcc_lo, exec_lo
	s_branch .LBB10_2707
.LBB10_2712:                            ;   in Loop: Header=BB10_2651 Depth=3
	s_or_b32 exec_lo, exec_lo, s60
	s_and_saveexec_b32 s60, s61
	s_delay_alu instid0(SALU_CYCLE_1)
	s_xor_b32 s60, exec_lo, s60
	s_cbranch_execz .LBB10_2714
; %bb.2713:                             ;   in Loop: Header=BB10_2651 Depth=3
	ds_store_b32 v0, v89
	s_trap 2
.LBB10_2714:                            ;   in Loop: Header=BB10_2651 Depth=3
	s_or_b32 exec_lo, exec_lo, s41
	;;#ASMSTART
	s_wakeup
	;;#ASMEND
.LBB10_2715:                            ;   in Loop: Header=BB10_2651 Depth=3
	s_or_b32 exec_lo, exec_lo, s40
.LBB10_2716:                            ;   in Loop: Header=BB10_2651 Depth=3
	s_and_not1_saveexec_b32 s27, s27
	s_cbranch_execz .LBB10_2718
; %bb.2717:                             ;   in Loop: Header=BB10_2651 Depth=3
	;;#ASMSTART
	s_waitcnt lgkmcnt(0) vmcnt(0)
	;;#ASMEND
	s_barrier_signal -1
	s_barrier_wait -1
.LBB10_2718:                            ;   in Loop: Header=BB10_2651 Depth=3
	s_or_b32 exec_lo, exec_lo, s27
	v_and_b32_e32 v1, 16, v30
.LBB10_2719:                            ;   in Loop: Header=BB10_2651 Depth=3
	s_or_b32 exec_lo, exec_lo, s13
	s_delay_alu instid0(VALU_DEP_1) | instskip(SKIP_1) | instid1(SALU_CYCLE_1)
	v_cmp_ne_u32_e32 vcc_lo, 0, v1
	s_xor_b32 s13, s4, -1
	s_and_b32 s27, vcc_lo, s13
	s_delay_alu instid0(SALU_CYCLE_1)
	s_and_saveexec_b32 s13, s27
	s_cbranch_execz .LBB10_2721
; %bb.2720:                             ;   in Loop: Header=BB10_2651 Depth=3
	global_wb scope:SCOPE_SYS
	s_wait_storecnt 0x0
	s_wait_loadcnt_dscnt 0x0
	flat_store_b32 v[38:39], v89 scope:SCOPE_SYS
.LBB10_2721:                            ;   in Loop: Header=BB10_2651 Depth=3
	s_wait_xcnt 0x0
	s_or_b32 exec_lo, exec_lo, s13
	v_and_b32_e32 v1, 48, v30
	s_mov_b32 s13, exec_lo
	s_delay_alu instid0(VALU_DEP_1)
	v_cmpx_ne_u32_e32 0, v1
	s_cbranch_execz .LBB10_2650
; %bb.2722:                             ;   in Loop: Header=BB10_2651 Depth=3
	v_add_nc_u64_e32 v[116:117], 2, v[116:117]
	global_wb scope:SCOPE_SYS
	s_wait_storecnt 0x0
	s_wait_loadcnt_dscnt 0x0
	flat_store_b64 v[32:33], v[116:117] scope:SCOPE_SYS
	s_branch .LBB10_2650
.LBB10_2723:                            ;   in Loop: Header=BB10_2471 Depth=2
	s_or_b32 exec_lo, exec_lo, s15
.LBB10_2724:                            ;   in Loop: Header=BB10_2471 Depth=2
	s_delay_alu instid0(SALU_CYCLE_1)
	s_or_b32 exec_lo, exec_lo, s14
	s_add_co_i32 s13, s18, 1
	s_cmp_eq_u32 s18, s56
	s_cbranch_scc1 .LBB10_2726
; %bb.2725:                             ;   in Loop: Header=BB10_2471 Depth=2
	s_mov_b32 s18, s13
	s_branch .LBB10_2471
.LBB10_2726:                            ;   in Loop: Header=BB10_47 Depth=1
	s_clause 0x1
	scratch_load_b64 v[8:9], off, s33 offset:204
	scratch_load_b64 v[4:5], off, s33 offset:196 th:TH_LOAD_LU
	s_wait_loadcnt 0x1
	v_mul_u64_e32 v[10:11], s[28:29], v[8:9]
	s_wait_loadcnt 0x0
	s_delay_alu instid0(VALU_DEP_1) | instskip(NEXT) | instid1(VALU_DEP_1)
	v_sub_nc_u64_e32 v[4:5], v[4:5], v[10:11]
	v_min_i64 v[4:5], v[8:9], v[4:5]
	s_delay_alu instid0(VALU_DEP_1) | instskip(SKIP_1) | instid1(VALU_DEP_2)
	v_dual_mov_b32 v8, 0 :: v_dual_max_i32 v22, 0, v4
	v_cmp_lt_i32_e32 vcc_lo, 0, v4
	v_add_nc_u32_e32 v1, 31, v22
	s_and_b32 s13, s57, vcc_lo
	s_delay_alu instid0(VALU_DEP_1) | instskip(NEXT) | instid1(VALU_DEP_1)
	v_lshrrev_b32_e32 v1, 1, v1
	v_and_b32_e32 v2, 0x3ffffff0, v1
	s_delay_alu instid0(VALU_DEP_1)
	v_dual_mov_b32 v1, 0 :: v_dual_max_i32 v23, s45, v2
	s_wait_xcnt 0x0
	s_and_saveexec_b32 s14, s13
	s_cbranch_execz .LBB10_2864
; %bb.2727:                             ;   in Loop: Header=BB10_47 Depth=1
	scratch_load_b64 v[4:5], off, s33 offset:188 th:TH_LOAD_LU ; 8-byte Folded Reload
	v_mov_b32_e32 v8, 0
	s_mov_b32 s27, 1
	s_mov_b32 s18, -1
	s_mov_b32 s15, 0
	s_wait_loadcnt 0x0
	v_add_nc_u64_e32 v[4:5], v[10:11], v[4:5]
	s_delay_alu instid0(VALU_DEP_1)
	v_lshlrev_b64_e32 v[10:11], 1, v[4:5]
	s_branch .LBB10_2729
.LBB10_2728:                            ;   in Loop: Header=BB10_2729 Depth=2
	s_wait_xcnt 0x0
	s_or_b32 exec_lo, exec_lo, s13
	v_dual_mov_b32 v1, s27 :: v_dual_add_nc_u32 v8, v23, v8
	s_xor_b32 s13, s18, -1
	s_mov_b32 s18, 0
	s_mov_b32 s27, 2
	s_delay_alu instid0(VALU_DEP_1) | instskip(SKIP_1) | instid1(SALU_CYCLE_1)
	v_cmp_ge_i32_e32 vcc_lo, v8, v22
	s_or_b32 s13, s13, vcc_lo
	s_and_b32 s13, exec_lo, s13
	s_delay_alu instid0(SALU_CYCLE_1) | instskip(NEXT) | instid1(SALU_CYCLE_1)
	s_or_b32 s15, s13, s15
	s_and_not1_b32 exec_lo, exec_lo, s15
	s_cbranch_execz .LBB10_2863
.LBB10_2729:                            ;   Parent Loop BB10_47 Depth=1
                                        ; =>  This Loop Header: Depth=2
                                        ;       Child Loop BB10_2737 Depth 3
                                        ;       Child Loop BB10_2761 Depth 3
	;; [unrolled: 1-line block ×9, first 2 shown]
	s_wait_xcnt 0x0
	s_and_saveexec_b32 s13, s0
	s_cbranch_execz .LBB10_2731
; %bb.2730:                             ;   in Loop: Header=BB10_2729 Depth=2
	s_trap 2
	ds_load_b128 v[12:15], v0
	s_wait_dscnt 0x0
	v_cmp_ne_u64_e32 vcc_lo, 0, v[14:15]
	v_ashrrev_i32_e32 v9, 31, v8
	v_add_nc_u64_e32 v[16:17], v[14:15], v[10:11]
	v_add_nc_u64_e32 v[12:13], v[12:13], v[10:11]
	s_delay_alu instid0(VALU_DEP_3) | instskip(NEXT) | instid1(VALU_DEP_1)
	v_lshlrev_b64_e32 v[4:5], 1, v[8:9]
	v_add_nc_u64_e32 v[16:17], v[16:17], v[4:5]
	s_delay_alu instid0(VALU_DEP_3) | instskip(NEXT) | instid1(VALU_DEP_2)
	v_add_nc_u64_e32 v[4:5], v[12:13], v[4:5]
	v_dual_cndmask_b32 v13, 0, v17 :: v_dual_cndmask_b32 v12, 0, v16
	ds_store_b64 v0, v[4:5]
	ds_store_b64 v0, v[12:13]
.LBB10_2731:                            ;   in Loop: Header=BB10_2729 Depth=2
	s_or_b32 exec_lo, exec_lo, s13
	v_and_b32_e32 v1, 4, v30
	s_mov_b32 s40, exec_lo
	s_delay_alu instid0(VALU_DEP_1)
	v_cmpx_ne_u32_e32 0, v1
	s_cbranch_execz .LBB10_2753
; %bb.2732:                             ;   in Loop: Header=BB10_2729 Depth=2
	v_add_nc_u64_e32 v[12:13], 2, v[116:117]
	s_mov_b32 s41, exec_lo
	s_wait_loadcnt_dscnt 0x1
	s_delay_alu instid0(VALU_DEP_1)
	v_cmpx_lt_u64_e64 v[50:51], v[12:13]
	s_cbranch_execz .LBB10_2744
; %bb.2733:                             ;   in Loop: Header=BB10_2729 Depth=2
	v_and_b32_e32 v1, 64, v30
	s_mov_b32 s60, 0
	s_mov_b32 s72, 0
                                        ; implicit-def: $sgpr61
                                        ; implicit-def: $sgpr62
                                        ; implicit-def: $sgpr63
	s_delay_alu instid0(VALU_DEP_1)
	v_cmp_eq_u32_e32 vcc_lo, 0, v1
	s_branch .LBB10_2737
.LBB10_2734:                            ;   in Loop: Header=BB10_2737 Depth=3
	s_wait_loadcnt_dscnt 0x0
	v_cmp_ge_u64_e64 s13, v[50:51], v[12:13]
	s_or_b32 s75, s75, exec_lo
	s_or_not1_b32 s74, s13, exec_lo
.LBB10_2735:                            ;   in Loop: Header=BB10_2737 Depth=3
	s_or_b32 exec_lo, exec_lo, s77
	s_delay_alu instid0(SALU_CYCLE_1)
	s_and_not1_b32 s13, s63, exec_lo
	s_and_b32 s63, s75, exec_lo
	s_and_not1_b32 s62, s62, exec_lo
	s_and_b32 s74, s74, exec_lo
	s_or_b32 s63, s13, s63
	s_or_b32 s62, s62, s74
.LBB10_2736:                            ;   in Loop: Header=BB10_2737 Depth=3
	s_or_b32 exec_lo, exec_lo, s73
	s_delay_alu instid0(SALU_CYCLE_1) | instskip(NEXT) | instid1(SALU_CYCLE_1)
	s_and_b32 s13, exec_lo, s62
	s_or_b32 s60, s13, s60
	s_and_not1_b32 s13, s61, exec_lo
	s_and_b32 s61, s63, exec_lo
	s_delay_alu instid0(SALU_CYCLE_1)
	s_or_b32 s61, s13, s61
	s_and_not1_b32 exec_lo, exec_lo, s60
	s_cbranch_execz .LBB10_2741
.LBB10_2737:                            ;   Parent Loop BB10_47 Depth=1
                                        ;     Parent Loop BB10_2729 Depth=2
                                        ; =>    This Inner Loop Header: Depth=3
	s_sleep 1
	s_wait_loadcnt_dscnt 0x0
	flat_load_b64 v[50:51], v[32:33] scope:SCOPE_SYS
	s_or_b32 s63, s63, exec_lo
	s_or_b32 s62, s62, exec_lo
                                        ; implicit-def: $vgpr1
	s_wait_xcnt 0x0
	s_and_saveexec_b32 s73, vcc_lo
	s_cbranch_execz .LBB10_2736
; %bb.2738:                             ;   in Loop: Header=BB10_2737 Depth=3
	s_cmp_lt_i32 s72, 0x270f
	s_mov_b32 s74, -1
	s_cselect_b32 s76, -1, 0
	s_cmp_gt_i32 s72, 0x270e
	s_cbranch_scc0 .LBB10_2740
; %bb.2739:                             ;   in Loop: Header=BB10_2737 Depth=3
	s_trap 2
	ds_load_b64 v[4:5], v0
	s_and_not1_b32 s72, s76, exec_lo
	s_mov_b32 s75, 0
	s_wait_storecnt 0x0
	s_wait_loadcnt_dscnt 0x0
	flat_load_b32 v1, v[4:5] scope:SCOPE_SYS
	s_wait_loadcnt_dscnt 0x0
	global_inv scope:SCOPE_SYS
	v_cmp_eq_u32_e64 s13, 0, v1
	s_and_b32 s13, s13, exec_lo
	s_delay_alu instid0(SALU_CYCLE_1)
	s_or_b32 s76, s72, s13
	s_mov_b32 s72, 0
	s_and_saveexec_b32 s77, s76
	s_cbranch_execz .LBB10_2735
	s_branch .LBB10_2734
.LBB10_2740:                            ;   in Loop: Header=BB10_2737 Depth=3
	s_add_co_i32 s72, s72, 1
	s_mov_b32 s75, -1
                                        ; implicit-def: $vgpr1
	s_and_saveexec_b32 s77, s76
	s_cbranch_execz .LBB10_2735
	s_branch .LBB10_2734
.LBB10_2741:                            ;   in Loop: Header=BB10_2729 Depth=2
	s_or_b32 exec_lo, exec_lo, s60
	s_xor_b32 s13, s61, -1
	s_delay_alu instid0(SALU_CYCLE_1) | instskip(NEXT) | instid1(SALU_CYCLE_1)
	s_and_saveexec_b32 s60, s13
	s_xor_b32 s13, exec_lo, s60
	s_cbranch_execz .LBB10_2743
; %bb.2742:                             ;   in Loop: Header=BB10_2729 Depth=2
	v_or_b32_e32 v30, 64, v30
	s_wait_storecnt 0x0
	s_wait_loadcnt_dscnt 0x0
	ds_store_b32 v0, v1
	s_trap 2
.LBB10_2743:                            ;   in Loop: Header=BB10_2729 Depth=2
	s_or_b32 exec_lo, exec_lo, s13
.LBB10_2744:                            ;   in Loop: Header=BB10_2729 Depth=2
	s_delay_alu instid0(SALU_CYCLE_1)
	s_or_b32 exec_lo, exec_lo, s41
	v_and_b32_e32 v1, 0x100, v30
	v_and_b32_e32 v2, 7, v116
	s_mov_b32 s13, -1
	s_mov_b32 s41, exec_lo
	;;#ASMSTART
	s_wakeup
	;;#ASMEND
                                        ; implicit-def: $vgpr14_vgpr15
	v_cmpx_ne_u32_e32 0, v1
	s_cbranch_execz .LBB10_2748
; %bb.2745:                             ;   in Loop: Header=BB10_2729 Depth=2
	v_mad_nc_u64_u32 v[16:17], v2, 24, v[6:7]
	s_mov_b32 s60, exec_lo
                                        ; implicit-def: $vgpr14_vgpr15
	flat_load_b32 v1, v[16:17]
	s_wait_loadcnt_dscnt 0x0
	v_cmp_ne_u32_e32 vcc_lo, 1, v1
	s_wait_xcnt 0x0
	v_cmpx_eq_u32_e32 1, v1
	s_cbranch_execz .LBB10_2747
; %bb.2746:                             ;   in Loop: Header=BB10_2729 Depth=2
	flat_load_b32 v4, v[16:17] offset:4 scope:SCOPE_SYS
	s_wait_loadcnt_dscnt 0x0
	v_ashrrev_i32_e32 v5, 31, v4
	s_delay_alu instid0(VALU_DEP_1)
	v_lshrrev_b64 v[14:15], 1, v[4:5]
.LBB10_2747:                            ;   in Loop: Header=BB10_2729 Depth=2
	s_wait_xcnt 0x0
	s_or_b32 exec_lo, exec_lo, s60
	s_delay_alu instid0(SALU_CYCLE_1)
	s_or_not1_b32 s13, vcc_lo, exec_lo
.LBB10_2748:                            ;   in Loop: Header=BB10_2729 Depth=2
	s_or_b32 exec_lo, exec_lo, s41
	s_and_saveexec_b32 s41, s13
; %bb.2749:                             ;   in Loop: Header=BB10_2729 Depth=2
	v_mul_u64_e32 v[14:15], v[2:3], v[34:35]
; %bb.2750:                             ;   in Loop: Header=BB10_2729 Depth=2
	s_or_b32 exec_lo, exec_lo, s41
	v_and_b32_e32 v1, 0x2000, v30
	s_delay_alu instid0(VALU_DEP_2)
	v_lshl_add_u64 v[4:5], v[14:15], 1, v[36:37]
	s_mov_b32 s13, exec_lo
	ds_store_b64 v0, v[4:5] offset:720
	v_cmpx_ne_u32_e32 0, v1
	s_cbranch_execz .LBB10_2752
; %bb.2751:                             ;   in Loop: Header=BB10_2729 Depth=2
	ds_load_b64 v[4:5], v0 offset:872
	s_wait_dscnt 0x0
	v_add_nc_u64_e32 v[4:5], 1, v[4:5]
	ds_store_b64 v0, v[4:5] offset:872
.LBB10_2752:                            ;   in Loop: Header=BB10_2729 Depth=2
	s_or_b32 exec_lo, exec_lo, s13
	v_mov_b64_e32 v[116:117], v[12:13]
.LBB10_2753:                            ;   in Loop: Header=BB10_2729 Depth=2
	s_or_b32 exec_lo, exec_lo, s40
	s_and_saveexec_b32 s13, s2
	s_cbranch_execz .LBB10_2772
; %bb.2754:                             ;   in Loop: Header=BB10_2729 Depth=2
	s_and_saveexec_b32 s40, s3
	s_delay_alu instid0(SALU_CYCLE_1)
	s_xor_b32 s40, exec_lo, s40
	s_cbranch_execz .LBB10_2769
; %bb.2755:                             ;   in Loop: Header=BB10_2729 Depth=2
	s_and_saveexec_b32 s41, s6
	s_cbranch_execz .LBB10_2768
; %bb.2756:                             ;   in Loop: Header=BB10_2729 Depth=2
	s_mov_b32 s61, exec_lo
	s_mov_b32 s60, exec_lo
	v_mbcnt_lo_u32_b32 v1, s61, 0
	global_wb scope:SCOPE_DEV
	s_wait_storecnt 0x0
	s_wait_loadcnt_dscnt 0x0
	global_inv scope:SCOPE_DEV
	v_cmpx_eq_u32_e32 0, v1
	s_cbranch_execz .LBB10_2758
; %bb.2757:                             ;   in Loop: Header=BB10_2729 Depth=2
	s_bcnt1_i32_b32 s61, s61
	s_delay_alu instid0(SALU_CYCLE_1)
	v_mov_b32_e32 v2, s61
	s_wait_loadcnt 0x0
	ds_add_u64 v0, v[2:3]
	s_trap 2
.LBB10_2758:                            ;   in Loop: Header=BB10_2729 Depth=2
	s_or_b32 exec_lo, exec_lo, s60
	s_trap 2
	ds_load_b64 v[4:5], v0
	s_wait_dscnt 0x0
	v_add_nc_u64_e32 v[48:49], v[48:49], v[52:53]
	s_mov_b32 s60, exec_lo
	s_delay_alu instid0(VALU_DEP_1)
	v_cmpx_lt_u64_e64 v[4:5], v[48:49]
	s_cbranch_execz .LBB10_2767
; %bb.2759:                             ;   in Loop: Header=BB10_2729 Depth=2
	s_mov_b32 s61, 0
	s_mov_b32 s72, 0
                                        ; implicit-def: $sgpr62
                                        ; implicit-def: $sgpr63
	s_branch .LBB10_2761
.LBB10_2760:                            ;   in Loop: Header=BB10_2761 Depth=3
	s_or_b32 exec_lo, exec_lo, s74
	s_delay_alu instid0(SALU_CYCLE_1) | instskip(NEXT) | instid1(SALU_CYCLE_1)
	s_and_b32 s73, exec_lo, s75
	s_or_b32 s61, s73, s61
	s_and_not1_b32 s62, s62, exec_lo
	s_and_b32 s73, s63, exec_lo
	s_delay_alu instid0(SALU_CYCLE_1)
	s_or_b32 s62, s62, s73
	s_and_not1_b32 exec_lo, exec_lo, s61
	s_cbranch_execz .LBB10_2765
.LBB10_2761:                            ;   Parent Loop BB10_47 Depth=1
                                        ;     Parent Loop BB10_2729 Depth=2
                                        ; =>    This Inner Loop Header: Depth=3
	s_add_co_i32 s72, s72, 1
	s_delay_alu instid0(SALU_CYCLE_1) | instskip(SKIP_1) | instid1(SALU_CYCLE_1)
	s_cmp_lg_u32 s72, 0x2710
	s_cselect_b32 s73, -1, 0
	s_and_b32 vcc_lo, exec_lo, s73
	s_cbranch_vccz .LBB10_2763
; %bb.2762:                             ;   in Loop: Header=BB10_2761 Depth=3
	s_mov_b32 s75, -1
	s_or_b32 s63, s63, exec_lo
	s_and_saveexec_b32 s74, s73
	s_cbranch_execz .LBB10_2760
	s_branch .LBB10_2764
.LBB10_2763:                            ;   in Loop: Header=BB10_2761 Depth=3
	s_trap 2
	ds_load_b64 v[4:5], v0
	s_and_not1_b32 s73, s73, exec_lo
	s_mov_b32 s72, 0
	s_wait_loadcnt_dscnt 0x0
	flat_load_b32 v1, v[4:5] scope:SCOPE_SYS
	s_wait_loadcnt_dscnt 0x0
	global_inv scope:SCOPE_SYS
	v_cmp_eq_u32_e32 vcc_lo, 0, v1
	s_and_b32 s74, vcc_lo, exec_lo
	s_delay_alu instid0(SALU_CYCLE_1)
	s_or_b32 s73, s73, s74
	s_mov_b32 s75, -1
	s_or_b32 s63, s63, exec_lo
	s_and_saveexec_b32 s74, s73
	s_cbranch_execz .LBB10_2760
.LBB10_2764:                            ;   in Loop: Header=BB10_2761 Depth=3
	s_sleep 1
	s_trap 2
	ds_load_b64 v[4:5], v0
	s_wait_dscnt 0x0
	s_and_not1_b32 s63, s63, exec_lo
	v_cmp_ge_u64_e32 vcc_lo, v[4:5], v[48:49]
	s_or_not1_b32 s75, vcc_lo, exec_lo
	s_branch .LBB10_2760
.LBB10_2765:                            ;   in Loop: Header=BB10_2729 Depth=2
	s_or_b32 exec_lo, exec_lo, s61
	s_and_saveexec_b32 s61, s62
	s_delay_alu instid0(SALU_CYCLE_1)
	s_xor_b32 s61, exec_lo, s61
	s_cbranch_execz .LBB10_2767
; %bb.2766:                             ;   in Loop: Header=BB10_2729 Depth=2
	ds_store_b32 v0, v89
	s_trap 2
.LBB10_2767:                            ;   in Loop: Header=BB10_2729 Depth=2
	s_or_b32 exec_lo, exec_lo, s60
	;;#ASMSTART
	s_wakeup
	;;#ASMEND
.LBB10_2768:                            ;   in Loop: Header=BB10_2729 Depth=2
	s_or_b32 exec_lo, exec_lo, s41
.LBB10_2769:                            ;   in Loop: Header=BB10_2729 Depth=2
	s_and_not1_saveexec_b32 s40, s40
	s_cbranch_execz .LBB10_2771
; %bb.2770:                             ;   in Loop: Header=BB10_2729 Depth=2
	global_wb scope:SCOPE_DEV
	s_wait_storecnt 0x0
	s_wait_loadcnt_dscnt 0x0
	global_inv scope:SCOPE_DEV
	s_barrier_signal -1
	s_barrier_wait -1
.LBB10_2771:                            ;   in Loop: Header=BB10_2729 Depth=2
	s_or_b32 exec_lo, exec_lo, s40
.LBB10_2772:                            ;   in Loop: Header=BB10_2729 Depth=2
	s_delay_alu instid0(SALU_CYCLE_1) | instskip(SKIP_4) | instid1(VALU_DEP_1)
	s_or_b32 exec_lo, exec_lo, s13
	s_trap 2
	ds_load_b32 v1, v0
	v_and_b32_e32 v2, 0x4000, v30
	s_xor_b32 s13, s1, -1
	v_cmp_ne_u32_e32 vcc_lo, 0, v2
	s_and_b32 s40, s13, vcc_lo
	s_delay_alu instid0(SALU_CYCLE_1)
	s_and_saveexec_b32 s13, s40
	s_cbranch_execz .LBB10_2791
; %bb.2773:                             ;   in Loop: Header=BB10_2729 Depth=2
	s_and_saveexec_b32 s40, s3
	s_delay_alu instid0(SALU_CYCLE_1)
	s_xor_b32 s40, exec_lo, s40
	s_cbranch_execz .LBB10_2788
; %bb.2774:                             ;   in Loop: Header=BB10_2729 Depth=2
	s_and_saveexec_b32 s41, s6
	s_cbranch_execz .LBB10_2787
; %bb.2775:                             ;   in Loop: Header=BB10_2729 Depth=2
	s_mov_b32 s61, exec_lo
	s_mov_b32 s60, exec_lo
	v_mbcnt_lo_u32_b32 v2, s61, 0
	global_wb scope:SCOPE_DEV
	s_wait_storecnt 0x0
	s_wait_loadcnt_dscnt 0x0
	global_inv scope:SCOPE_DEV
	v_cmpx_eq_u32_e32 0, v2
	s_cbranch_execz .LBB10_2777
; %bb.2776:                             ;   in Loop: Header=BB10_2729 Depth=2
	s_bcnt1_i32_b32 s61, s61
	s_delay_alu instid0(SALU_CYCLE_1)
	v_mov_b32_e32 v2, s61
	s_wait_loadcnt 0x0
	ds_add_u64 v0, v[2:3]
	s_trap 2
.LBB10_2777:                            ;   in Loop: Header=BB10_2729 Depth=2
	s_or_b32 exec_lo, exec_lo, s60
	s_trap 2
	ds_load_b64 v[4:5], v0
	s_wait_dscnt 0x0
	v_add_nc_u64_e32 v[48:49], v[48:49], v[52:53]
	s_mov_b32 s60, exec_lo
	s_delay_alu instid0(VALU_DEP_1)
	v_cmpx_lt_u64_e64 v[4:5], v[48:49]
	s_cbranch_execz .LBB10_2786
; %bb.2778:                             ;   in Loop: Header=BB10_2729 Depth=2
	s_mov_b32 s61, 0
	s_mov_b32 s72, 0
                                        ; implicit-def: $sgpr62
                                        ; implicit-def: $sgpr63
	s_branch .LBB10_2780
.LBB10_2779:                            ;   in Loop: Header=BB10_2780 Depth=3
	s_or_b32 exec_lo, exec_lo, s74
	s_delay_alu instid0(SALU_CYCLE_1) | instskip(NEXT) | instid1(SALU_CYCLE_1)
	s_and_b32 s73, exec_lo, s75
	s_or_b32 s61, s73, s61
	s_and_not1_b32 s62, s62, exec_lo
	s_and_b32 s73, s63, exec_lo
	s_delay_alu instid0(SALU_CYCLE_1)
	s_or_b32 s62, s62, s73
	s_and_not1_b32 exec_lo, exec_lo, s61
	s_cbranch_execz .LBB10_2784
.LBB10_2780:                            ;   Parent Loop BB10_47 Depth=1
                                        ;     Parent Loop BB10_2729 Depth=2
                                        ; =>    This Inner Loop Header: Depth=3
	s_add_co_i32 s72, s72, 1
	s_delay_alu instid0(SALU_CYCLE_1) | instskip(SKIP_1) | instid1(SALU_CYCLE_1)
	s_cmp_lg_u32 s72, 0x2710
	s_cselect_b32 s73, -1, 0
	s_and_b32 vcc_lo, exec_lo, s73
	s_cbranch_vccz .LBB10_2782
; %bb.2781:                             ;   in Loop: Header=BB10_2780 Depth=3
	s_mov_b32 s75, -1
	s_or_b32 s63, s63, exec_lo
	s_and_saveexec_b32 s74, s73
	s_cbranch_execz .LBB10_2779
	s_branch .LBB10_2783
.LBB10_2782:                            ;   in Loop: Header=BB10_2780 Depth=3
	s_trap 2
	ds_load_b64 v[4:5], v0
	s_and_not1_b32 s73, s73, exec_lo
	s_mov_b32 s72, 0
	s_wait_loadcnt_dscnt 0x0
	flat_load_b32 v2, v[4:5] scope:SCOPE_SYS
	s_wait_loadcnt_dscnt 0x0
	global_inv scope:SCOPE_SYS
	v_cmp_eq_u32_e32 vcc_lo, 0, v2
	s_and_b32 s74, vcc_lo, exec_lo
	s_delay_alu instid0(SALU_CYCLE_1)
	s_or_b32 s73, s73, s74
	s_mov_b32 s75, -1
	s_or_b32 s63, s63, exec_lo
	s_and_saveexec_b32 s74, s73
	s_cbranch_execz .LBB10_2779
.LBB10_2783:                            ;   in Loop: Header=BB10_2780 Depth=3
	s_sleep 1
	s_trap 2
	ds_load_b64 v[4:5], v0
	s_wait_dscnt 0x0
	s_and_not1_b32 s63, s63, exec_lo
	v_cmp_ge_u64_e32 vcc_lo, v[4:5], v[48:49]
	s_or_not1_b32 s75, vcc_lo, exec_lo
	s_branch .LBB10_2779
.LBB10_2784:                            ;   in Loop: Header=BB10_2729 Depth=2
	s_or_b32 exec_lo, exec_lo, s61
	s_and_saveexec_b32 s61, s62
	s_delay_alu instid0(SALU_CYCLE_1)
	s_xor_b32 s61, exec_lo, s61
	s_cbranch_execz .LBB10_2786
; %bb.2785:                             ;   in Loop: Header=BB10_2729 Depth=2
	ds_store_b32 v0, v89
	s_trap 2
.LBB10_2786:                            ;   in Loop: Header=BB10_2729 Depth=2
	s_or_b32 exec_lo, exec_lo, s60
	;;#ASMSTART
	s_wakeup
	;;#ASMEND
.LBB10_2787:                            ;   in Loop: Header=BB10_2729 Depth=2
	s_or_b32 exec_lo, exec_lo, s41
.LBB10_2788:                            ;   in Loop: Header=BB10_2729 Depth=2
	s_and_not1_saveexec_b32 s40, s40
	s_cbranch_execz .LBB10_2790
; %bb.2789:                             ;   in Loop: Header=BB10_2729 Depth=2
	global_wb scope:SCOPE_DEV
	s_wait_storecnt 0x0
	s_wait_loadcnt_dscnt 0x0
	global_inv scope:SCOPE_DEV
	s_barrier_signal -1
	s_barrier_wait -1
.LBB10_2790:                            ;   in Loop: Header=BB10_2729 Depth=2
	s_or_b32 exec_lo, exec_lo, s40
.LBB10_2791:                            ;   in Loop: Header=BB10_2729 Depth=2
	s_delay_alu instid0(SALU_CYCLE_1) | instskip(SKIP_3) | instid1(VALU_DEP_1)
	s_or_b32 exec_lo, exec_lo, s13
	s_trap 2
	ds_load_b64 v[12:13], v0
	v_sub_nc_u32_e32 v2, v22, v8
	v_min_i32_e32 v23, v23, v2
	s_wait_dscnt 0x0
	v_cmp_eq_u64_e32 vcc_lo, 0, v[12:13]
	s_cbranch_vccnz .LBB10_2799
; %bb.2792:                             ;   in Loop: Header=BB10_2729 Depth=2
	s_trap 2
	ds_load_b64 v[14:15], v0
	s_wait_dscnt 0x0
	v_cmp_eq_u64_e32 vcc_lo, 0, v[14:15]
	s_cbranch_vccnz .LBB10_2799
; %bb.2793:                             ;   in Loop: Header=BB10_2729 Depth=2
	s_mov_b32 s13, -1
	s_and_saveexec_b32 s40, s10
	s_cbranch_execz .LBB10_2795
; %bb.2794:                             ;   in Loop: Header=BB10_2729 Depth=2
	ds_load_b32 v2, v0 offset:720
	s_wait_dscnt 0x0
	v_and_b32_e32 v2, 15, v2
	s_delay_alu instid0(VALU_DEP_1)
	v_cmp_eq_u32_e32 vcc_lo, 0, v2
	s_or_not1_b32 s13, vcc_lo, exec_lo
.LBB10_2795:                            ;   in Loop: Header=BB10_2729 Depth=2
	s_or_b32 exec_lo, exec_lo, s40
	s_and_saveexec_b32 s40, s7
	s_cbranch_execz .LBB10_2797
; %bb.2796:                             ;   in Loop: Header=BB10_2729 Depth=2
	ds_load_b32 v2, v0 offset:784
	s_wait_dscnt 0x0
	v_and_b32_e32 v2, 15, v2
	s_delay_alu instid0(VALU_DEP_1) | instskip(SKIP_3) | instid1(SALU_CYCLE_1)
	v_cmp_eq_u32_e32 vcc_lo, 0, v2
	s_and_b32 s41, s13, vcc_lo
	s_and_not1_b32 s13, s13, exec_lo
	s_and_b32 s41, s41, exec_lo
	s_or_b32 s13, s13, s41
.LBB10_2797:                            ;   in Loop: Header=BB10_2729 Depth=2
	s_or_b32 exec_lo, exec_lo, s40
	v_cmp_eq_u32_e32 vcc_lo, 0, v1
	s_xor_b32 s13, s13, -1
	s_mov_b32 s41, -1
	v_cndmask_b32_e64 v2, 0, 1, s13
	v_dual_mov_b32 v4, 0 :: v_dual_cndmask_b32 v1, 0, v23
	s_delay_alu instid0(VALU_DEP_2) | instskip(NEXT) | instid1(VALU_DEP_2)
	v_cmp_ne_u32_e32 vcc_lo, 0, v2
	v_lshlrev_b32_e32 v2, 1, v1
	s_cbranch_vccz .LBB10_2804
; %bb.2798:                             ;   in Loop: Header=BB10_2729 Depth=2
	v_mov_b32_e32 v5, v0
	s_and_saveexec_b32 s13, s41
	s_cbranch_execnz .LBB10_2815
	s_branch .LBB10_2823
.LBB10_2799:                            ;   in Loop: Header=BB10_2729 Depth=2
	s_mov_b32 s13, 0
	s_and_saveexec_b32 s40, s2
	s_cbranch_execnz .LBB10_2824
.LBB10_2800:                            ;   in Loop: Header=BB10_2729 Depth=2
	s_or_b32 exec_lo, exec_lo, s40
	s_and_saveexec_b32 s40, s12
	s_delay_alu instid0(SALU_CYCLE_1)
	s_xor_b32 s40, exec_lo, s40
	s_cbranch_execz .LBB10_2842
.LBB10_2801:                            ;   in Loop: Header=BB10_2729 Depth=2
	v_and_b32_e32 v1, 16, v30
	s_delay_alu instid0(VALU_DEP_1) | instskip(SKIP_1) | instid1(SALU_CYCLE_1)
	v_cmp_ne_u32_e32 vcc_lo, 0, v1
	s_and_b32 s41, vcc_lo, s13
	s_and_saveexec_b32 s13, s41
	s_cbranch_execz .LBB10_2803
; %bb.2802:                             ;   in Loop: Header=BB10_2729 Depth=2
	global_wb scope:SCOPE_SYS
	s_wait_storecnt 0x0
	s_wait_loadcnt_dscnt 0x0
	global_inv scope:SCOPE_SYS
.LBB10_2803:                            ;   in Loop: Header=BB10_2729 Depth=2
	s_or_b32 exec_lo, exec_lo, s13
	s_and_not1_saveexec_b32 s13, s40
	s_cbranch_execz .LBB10_2861
	s_branch .LBB10_2843
.LBB10_2804:                            ;   in Loop: Header=BB10_2729 Depth=2
	s_delay_alu instid0(VALU_DEP_1) | instskip(SKIP_1) | instid1(VALU_DEP_1)
	v_dual_ashrrev_i32 v4, 31, v2 :: v_dual_lshrrev_b32 v5, 5, v0
	s_mov_b32 s13, exec_lo
	v_lshrrev_b32_e32 v4, 20, v4
	s_delay_alu instid0(VALU_DEP_1) | instskip(NEXT) | instid1(VALU_DEP_1)
	v_add_nc_u32_e32 v4, v2, v4
	v_ashrrev_i32_e32 v4, 12, v4
	s_delay_alu instid0(VALU_DEP_1) | instskip(NEXT) | instid1(VALU_DEP_1)
	v_sub_nc_u32_e32 v20, v4, v5
	v_cmpx_lt_i32_e32 0, v20
	s_cbranch_execz .LBB10_2808
; %bb.2805:                             ;   in Loop: Header=BB10_2729 Depth=2
	v_mov_b64_e32 v[16:17], v[14:15]
	v_mov_b64_e32 v[18:19], v[12:13]
	s_mov_b32 s40, 0
.LBB10_2806:                            ;   Parent Loop BB10_47 Depth=1
                                        ;     Parent Loop BB10_2729 Depth=2
                                        ; =>    This Inner Loop Header: Depth=3
	s_delay_alu instid0(VALU_DEP_1)
	v_add_nc_u64_e32 v[28:29], v[96:97], v[18:19]
	v_sub_nc_u32_e32 v20, v20, v52
	v_add_nc_u64_e32 v[18:19], v[18:19], v[68:69]
	s_clause 0x2
	global_load_b128 v[24:27], v[28:29], off th:TH_LOAD_NT
	global_load_b128 v[64:67], v[28:29], off offset:512 th:TH_LOAD_NT
	global_load_b128 v[112:115], v[28:29], off offset:1024 th:TH_LOAD_NT
	s_wait_loadcnt 0x4
	global_load_b128 v[40:43], v[28:29], off offset:1536 th:TH_LOAD_NT
	s_wait_loadcnt 0x4
	s_clause 0x3
	global_load_b128 v[44:47], v[28:29], off offset:2048 th:TH_LOAD_NT
	global_load_b128 v[54:57], v[28:29], off offset:2560 th:TH_LOAD_NT
	;; [unrolled: 1-line block ×4, first 2 shown]
	s_wait_xcnt 0x0
	v_add_nc_u64_e32 v[28:29], v[96:97], v[16:17]
	v_add_nc_u64_e32 v[16:17], v[16:17], v[68:69]
	v_cmp_gt_i32_e32 vcc_lo, 1, v20
	s_wait_loadcnt 0x7
	global_store_b128 v[28:29], v[24:27], off th:TH_STORE_NT
	s_wait_loadcnt 0x6
	global_store_b128 v[28:29], v[64:67], off offset:512 th:TH_STORE_NT
	s_wait_loadcnt 0x5
	global_store_b128 v[28:29], v[112:115], off offset:1024 th:TH_STORE_NT
	s_wait_loadcnt 0x4
	global_store_b128 v[28:29], v[40:43], off offset:1536 th:TH_STORE_NT
	s_wait_loadcnt 0x3
	global_store_b128 v[28:29], v[44:47], off offset:2048 th:TH_STORE_NT
	s_wait_loadcnt 0x2
	global_store_b128 v[28:29], v[54:57], off offset:2560 th:TH_STORE_NT
	s_wait_loadcnt 0x1
	global_store_b128 v[28:29], v[58:61], off offset:3072 th:TH_STORE_NT
	s_wait_loadcnt 0x0
	global_store_b128 v[28:29], v[72:75], off offset:3584 th:TH_STORE_NT
	s_or_b32 s40, vcc_lo, s40
	s_wait_xcnt 0x0
	s_and_not1_b32 exec_lo, exec_lo, s40
	s_cbranch_execnz .LBB10_2806
; %bb.2807:                             ;   in Loop: Header=BB10_2729 Depth=2
	s_or_b32 exec_lo, exec_lo, s40
	s_clause 0x1
	scratch_load_b64 v[40:41], off, s33 offset:220
	scratch_load_b64 v[46:47], off, s33 offset:228
.LBB10_2808:                            ;   in Loop: Header=BB10_2729 Depth=2
	s_wait_xcnt 0x0
	s_or_b32 exec_lo, exec_lo, s13
	v_dual_mov_b32 v4, 0 :: v_dual_lshlrev_b32 v9, 12, v4
	s_mov_b32 s41, 0
	s_mov_b32 s40, exec_lo
                                        ; implicit-def: $vgpr5
	s_delay_alu instid0(VALU_DEP_1)
	v_cmpx_ne_u32_e64 v2, v9
	s_cbranch_execz .LBB10_2814
; %bb.2809:                             ;   in Loop: Header=BB10_2729 Depth=2
	v_dual_lshlrev_b32 v4, 5, v20 :: v_dual_sub_nc_u32 v17, v2, v9
	v_and_b32_e32 v5, 31, v0
	s_mov_b32 s41, exec_lo
	s_delay_alu instid0(VALU_DEP_1) | instskip(NEXT) | instid1(VALU_DEP_1)
	v_dual_ashrrev_i32 v16, 31, v17 :: v_dual_sub_nc_u32 v4, v5, v4
	v_ashrrev_i32_e32 v5, 31, v4
	s_delay_alu instid0(VALU_DEP_1) | instskip(NEXT) | instid1(VALU_DEP_1)
	v_lshrrev_b32_e32 v5, 27, v5
	v_dual_add_nc_u32 v18, v4, v5 :: v_dual_lshrrev_b32 v5, 23, v16
	s_delay_alu instid0(VALU_DEP_1) | instskip(NEXT) | instid1(VALU_DEP_2)
	v_and_b32_e32 v16, 0xffffffe0, v18
	v_dual_add_nc_u32 v19, v17, v5 :: v_dual_ashrrev_i32 v21, 5, v18
	s_delay_alu instid0(VALU_DEP_2) | instskip(NEXT) | instid1(VALU_DEP_2)
	v_sub_nc_u32_e32 v5, v4, v16
	v_and_b32_e32 v4, 0xfffffe00, v19
	s_delay_alu instid0(VALU_DEP_1) | instskip(NEXT) | instid1(VALU_DEP_1)
	v_dual_lshlrev_b32 v16, 4, v5 :: v_dual_sub_nc_u32 v18, v17, v4
	v_lshl_add_u32 v16, v21, 9, v16
	v_ashrrev_i32_e32 v19, 9, v19
	s_delay_alu instid0(VALU_DEP_3) | instskip(NEXT) | instid1(VALU_DEP_3)
	v_cmp_lt_i32_e32 vcc_lo, 15, v18
	v_sub_nc_u32_e32 v20, v17, v16
	s_delay_alu instid0(VALU_DEP_3) | instskip(NEXT) | instid1(VALU_DEP_1)
	v_add_co_ci_u32_e64 v19, null, 0, v19, vcc_lo
	v_sub_nc_u32_e32 v19, v19, v21
	s_delay_alu instid0(VALU_DEP_3)
	v_cmpx_lt_i32_e32 15, v20
	s_cbranch_execz .LBB10_2813
; %bb.2810:                             ;   in Loop: Header=BB10_2729 Depth=2
	v_add_nc_u32_e32 v16, v16, v9
	s_mov_b32 s60, 0
	s_delay_alu instid0(VALU_DEP_1)
	v_ashrrev_i32_e32 v17, 31, v16
.LBB10_2811:                            ;   Parent Loop BB10_47 Depth=1
                                        ;     Parent Loop BB10_2729 Depth=2
                                        ; =>    This Inner Loop Header: Depth=3
	s_delay_alu instid0(VALU_DEP_1) | instskip(SKIP_3) | instid1(VALU_DEP_3)
	v_add_nc_u64_e32 v[24:25], v[12:13], v[16:17]
	v_dual_sub_nc_u32 v20, v20, v70 :: v_dual_sub_nc_u32 v19, v19, v52
	v_add_nc_u64_e32 v[28:29], v[14:15], v[16:17]
	v_add_nc_u64_e32 v[16:17], v[16:17], v[70:71]
	v_cmp_gt_i32_e64 s13, 16, v20
	global_load_b128 v[24:27], v[24:25], off th:TH_LOAD_NT
	s_or_b32 s60, s13, s60
	s_wait_loadcnt 0x0
	global_store_b128 v[28:29], v[24:27], off th:TH_STORE_NT
	s_wait_xcnt 0x0
	s_and_not1_b32 exec_lo, exec_lo, s60
	s_cbranch_execnz .LBB10_2811
; %bb.2812:                             ;   in Loop: Header=BB10_2729 Depth=2
	s_or_b32 exec_lo, exec_lo, s60
.LBB10_2813:                            ;   in Loop: Header=BB10_2729 Depth=2
	s_delay_alu instid0(SALU_CYCLE_1) | instskip(NEXT) | instid1(VALU_DEP_2)
	s_or_b32 exec_lo, exec_lo, s41
	v_cmp_lt_i32_e64 s13, 0, v19
	s_delay_alu instid0(VALU_DEP_1) | instskip(NEXT) | instid1(VALU_DEP_1)
	v_dual_cndmask_b32 v17, 0, v52, s13 :: v_dual_bitop2_b32 v2, 14, v2 bitop3:0x40
	v_dual_sub_nc_u32 v16, v18, v2 :: v_dual_cndmask_b32 v2, v18, v2, vcc_lo
	s_delay_alu instid0(VALU_DEP_1) | instskip(NEXT) | instid1(VALU_DEP_2)
	v_dual_cndmask_b32 v16, 0, v16 :: v_dual_sub_nc_u32 v17, v17, v19
	v_cmp_ne_u32_e32 vcc_lo, 0, v2
	s_delay_alu instid0(VALU_DEP_2) | instskip(NEXT) | instid1(VALU_DEP_3)
	v_lshl_add_u32 v5, v17, 5, v5
	v_add3_u32 v4, v4, v9, v16
	s_and_b32 s41, vcc_lo, exec_lo
.LBB10_2814:                            ;   in Loop: Header=BB10_2729 Depth=2
	s_or_b32 exec_lo, exec_lo, s40
	s_and_saveexec_b32 s13, s41
	s_cbranch_execz .LBB10_2823
.LBB10_2815:                            ;   in Loop: Header=BB10_2729 Depth=2
	s_delay_alu instid0(VALU_DEP_1) | instskip(SKIP_1) | instid1(VALU_DEP_1)
	v_dual_ashrrev_i32 v9, 31, v5 :: v_dual_ashrrev_i32 v16, 31, v2
	s_mov_b32 s40, exec_lo
	v_dual_lshrrev_b32 v9, 27, v9 :: v_dual_lshrrev_b32 v17, 22, v16
	s_delay_alu instid0(VALU_DEP_1) | instskip(NEXT) | instid1(VALU_DEP_1)
	v_add_nc_u32_e32 v16, v5, v9
	v_dual_add_nc_u32 v17, v2, v17 :: v_dual_ashrrev_i32 v9, 5, v16
	s_delay_alu instid0(VALU_DEP_1) | instskip(NEXT) | instid1(VALU_DEP_1)
	v_ashrrev_i32_e32 v25, 10, v17
	v_sub_nc_u32_e32 v24, v25, v9
	s_delay_alu instid0(VALU_DEP_1)
	v_cmpx_lt_i32_e32 0, v24
	s_cbranch_execz .LBB10_2819
; %bb.2816:                             ;   in Loop: Header=BB10_2729 Depth=2
	v_and_b32_e32 v16, 0x7fffffe0, v16
	v_mov_b64_e32 v[18:19], v[14:15]
	v_mov_b64_e32 v[20:21], v[12:13]
	s_mov_b32 s41, 0
	s_delay_alu instid0(VALU_DEP_3) | instskip(NEXT) | instid1(VALU_DEP_1)
	v_dual_lshlrev_b32 v17, 10, v9 :: v_dual_sub_nc_u32 v16, v5, v16
	v_lshlrev_b32_e32 v16, 1, v16
	s_delay_alu instid0(VALU_DEP_1) | instskip(NEXT) | instid1(VALU_DEP_1)
	v_add3_u32 v16, v16, v4, v17
	v_ashrrev_i32_e32 v17, 31, v16
.LBB10_2817:                            ;   Parent Loop BB10_47 Depth=1
                                        ;     Parent Loop BB10_2729 Depth=2
                                        ; =>    This Inner Loop Header: Depth=3
	s_delay_alu instid0(VALU_DEP_1)
	v_add_nc_u64_e32 v[26:27], v[16:17], v[20:21]
	v_sub_nc_u32_e32 v24, v24, v52
	v_add_nc_u64_e32 v[20:21], v[20:21], v[80:81]
	s_clause 0xf
	flat_load_u16 v28, v[26:27] th:TH_LOAD_NT
	flat_load_u16 v29, v[26:27] offset:64 th:TH_LOAD_NT
	flat_load_u16 v31, v[26:27] offset:128 th:TH_LOAD_NT
	;; [unrolled: 1-line block ×15, first 2 shown]
	s_wait_xcnt 0x0
	v_add_nc_u64_e32 v[26:27], v[16:17], v[18:19]
	v_add_nc_u64_e32 v[18:19], v[18:19], v[80:81]
	v_cmp_gt_i32_e32 vcc_lo, 1, v24
	s_wait_loadcnt_dscnt 0xf0f
	flat_store_b16 v[26:27], v28 th:TH_STORE_NT
	s_wait_loadcnt_dscnt 0xe0f
	flat_store_b16 v[26:27], v29 offset:64 th:TH_STORE_NT
	s_wait_loadcnt_dscnt 0xd0f
	flat_store_b16 v[26:27], v31 offset:128 th:TH_STORE_NT
	;; [unrolled: 2-line block ×15, first 2 shown]
	s_or_b32 s41, vcc_lo, s41
	s_wait_xcnt 0x0
	s_and_not1_b32 exec_lo, exec_lo, s41
	s_cbranch_execnz .LBB10_2817
; %bb.2818:                             ;   in Loop: Header=BB10_2729 Depth=2
	s_or_b32 exec_lo, exec_lo, s41
.LBB10_2819:                            ;   in Loop: Header=BB10_2729 Depth=2
	s_delay_alu instid0(SALU_CYCLE_1) | instskip(SKIP_1) | instid1(VALU_DEP_1)
	s_or_b32 exec_lo, exec_lo, s40
	v_lshlrev_b32_e32 v16, 10, v25
	v_cmp_ne_u32_e32 vcc_lo, v2, v16
	s_and_b32 exec_lo, exec_lo, vcc_lo
	s_cbranch_execz .LBB10_2823
; %bb.2820:                             ;   in Loop: Header=BB10_2729 Depth=2
	v_lshlrev_b32_e32 v9, 5, v9
	s_delay_alu instid0(VALU_DEP_1) | instskip(NEXT) | instid1(VALU_DEP_1)
	v_dual_sub_nc_u32 v5, v5, v9 :: v_dual_lshlrev_b32 v9, 5, v24
	v_sub_nc_u32_e32 v5, v5, v9
	s_delay_alu instid0(VALU_DEP_1) | instskip(NEXT) | instid1(VALU_DEP_1)
	v_ashrrev_i32_e32 v9, 31, v5
	v_lshrrev_b32_e32 v9, 27, v9
	s_delay_alu instid0(VALU_DEP_1) | instskip(NEXT) | instid1(VALU_DEP_1)
	v_add_nc_u32_e32 v9, v5, v9
	v_and_b32_e32 v17, 0x7fffffe0, v9
	v_lshlrev_b32_e32 v9, 1, v9
	s_delay_alu instid0(VALU_DEP_2) | instskip(NEXT) | instid1(VALU_DEP_2)
	v_sub_nc_u32_e32 v5, v5, v17
	v_and_b32_e32 v9, 0xffffffc0, v9
	s_delay_alu instid0(VALU_DEP_2) | instskip(NEXT) | instid1(VALU_DEP_1)
	v_lshlrev_b32_e32 v5, 1, v5
	v_add3_u32 v5, v9, v5, v16
	s_delay_alu instid0(VALU_DEP_1) | instskip(NEXT) | instid1(VALU_DEP_1)
	v_sub_nc_u32_e32 v2, v2, v5
	v_cmp_lt_i32_e32 vcc_lo, 1, v2
	s_and_b32 exec_lo, exec_lo, vcc_lo
	s_cbranch_execz .LBB10_2823
; %bb.2821:                             ;   in Loop: Header=BB10_2729 Depth=2
	v_add_nc_u32_e32 v16, v5, v4
	s_mov_b32 s40, 0
	s_delay_alu instid0(VALU_DEP_1)
	v_ashrrev_i32_e32 v17, 31, v16
.LBB10_2822:                            ;   Parent Loop BB10_47 Depth=1
                                        ;     Parent Loop BB10_2729 Depth=2
                                        ; =>    This Inner Loop Header: Depth=3
	s_delay_alu instid0(VALU_DEP_1) | instskip(SKIP_1) | instid1(VALU_DEP_1)
	v_add_nc_u64_e32 v[4:5], v[12:13], v[16:17]
	v_sub_nc_u32_e32 v2, v2, v82
	v_cmp_gt_i32_e32 vcc_lo, 2, v2
	flat_load_u16 v9, v[4:5] th:TH_LOAD_NT
	s_wait_xcnt 0x0
	v_add_nc_u64_e32 v[4:5], v[14:15], v[16:17]
	v_add_nc_u64_e32 v[16:17], v[16:17], v[82:83]
	s_or_b32 s40, vcc_lo, s40
	s_wait_loadcnt_dscnt 0x0
	flat_store_b16 v[4:5], v9 th:TH_STORE_NT
	s_wait_xcnt 0x0
	s_and_not1_b32 exec_lo, exec_lo, s40
	s_cbranch_execnz .LBB10_2822
.LBB10_2823:                            ;   in Loop: Header=BB10_2729 Depth=2
	s_or_b32 exec_lo, exec_lo, s13
	v_cmp_lt_i32_e64 s13, 0, v1
	s_and_saveexec_b32 s40, s2
	s_cbranch_execz .LBB10_2800
.LBB10_2824:                            ;   in Loop: Header=BB10_2729 Depth=2
	s_and_saveexec_b32 s41, s3
	s_delay_alu instid0(SALU_CYCLE_1)
	s_xor_b32 s41, exec_lo, s41
	s_cbranch_execz .LBB10_2839
; %bb.2825:                             ;   in Loop: Header=BB10_2729 Depth=2
	s_and_saveexec_b32 s60, s6
	s_cbranch_execz .LBB10_2838
; %bb.2826:                             ;   in Loop: Header=BB10_2729 Depth=2
	s_mov_b32 s62, exec_lo
	s_mov_b32 s61, exec_lo
	v_mbcnt_lo_u32_b32 v1, s62, 0
	global_wb scope:SCOPE_DEV
	s_wait_storecnt 0x0
	s_wait_loadcnt_dscnt 0x0
	global_inv scope:SCOPE_DEV
	v_cmpx_eq_u32_e32 0, v1
	s_cbranch_execz .LBB10_2828
; %bb.2827:                             ;   in Loop: Header=BB10_2729 Depth=2
	s_bcnt1_i32_b32 s62, s62
	s_delay_alu instid0(SALU_CYCLE_1)
	v_mov_b32_e32 v2, s62
	s_wait_loadcnt 0x0
	ds_add_u64 v0, v[2:3]
	s_trap 2
.LBB10_2828:                            ;   in Loop: Header=BB10_2729 Depth=2
	s_or_b32 exec_lo, exec_lo, s61
	s_trap 2
	ds_load_b64 v[4:5], v0
	s_wait_dscnt 0x0
	v_add_nc_u64_e32 v[48:49], v[48:49], v[52:53]
	s_mov_b32 s61, exec_lo
	s_delay_alu instid0(VALU_DEP_1)
	v_cmpx_lt_u64_e64 v[4:5], v[48:49]
	s_cbranch_execz .LBB10_2837
; %bb.2829:                             ;   in Loop: Header=BB10_2729 Depth=2
	s_mov_b32 s62, 0
	s_mov_b32 s73, 0
                                        ; implicit-def: $sgpr63
                                        ; implicit-def: $sgpr72
	s_branch .LBB10_2831
.LBB10_2830:                            ;   in Loop: Header=BB10_2831 Depth=3
	s_or_b32 exec_lo, exec_lo, s75
	s_delay_alu instid0(SALU_CYCLE_1) | instskip(NEXT) | instid1(SALU_CYCLE_1)
	s_and_b32 s74, exec_lo, s76
	s_or_b32 s62, s74, s62
	s_and_not1_b32 s63, s63, exec_lo
	s_and_b32 s74, s72, exec_lo
	s_delay_alu instid0(SALU_CYCLE_1)
	s_or_b32 s63, s63, s74
	s_and_not1_b32 exec_lo, exec_lo, s62
	s_cbranch_execz .LBB10_2835
.LBB10_2831:                            ;   Parent Loop BB10_47 Depth=1
                                        ;     Parent Loop BB10_2729 Depth=2
                                        ; =>    This Inner Loop Header: Depth=3
	s_add_co_i32 s73, s73, 1
	s_delay_alu instid0(SALU_CYCLE_1) | instskip(SKIP_1) | instid1(SALU_CYCLE_1)
	s_cmp_lg_u32 s73, 0x2710
	s_cselect_b32 s74, -1, 0
	s_and_b32 vcc_lo, exec_lo, s74
	s_cbranch_vccz .LBB10_2833
; %bb.2832:                             ;   in Loop: Header=BB10_2831 Depth=3
	s_mov_b32 s76, -1
	s_or_b32 s72, s72, exec_lo
	s_and_saveexec_b32 s75, s74
	s_cbranch_execz .LBB10_2830
	s_branch .LBB10_2834
.LBB10_2833:                            ;   in Loop: Header=BB10_2831 Depth=3
	s_trap 2
	ds_load_b64 v[4:5], v0
	s_and_not1_b32 s74, s74, exec_lo
	s_mov_b32 s73, 0
	s_wait_loadcnt_dscnt 0x0
	flat_load_b32 v1, v[4:5] scope:SCOPE_SYS
	s_wait_loadcnt_dscnt 0x0
	global_inv scope:SCOPE_SYS
	v_cmp_eq_u32_e32 vcc_lo, 0, v1
	s_and_b32 s75, vcc_lo, exec_lo
	s_delay_alu instid0(SALU_CYCLE_1)
	s_or_b32 s74, s74, s75
	s_mov_b32 s76, -1
	s_or_b32 s72, s72, exec_lo
	s_and_saveexec_b32 s75, s74
	s_cbranch_execz .LBB10_2830
.LBB10_2834:                            ;   in Loop: Header=BB10_2831 Depth=3
	s_sleep 1
	s_trap 2
	ds_load_b64 v[4:5], v0
	s_wait_dscnt 0x0
	s_and_not1_b32 s72, s72, exec_lo
	v_cmp_ge_u64_e32 vcc_lo, v[4:5], v[48:49]
	s_or_not1_b32 s76, vcc_lo, exec_lo
	s_branch .LBB10_2830
.LBB10_2835:                            ;   in Loop: Header=BB10_2729 Depth=2
	s_or_b32 exec_lo, exec_lo, s62
	s_and_saveexec_b32 s62, s63
	s_delay_alu instid0(SALU_CYCLE_1)
	s_xor_b32 s62, exec_lo, s62
	s_cbranch_execz .LBB10_2837
; %bb.2836:                             ;   in Loop: Header=BB10_2729 Depth=2
	ds_store_b32 v0, v89
	s_trap 2
.LBB10_2837:                            ;   in Loop: Header=BB10_2729 Depth=2
	s_or_b32 exec_lo, exec_lo, s61
	;;#ASMSTART
	s_wakeup
	;;#ASMEND
.LBB10_2838:                            ;   in Loop: Header=BB10_2729 Depth=2
	s_or_b32 exec_lo, exec_lo, s60
.LBB10_2839:                            ;   in Loop: Header=BB10_2729 Depth=2
	s_and_not1_saveexec_b32 s41, s41
	s_cbranch_execz .LBB10_2841
; %bb.2840:                             ;   in Loop: Header=BB10_2729 Depth=2
	global_wb scope:SCOPE_DEV
	s_wait_storecnt 0x0
	s_wait_loadcnt_dscnt 0x0
	global_inv scope:SCOPE_DEV
	s_barrier_signal -1
	s_barrier_wait -1
.LBB10_2841:                            ;   in Loop: Header=BB10_2729 Depth=2
	s_or_b32 exec_lo, exec_lo, s41
	s_delay_alu instid0(SALU_CYCLE_1) | instskip(SKIP_1) | instid1(SALU_CYCLE_1)
	s_or_b32 exec_lo, exec_lo, s40
	s_and_saveexec_b32 s40, s12
	s_xor_b32 s40, exec_lo, s40
	s_cbranch_execnz .LBB10_2801
.LBB10_2842:                            ;   in Loop: Header=BB10_2729 Depth=2
	s_and_not1_saveexec_b32 s13, s40
	s_cbranch_execz .LBB10_2861
.LBB10_2843:                            ;   in Loop: Header=BB10_2729 Depth=2
	s_and_saveexec_b32 s40, s3
	s_delay_alu instid0(SALU_CYCLE_1)
	s_xor_b32 s40, exec_lo, s40
	s_cbranch_execz .LBB10_2858
; %bb.2844:                             ;   in Loop: Header=BB10_2729 Depth=2
	s_and_saveexec_b32 s41, s6
	s_cbranch_execz .LBB10_2857
; %bb.2845:                             ;   in Loop: Header=BB10_2729 Depth=2
	s_mov_b32 s61, exec_lo
	s_mov_b32 s60, exec_lo
	v_mbcnt_lo_u32_b32 v1, s61, 0
	;;#ASMSTART
	s_waitcnt lgkmcnt(0) vmcnt(0)
	;;#ASMEND
	s_delay_alu instid0(VALU_DEP_1)
	v_cmpx_eq_u32_e32 0, v1
	s_cbranch_execz .LBB10_2847
; %bb.2846:                             ;   in Loop: Header=BB10_2729 Depth=2
	s_bcnt1_i32_b32 s61, s61
	s_delay_alu instid0(SALU_CYCLE_1)
	v_mov_b32_e32 v2, s61
	s_wait_storecnt 0x0
	s_wait_loadcnt_dscnt 0x0
	ds_add_u64 v0, v[2:3]
	s_trap 2
.LBB10_2847:                            ;   in Loop: Header=BB10_2729 Depth=2
	s_or_b32 exec_lo, exec_lo, s60
	s_trap 2
	ds_load_b64 v[4:5], v0
	s_wait_dscnt 0x0
	v_add_nc_u64_e32 v[48:49], v[48:49], v[52:53]
	s_mov_b32 s60, exec_lo
	s_delay_alu instid0(VALU_DEP_1)
	v_cmpx_lt_u64_e64 v[4:5], v[48:49]
	s_cbranch_execz .LBB10_2856
; %bb.2848:                             ;   in Loop: Header=BB10_2729 Depth=2
	s_mov_b32 s61, 0
	s_mov_b32 s72, 0
                                        ; implicit-def: $sgpr62
                                        ; implicit-def: $sgpr63
	s_branch .LBB10_2850
.LBB10_2849:                            ;   in Loop: Header=BB10_2850 Depth=3
	s_or_b32 exec_lo, exec_lo, s74
	s_delay_alu instid0(SALU_CYCLE_1) | instskip(NEXT) | instid1(SALU_CYCLE_1)
	s_and_b32 s73, exec_lo, s75
	s_or_b32 s61, s73, s61
	s_and_not1_b32 s62, s62, exec_lo
	s_and_b32 s73, s63, exec_lo
	s_delay_alu instid0(SALU_CYCLE_1)
	s_or_b32 s62, s62, s73
	s_and_not1_b32 exec_lo, exec_lo, s61
	s_cbranch_execz .LBB10_2854
.LBB10_2850:                            ;   Parent Loop BB10_47 Depth=1
                                        ;     Parent Loop BB10_2729 Depth=2
                                        ; =>    This Inner Loop Header: Depth=3
	s_add_co_i32 s72, s72, 1
	s_delay_alu instid0(SALU_CYCLE_1) | instskip(SKIP_1) | instid1(SALU_CYCLE_1)
	s_cmp_lg_u32 s72, 0x2710
	s_cselect_b32 s73, -1, 0
	s_and_b32 vcc_lo, exec_lo, s73
	s_cbranch_vccz .LBB10_2852
; %bb.2851:                             ;   in Loop: Header=BB10_2850 Depth=3
	s_mov_b32 s75, -1
	s_or_b32 s63, s63, exec_lo
	s_and_saveexec_b32 s74, s73
	s_cbranch_execz .LBB10_2849
	s_branch .LBB10_2853
.LBB10_2852:                            ;   in Loop: Header=BB10_2850 Depth=3
	s_trap 2
	ds_load_b64 v[4:5], v0
	s_and_not1_b32 s73, s73, exec_lo
	s_mov_b32 s72, 0
	s_wait_storecnt 0x0
	s_wait_loadcnt_dscnt 0x0
	flat_load_b32 v1, v[4:5] scope:SCOPE_SYS
	s_wait_loadcnt_dscnt 0x0
	global_inv scope:SCOPE_SYS
	v_cmp_eq_u32_e32 vcc_lo, 0, v1
	s_and_b32 s74, vcc_lo, exec_lo
	s_delay_alu instid0(SALU_CYCLE_1)
	s_or_b32 s73, s73, s74
	s_mov_b32 s75, -1
	s_or_b32 s63, s63, exec_lo
	s_and_saveexec_b32 s74, s73
	s_cbranch_execz .LBB10_2849
.LBB10_2853:                            ;   in Loop: Header=BB10_2850 Depth=3
	s_sleep 1
	s_trap 2
	ds_load_b64 v[4:5], v0
	s_wait_dscnt 0x0
	s_and_not1_b32 s63, s63, exec_lo
	v_cmp_ge_u64_e32 vcc_lo, v[4:5], v[48:49]
	s_or_not1_b32 s75, vcc_lo, exec_lo
	s_branch .LBB10_2849
.LBB10_2854:                            ;   in Loop: Header=BB10_2729 Depth=2
	s_or_b32 exec_lo, exec_lo, s61
	s_and_saveexec_b32 s61, s62
	s_delay_alu instid0(SALU_CYCLE_1)
	s_xor_b32 s61, exec_lo, s61
	s_cbranch_execz .LBB10_2856
; %bb.2855:                             ;   in Loop: Header=BB10_2729 Depth=2
	ds_store_b32 v0, v89
	s_trap 2
.LBB10_2856:                            ;   in Loop: Header=BB10_2729 Depth=2
	s_or_b32 exec_lo, exec_lo, s60
	;;#ASMSTART
	s_wakeup
	;;#ASMEND
.LBB10_2857:                            ;   in Loop: Header=BB10_2729 Depth=2
	s_or_b32 exec_lo, exec_lo, s41
.LBB10_2858:                            ;   in Loop: Header=BB10_2729 Depth=2
	s_and_not1_saveexec_b32 s40, s40
	s_cbranch_execz .LBB10_2860
; %bb.2859:                             ;   in Loop: Header=BB10_2729 Depth=2
	;;#ASMSTART
	s_waitcnt lgkmcnt(0) vmcnt(0)
	;;#ASMEND
	s_barrier_signal -1
	s_barrier_wait -1
.LBB10_2860:                            ;   in Loop: Header=BB10_2729 Depth=2
	s_or_b32 exec_lo, exec_lo, s40
.LBB10_2861:                            ;   in Loop: Header=BB10_2729 Depth=2
	s_delay_alu instid0(SALU_CYCLE_1) | instskip(SKIP_2) | instid1(VALU_DEP_1)
	s_or_b32 exec_lo, exec_lo, s13
	v_and_b32_e32 v1, 32, v30
	s_mov_b32 s13, exec_lo
	v_cmpx_ne_u32_e32 0, v1
	s_cbranch_execz .LBB10_2728
; %bb.2862:                             ;   in Loop: Header=BB10_2729 Depth=2
	v_add_nc_u64_e32 v[116:117], 2, v[116:117]
	global_wb scope:SCOPE_SYS
	s_wait_storecnt 0x0
	s_wait_loadcnt_dscnt 0x0
	flat_store_b64 v[32:33], v[116:117] scope:SCOPE_SYS
	s_branch .LBB10_2728
.LBB10_2863:                            ;   in Loop: Header=BB10_47 Depth=1
	s_or_b32 exec_lo, exec_lo, s15
.LBB10_2864:                            ;   in Loop: Header=BB10_47 Depth=1
	s_delay_alu instid0(SALU_CYCLE_1) | instskip(NEXT) | instid1(SALU_CYCLE_1)
	s_or_b32 exec_lo, exec_lo, s14
	s_mov_b32 s14, exec_lo
	v_cmpx_gt_i32_e32 2, v1
	s_cbranch_execz .LBB10_46
; %bb.2865:                             ;   in Loop: Header=BB10_47 Depth=1
	v_cmp_eq_u32_e64 s18, 0, v1
	s_mov_b32 s15, 0
	s_branch .LBB10_2867
.LBB10_2866:                            ;   in Loop: Header=BB10_2867 Depth=2
	s_wait_xcnt 0x0
	s_or_b32 exec_lo, exec_lo, s13
	v_add_nc_u32_e32 v8, v23, v8
	s_mov_b32 s18, 0
	s_and_not1_b32 exec_lo, exec_lo, s15
	s_cbranch_execz .LBB10_45
.LBB10_2867:                            ;   Parent Loop BB10_47 Depth=1
                                        ; =>  This Loop Header: Depth=2
                                        ;       Child Loop BB10_2873 Depth 3
                                        ;       Child Loop BB10_2897 Depth 3
	;; [unrolled: 1-line block ×3, first 2 shown]
	v_and_b32_e32 v1, 4, v30
	s_mov_b32 s27, exec_lo
	s_delay_alu instid0(VALU_DEP_1)
	v_cmpx_ne_u32_e32 0, v1
	s_cbranch_execz .LBB10_2889
; %bb.2868:                             ;   in Loop: Header=BB10_2867 Depth=2
	v_add_nc_u64_e32 v[10:11], 2, v[116:117]
	s_mov_b32 s40, exec_lo
	s_wait_loadcnt_dscnt 0x1
	s_delay_alu instid0(VALU_DEP_1)
	v_cmpx_lt_u64_e64 v[50:51], v[10:11]
	s_cbranch_execz .LBB10_2880
; %bb.2869:                             ;   in Loop: Header=BB10_2867 Depth=2
	v_and_b32_e32 v1, 64, v30
	s_mov_b32 s41, 0
	s_mov_b32 s63, 0
                                        ; implicit-def: $sgpr60
                                        ; implicit-def: $sgpr61
                                        ; implicit-def: $sgpr62
	s_delay_alu instid0(VALU_DEP_1)
	v_cmp_eq_u32_e32 vcc_lo, 0, v1
	s_branch .LBB10_2873
.LBB10_2870:                            ;   in Loop: Header=BB10_2873 Depth=3
	s_wait_loadcnt_dscnt 0x0
	v_cmp_ge_u64_e64 s13, v[50:51], v[10:11]
	s_or_b32 s74, s74, exec_lo
	s_or_not1_b32 s73, s13, exec_lo
.LBB10_2871:                            ;   in Loop: Header=BB10_2873 Depth=3
	s_or_b32 exec_lo, exec_lo, s76
	s_delay_alu instid0(SALU_CYCLE_1)
	s_and_not1_b32 s13, s62, exec_lo
	s_and_b32 s62, s74, exec_lo
	s_and_not1_b32 s61, s61, exec_lo
	s_and_b32 s73, s73, exec_lo
	s_or_b32 s62, s13, s62
	s_or_b32 s61, s61, s73
.LBB10_2872:                            ;   in Loop: Header=BB10_2873 Depth=3
	s_or_b32 exec_lo, exec_lo, s72
	s_delay_alu instid0(SALU_CYCLE_1) | instskip(NEXT) | instid1(SALU_CYCLE_1)
	s_and_b32 s13, exec_lo, s61
	s_or_b32 s41, s13, s41
	s_and_not1_b32 s13, s60, exec_lo
	s_and_b32 s60, s62, exec_lo
	s_delay_alu instid0(SALU_CYCLE_1)
	s_or_b32 s60, s13, s60
	s_and_not1_b32 exec_lo, exec_lo, s41
	s_cbranch_execz .LBB10_2877
.LBB10_2873:                            ;   Parent Loop BB10_47 Depth=1
                                        ;     Parent Loop BB10_2867 Depth=2
                                        ; =>    This Inner Loop Header: Depth=3
	s_sleep 1
	s_wait_loadcnt_dscnt 0x0
	flat_load_b64 v[50:51], v[32:33] scope:SCOPE_SYS
	s_or_b32 s62, s62, exec_lo
	s_or_b32 s61, s61, exec_lo
                                        ; implicit-def: $vgpr1
	s_wait_xcnt 0x0
	s_and_saveexec_b32 s72, vcc_lo
	s_cbranch_execz .LBB10_2872
; %bb.2874:                             ;   in Loop: Header=BB10_2873 Depth=3
	s_cmp_lt_i32 s63, 0x270f
	s_mov_b32 s73, -1
	s_cselect_b32 s75, -1, 0
	s_cmp_gt_i32 s63, 0x270e
	s_cbranch_scc0 .LBB10_2876
; %bb.2875:                             ;   in Loop: Header=BB10_2873 Depth=3
	s_trap 2
	ds_load_b64 v[4:5], v0
	s_and_not1_b32 s63, s75, exec_lo
	s_mov_b32 s74, 0
	s_wait_storecnt 0x0
	s_wait_loadcnt_dscnt 0x0
	flat_load_b32 v1, v[4:5] scope:SCOPE_SYS
	s_wait_loadcnt_dscnt 0x0
	global_inv scope:SCOPE_SYS
	v_cmp_eq_u32_e64 s13, 0, v1
	s_and_b32 s13, s13, exec_lo
	s_delay_alu instid0(SALU_CYCLE_1)
	s_or_b32 s75, s63, s13
	s_mov_b32 s63, 0
	s_and_saveexec_b32 s76, s75
	s_cbranch_execz .LBB10_2871
	s_branch .LBB10_2870
.LBB10_2876:                            ;   in Loop: Header=BB10_2873 Depth=3
	s_add_co_i32 s63, s63, 1
	s_mov_b32 s74, -1
                                        ; implicit-def: $vgpr1
	s_and_saveexec_b32 s76, s75
	s_cbranch_execz .LBB10_2871
	s_branch .LBB10_2870
.LBB10_2877:                            ;   in Loop: Header=BB10_2867 Depth=2
	s_or_b32 exec_lo, exec_lo, s41
	s_xor_b32 s13, s60, -1
	s_delay_alu instid0(SALU_CYCLE_1) | instskip(NEXT) | instid1(SALU_CYCLE_1)
	s_and_saveexec_b32 s41, s13
	s_xor_b32 s13, exec_lo, s41
	s_cbranch_execz .LBB10_2879
; %bb.2878:                             ;   in Loop: Header=BB10_2867 Depth=2
	v_or_b32_e32 v30, 64, v30
	s_wait_storecnt 0x0
	s_wait_loadcnt_dscnt 0x0
	ds_store_b32 v0, v1
	s_trap 2
.LBB10_2879:                            ;   in Loop: Header=BB10_2867 Depth=2
	s_or_b32 exec_lo, exec_lo, s13
.LBB10_2880:                            ;   in Loop: Header=BB10_2867 Depth=2
	s_delay_alu instid0(SALU_CYCLE_1)
	s_or_b32 exec_lo, exec_lo, s40
	v_and_b32_e32 v1, 0x100, v30
	v_and_b32_e32 v2, 7, v116
	s_mov_b32 s13, -1
	s_mov_b32 s40, exec_lo
	;;#ASMSTART
	s_wakeup
	;;#ASMEND
                                        ; implicit-def: $vgpr12_vgpr13
	v_cmpx_ne_u32_e32 0, v1
	s_cbranch_execz .LBB10_2884
; %bb.2881:                             ;   in Loop: Header=BB10_2867 Depth=2
	v_mad_nc_u64_u32 v[14:15], v2, 24, v[6:7]
	s_mov_b32 s41, exec_lo
                                        ; implicit-def: $vgpr12_vgpr13
	flat_load_b32 v1, v[14:15]
	s_wait_loadcnt_dscnt 0x0
	v_cmp_ne_u32_e32 vcc_lo, 1, v1
	s_wait_xcnt 0x0
	v_cmpx_eq_u32_e32 1, v1
	s_cbranch_execz .LBB10_2883
; %bb.2882:                             ;   in Loop: Header=BB10_2867 Depth=2
	flat_load_b32 v4, v[14:15] offset:4 scope:SCOPE_SYS
	s_wait_loadcnt_dscnt 0x0
	v_ashrrev_i32_e32 v5, 31, v4
	s_delay_alu instid0(VALU_DEP_1)
	v_lshrrev_b64 v[12:13], 1, v[4:5]
.LBB10_2883:                            ;   in Loop: Header=BB10_2867 Depth=2
	s_wait_xcnt 0x0
	s_or_b32 exec_lo, exec_lo, s41
	s_delay_alu instid0(SALU_CYCLE_1)
	s_or_not1_b32 s13, vcc_lo, exec_lo
.LBB10_2884:                            ;   in Loop: Header=BB10_2867 Depth=2
	s_or_b32 exec_lo, exec_lo, s40
	s_and_saveexec_b32 s40, s13
; %bb.2885:                             ;   in Loop: Header=BB10_2867 Depth=2
	v_mul_u64_e32 v[12:13], v[2:3], v[34:35]
; %bb.2886:                             ;   in Loop: Header=BB10_2867 Depth=2
	s_or_b32 exec_lo, exec_lo, s40
	v_and_b32_e32 v1, 0x2000, v30
	s_delay_alu instid0(VALU_DEP_2)
	v_lshl_add_u64 v[4:5], v[12:13], 1, v[36:37]
	s_mov_b32 s13, exec_lo
	ds_store_b64 v0, v[4:5] offset:720
	v_cmpx_ne_u32_e32 0, v1
	s_cbranch_execz .LBB10_2888
; %bb.2887:                             ;   in Loop: Header=BB10_2867 Depth=2
	ds_load_b64 v[4:5], v0 offset:872
	s_wait_dscnt 0x0
	v_add_nc_u64_e32 v[4:5], 1, v[4:5]
	ds_store_b64 v0, v[4:5] offset:872
.LBB10_2888:                            ;   in Loop: Header=BB10_2867 Depth=2
	s_or_b32 exec_lo, exec_lo, s13
	v_mov_b64_e32 v[116:117], v[10:11]
.LBB10_2889:                            ;   in Loop: Header=BB10_2867 Depth=2
	s_or_b32 exec_lo, exec_lo, s27
	s_xor_b32 s13, s18, -1
	s_delay_alu instid0(SALU_CYCLE_1) | instskip(NEXT) | instid1(SALU_CYCLE_1)
	s_and_b32 s13, exec_lo, s13
	s_or_b32 s15, s13, s15
	s_and_saveexec_b32 s13, s2
	s_cbranch_execz .LBB10_2908
; %bb.2890:                             ;   in Loop: Header=BB10_2867 Depth=2
	s_and_saveexec_b32 s18, s3
	s_delay_alu instid0(SALU_CYCLE_1)
	s_xor_b32 s18, exec_lo, s18
	s_cbranch_execz .LBB10_2905
; %bb.2891:                             ;   in Loop: Header=BB10_2867 Depth=2
	s_and_saveexec_b32 s27, s6
	s_cbranch_execz .LBB10_2904
; %bb.2892:                             ;   in Loop: Header=BB10_2867 Depth=2
	s_mov_b32 s41, exec_lo
	s_mov_b32 s40, exec_lo
	v_mbcnt_lo_u32_b32 v1, s41, 0
	global_wb scope:SCOPE_DEV
	s_wait_storecnt 0x0
	s_wait_loadcnt_dscnt 0x0
	global_inv scope:SCOPE_DEV
	v_cmpx_eq_u32_e32 0, v1
	s_cbranch_execz .LBB10_2894
; %bb.2893:                             ;   in Loop: Header=BB10_2867 Depth=2
	s_bcnt1_i32_b32 s41, s41
	s_delay_alu instid0(SALU_CYCLE_1)
	v_mov_b32_e32 v2, s41
	s_wait_loadcnt 0x0
	ds_add_u64 v0, v[2:3]
	s_trap 2
.LBB10_2894:                            ;   in Loop: Header=BB10_2867 Depth=2
	s_or_b32 exec_lo, exec_lo, s40
	s_trap 2
	ds_load_b64 v[4:5], v0
	s_wait_dscnt 0x0
	v_add_nc_u64_e32 v[48:49], v[48:49], v[52:53]
	s_mov_b32 s40, exec_lo
	s_delay_alu instid0(VALU_DEP_1)
	v_cmpx_lt_u64_e64 v[4:5], v[48:49]
	s_cbranch_execz .LBB10_2903
; %bb.2895:                             ;   in Loop: Header=BB10_2867 Depth=2
	s_mov_b32 s41, 0
	s_mov_b32 s62, 0
                                        ; implicit-def: $sgpr60
                                        ; implicit-def: $sgpr61
	s_branch .LBB10_2897
.LBB10_2896:                            ;   in Loop: Header=BB10_2897 Depth=3
	s_or_b32 exec_lo, exec_lo, s72
	s_delay_alu instid0(SALU_CYCLE_1) | instskip(NEXT) | instid1(SALU_CYCLE_1)
	s_and_b32 s63, exec_lo, s73
	s_or_b32 s41, s63, s41
	s_and_not1_b32 s60, s60, exec_lo
	s_and_b32 s63, s61, exec_lo
	s_delay_alu instid0(SALU_CYCLE_1)
	s_or_b32 s60, s60, s63
	s_and_not1_b32 exec_lo, exec_lo, s41
	s_cbranch_execz .LBB10_2901
.LBB10_2897:                            ;   Parent Loop BB10_47 Depth=1
                                        ;     Parent Loop BB10_2867 Depth=2
                                        ; =>    This Inner Loop Header: Depth=3
	s_add_co_i32 s62, s62, 1
	s_delay_alu instid0(SALU_CYCLE_1) | instskip(SKIP_1) | instid1(SALU_CYCLE_1)
	s_cmp_lg_u32 s62, 0x2710
	s_cselect_b32 s63, -1, 0
	s_and_b32 vcc_lo, exec_lo, s63
	s_cbranch_vccz .LBB10_2899
; %bb.2898:                             ;   in Loop: Header=BB10_2897 Depth=3
	s_mov_b32 s73, -1
	s_or_b32 s61, s61, exec_lo
	s_and_saveexec_b32 s72, s63
	s_cbranch_execz .LBB10_2896
	s_branch .LBB10_2900
.LBB10_2899:                            ;   in Loop: Header=BB10_2897 Depth=3
	s_trap 2
	ds_load_b64 v[4:5], v0
	s_and_not1_b32 s63, s63, exec_lo
	s_mov_b32 s62, 0
	s_wait_loadcnt_dscnt 0x0
	flat_load_b32 v1, v[4:5] scope:SCOPE_SYS
	s_wait_loadcnt_dscnt 0x0
	global_inv scope:SCOPE_SYS
	v_cmp_eq_u32_e32 vcc_lo, 0, v1
	s_and_b32 s72, vcc_lo, exec_lo
	s_delay_alu instid0(SALU_CYCLE_1)
	s_or_b32 s63, s63, s72
	s_mov_b32 s73, -1
	s_or_b32 s61, s61, exec_lo
	s_and_saveexec_b32 s72, s63
	s_cbranch_execz .LBB10_2896
.LBB10_2900:                            ;   in Loop: Header=BB10_2897 Depth=3
	s_sleep 1
	s_trap 2
	ds_load_b64 v[4:5], v0
	s_wait_dscnt 0x0
	s_and_not1_b32 s61, s61, exec_lo
	v_cmp_ge_u64_e32 vcc_lo, v[4:5], v[48:49]
	s_or_not1_b32 s73, vcc_lo, exec_lo
	s_branch .LBB10_2896
.LBB10_2901:                            ;   in Loop: Header=BB10_2867 Depth=2
	s_or_b32 exec_lo, exec_lo, s41
	s_and_saveexec_b32 s41, s60
	s_delay_alu instid0(SALU_CYCLE_1)
	s_xor_b32 s41, exec_lo, s41
	s_cbranch_execz .LBB10_2903
; %bb.2902:                             ;   in Loop: Header=BB10_2867 Depth=2
	ds_store_b32 v0, v89
	s_trap 2
.LBB10_2903:                            ;   in Loop: Header=BB10_2867 Depth=2
	s_or_b32 exec_lo, exec_lo, s40
	;;#ASMSTART
	s_wakeup
	;;#ASMEND
.LBB10_2904:                            ;   in Loop: Header=BB10_2867 Depth=2
	s_or_b32 exec_lo, exec_lo, s27
.LBB10_2905:                            ;   in Loop: Header=BB10_2867 Depth=2
	s_and_not1_saveexec_b32 s18, s18
	s_cbranch_execz .LBB10_2907
; %bb.2906:                             ;   in Loop: Header=BB10_2867 Depth=2
	global_wb scope:SCOPE_DEV
	s_wait_storecnt 0x0
	s_wait_loadcnt_dscnt 0x0
	global_inv scope:SCOPE_DEV
	s_barrier_signal -1
	s_barrier_wait -1
.LBB10_2907:                            ;   in Loop: Header=BB10_2867 Depth=2
	s_or_b32 exec_lo, exec_lo, s18
.LBB10_2908:                            ;   in Loop: Header=BB10_2867 Depth=2
	s_delay_alu instid0(SALU_CYCLE_1) | instskip(SKIP_1) | instid1(VALU_DEP_1)
	s_or_b32 exec_lo, exec_lo, s13
	v_sub_nc_u32_e32 v1, v22, v8
	v_min_i32_e32 v23, v23, v1
	s_and_saveexec_b32 s13, s12
	s_delay_alu instid0(SALU_CYCLE_1)
	s_xor_b32 s18, exec_lo, s13
	s_cbranch_execz .LBB10_2912
; %bb.2909:                             ;   in Loop: Header=BB10_2867 Depth=2
	s_trap 2
	ds_load_b32 v1, v0
	v_cmp_lt_i32_e32 vcc_lo, 0, v23
	s_wait_dscnt 0x0
	v_readfirstlane_b32 s13, v1
	v_and_b32_e32 v1, 16, v30
	s_cmp_eq_u32 s13, 0
	s_delay_alu instid0(VALU_DEP_1) | instskip(SKIP_1) | instid1(SALU_CYCLE_1)
	v_cmp_ne_u32_e64 s13, 0, v1
	s_cselect_b32 s27, -1, 0
	s_and_b32 s27, vcc_lo, s27
	s_delay_alu instid0(SALU_CYCLE_1) | instskip(NEXT) | instid1(SALU_CYCLE_1)
	s_and_b32 s27, s13, s27
	s_and_saveexec_b32 s13, s27
	s_cbranch_execz .LBB10_2911
; %bb.2910:                             ;   in Loop: Header=BB10_2867 Depth=2
	global_wb scope:SCOPE_SYS
	s_wait_loadcnt 0x0
	s_wait_storecnt 0x0
	global_inv scope:SCOPE_SYS
.LBB10_2911:                            ;   in Loop: Header=BB10_2867 Depth=2
	s_or_b32 exec_lo, exec_lo, s13
.LBB10_2912:                            ;   in Loop: Header=BB10_2867 Depth=2
	s_and_not1_saveexec_b32 s13, s18
	s_cbranch_execz .LBB10_2931
; %bb.2913:                             ;   in Loop: Header=BB10_2867 Depth=2
	s_and_saveexec_b32 s18, s3
	s_delay_alu instid0(SALU_CYCLE_1)
	s_xor_b32 s18, exec_lo, s18
	s_cbranch_execz .LBB10_2928
; %bb.2914:                             ;   in Loop: Header=BB10_2867 Depth=2
	s_and_saveexec_b32 s27, s6
	s_cbranch_execz .LBB10_2927
; %bb.2915:                             ;   in Loop: Header=BB10_2867 Depth=2
	s_mov_b32 s41, exec_lo
	s_mov_b32 s40, exec_lo
	v_mbcnt_lo_u32_b32 v1, s41, 0
	;;#ASMSTART
	s_waitcnt lgkmcnt(0) vmcnt(0)
	;;#ASMEND
	s_delay_alu instid0(VALU_DEP_1)
	v_cmpx_eq_u32_e32 0, v1
	s_cbranch_execz .LBB10_2917
; %bb.2916:                             ;   in Loop: Header=BB10_2867 Depth=2
	s_bcnt1_i32_b32 s41, s41
	s_delay_alu instid0(SALU_CYCLE_1)
	v_mov_b32_e32 v2, s41
	s_wait_storecnt 0x0
	s_wait_loadcnt_dscnt 0x0
	ds_add_u64 v0, v[2:3]
	s_trap 2
.LBB10_2917:                            ;   in Loop: Header=BB10_2867 Depth=2
	s_or_b32 exec_lo, exec_lo, s40
	s_trap 2
	ds_load_b64 v[4:5], v0
	s_wait_dscnt 0x0
	v_add_nc_u64_e32 v[48:49], v[48:49], v[52:53]
	s_mov_b32 s40, exec_lo
	s_delay_alu instid0(VALU_DEP_1)
	v_cmpx_lt_u64_e64 v[4:5], v[48:49]
	s_cbranch_execz .LBB10_2926
; %bb.2918:                             ;   in Loop: Header=BB10_2867 Depth=2
	s_mov_b32 s41, 0
	s_mov_b32 s62, 0
                                        ; implicit-def: $sgpr60
                                        ; implicit-def: $sgpr61
	s_branch .LBB10_2920
.LBB10_2919:                            ;   in Loop: Header=BB10_2920 Depth=3
	s_or_b32 exec_lo, exec_lo, s72
	s_delay_alu instid0(SALU_CYCLE_1) | instskip(NEXT) | instid1(SALU_CYCLE_1)
	s_and_b32 s63, exec_lo, s73
	s_or_b32 s41, s63, s41
	s_and_not1_b32 s60, s60, exec_lo
	s_and_b32 s63, s61, exec_lo
	s_delay_alu instid0(SALU_CYCLE_1)
	s_or_b32 s60, s60, s63
	s_and_not1_b32 exec_lo, exec_lo, s41
	s_cbranch_execz .LBB10_2924
.LBB10_2920:                            ;   Parent Loop BB10_47 Depth=1
                                        ;     Parent Loop BB10_2867 Depth=2
                                        ; =>    This Inner Loop Header: Depth=3
	s_add_co_i32 s62, s62, 1
	s_delay_alu instid0(SALU_CYCLE_1) | instskip(SKIP_1) | instid1(SALU_CYCLE_1)
	s_cmp_lg_u32 s62, 0x2710
	s_cselect_b32 s63, -1, 0
	s_and_b32 vcc_lo, exec_lo, s63
	s_cbranch_vccz .LBB10_2922
; %bb.2921:                             ;   in Loop: Header=BB10_2920 Depth=3
	s_mov_b32 s73, -1
	s_or_b32 s61, s61, exec_lo
	s_and_saveexec_b32 s72, s63
	s_cbranch_execz .LBB10_2919
	s_branch .LBB10_2923
.LBB10_2922:                            ;   in Loop: Header=BB10_2920 Depth=3
	s_trap 2
	ds_load_b64 v[4:5], v0
	s_and_not1_b32 s63, s63, exec_lo
	s_mov_b32 s62, 0
	s_wait_storecnt 0x0
	s_wait_loadcnt_dscnt 0x0
	flat_load_b32 v1, v[4:5] scope:SCOPE_SYS
	s_wait_loadcnt_dscnt 0x0
	global_inv scope:SCOPE_SYS
	v_cmp_eq_u32_e32 vcc_lo, 0, v1
	s_and_b32 s72, vcc_lo, exec_lo
	s_delay_alu instid0(SALU_CYCLE_1)
	s_or_b32 s63, s63, s72
	s_mov_b32 s73, -1
	s_or_b32 s61, s61, exec_lo
	s_and_saveexec_b32 s72, s63
	s_cbranch_execz .LBB10_2919
.LBB10_2923:                            ;   in Loop: Header=BB10_2920 Depth=3
	s_sleep 1
	s_trap 2
	ds_load_b64 v[4:5], v0
	s_wait_dscnt 0x0
	s_and_not1_b32 s61, s61, exec_lo
	v_cmp_ge_u64_e32 vcc_lo, v[4:5], v[48:49]
	s_or_not1_b32 s73, vcc_lo, exec_lo
	s_branch .LBB10_2919
.LBB10_2924:                            ;   in Loop: Header=BB10_2867 Depth=2
	s_or_b32 exec_lo, exec_lo, s41
	s_and_saveexec_b32 s41, s60
	s_delay_alu instid0(SALU_CYCLE_1)
	s_xor_b32 s41, exec_lo, s41
	s_cbranch_execz .LBB10_2926
; %bb.2925:                             ;   in Loop: Header=BB10_2867 Depth=2
	ds_store_b32 v0, v89
	s_trap 2
.LBB10_2926:                            ;   in Loop: Header=BB10_2867 Depth=2
	s_or_b32 exec_lo, exec_lo, s40
	;;#ASMSTART
	s_wakeup
	;;#ASMEND
.LBB10_2927:                            ;   in Loop: Header=BB10_2867 Depth=2
	s_or_b32 exec_lo, exec_lo, s27
.LBB10_2928:                            ;   in Loop: Header=BB10_2867 Depth=2
	s_and_not1_saveexec_b32 s18, s18
	s_cbranch_execz .LBB10_2930
; %bb.2929:                             ;   in Loop: Header=BB10_2867 Depth=2
	;;#ASMSTART
	s_waitcnt lgkmcnt(0) vmcnt(0)
	;;#ASMEND
	s_barrier_signal -1
	s_barrier_wait -1
.LBB10_2930:                            ;   in Loop: Header=BB10_2867 Depth=2
	s_or_b32 exec_lo, exec_lo, s18
.LBB10_2931:                            ;   in Loop: Header=BB10_2867 Depth=2
	s_delay_alu instid0(SALU_CYCLE_1) | instskip(SKIP_2) | instid1(VALU_DEP_1)
	s_or_b32 exec_lo, exec_lo, s13
	v_and_b32_e32 v1, 32, v30
	s_mov_b32 s13, exec_lo
	v_cmpx_ne_u32_e32 0, v1
	s_cbranch_execz .LBB10_2866
; %bb.2932:                             ;   in Loop: Header=BB10_2867 Depth=2
	v_add_nc_u64_e32 v[116:117], 2, v[116:117]
	global_wb scope:SCOPE_SYS
	s_wait_storecnt 0x0
	s_wait_loadcnt_dscnt 0x0
	flat_store_b64 v[32:33], v[116:117] scope:SCOPE_SYS
	s_branch .LBB10_2866
.LBB10_2933:
	s_or_b32 exec_lo, exec_lo, s59
	s_clause 0x3
	scratch_load_b32 v19, off, s33 offset:272
	scratch_load_b32 v31, off, s33 offset:276
	scratch_load_b64 v[22:23], off, s33 offset:280
	scratch_load_b32 v8, off, s33 offset:288
.LBB10_2934:
	s_wait_xcnt 0x0
	s_or_b32 exec_lo, exec_lo, s43
	v_and_b32_e32 v0, 0x800, v30
	s_mov_b32 s1, exec_lo
	s_delay_alu instid0(VALU_DEP_1)
	v_cmpx_eq_u32_e32 0, v0
	s_cbranch_execz .LBB10_2967
; %bb.2935:
	v_and_b32_e32 v0, 48, v30
	s_mov_b32 s0, exec_lo
	s_delay_alu instid0(VALU_DEP_1)
	v_cmpx_ne_u32_e32 0, v0
	s_cbranch_execz .LBB10_2937
; %bb.2936:
	s_wait_loadcnt 0x1
	flat_store_b64 v[22:23], v[116:117] offset:104
.LBB10_2937:
	s_wait_xcnt 0x0
	s_or_b32 exec_lo, exec_lo, s0
	v_and_b32_e32 v0, 0x88, v30
	s_mov_b32 s2, exec_lo
	s_delay_alu instid0(VALU_DEP_1)
	v_cmpx_eq_u32_e32 0x88, v0
	s_cbranch_execz .LBB10_2947
; %bb.2938:
	v_dual_add_nc_u32 v0, 6, v116 :: v_dual_bitop2_b32 v4, 64, v30 bitop3:0x40
	s_mov_b32 s3, 0
	s_delay_alu instid0(VALU_DEP_1) | instskip(NEXT) | instid1(VALU_DEP_2)
	v_and_b32_e32 v0, 7, v0
	v_cmp_eq_u32_e64 s0, 0, v4
	s_delay_alu instid0(VALU_DEP_2)
	v_mad_nc_u64_u32 v[2:3], v0, 24, v[6:7]
	flat_load_b64 v[0:1], v[2:3] offset:8 scope:SCOPE_SYS
	s_wait_loadcnt_dscnt 0x0
	v_cmp_ne_u64_e32 vcc_lo, -1, v[0:1]
	s_and_b32 s0, vcc_lo, s0
	s_wait_xcnt 0x0
	s_and_b32 exec_lo, exec_lo, s0
	s_cbranch_execz .LBB10_2947
; %bb.2939:
	s_mov_b32 s5, 0
                                        ; implicit-def: $sgpr0
                                        ; implicit-def: $sgpr4
	s_branch .LBB10_2942
.LBB10_2940:                            ;   in Loop: Header=BB10_2942 Depth=1
	flat_load_b64 v[4:5], v[2:3] offset:8 scope:SCOPE_SYS
	s_wait_loadcnt 0x0
	s_and_not1_b32 s4, s4, exec_lo
	s_wait_dscnt 0x0
	v_cmp_eq_u64_e32 vcc_lo, -1, v[4:5]
	s_or_not1_b32 s7, vcc_lo, exec_lo
.LBB10_2941:                            ;   in Loop: Header=BB10_2942 Depth=1
	s_wait_xcnt 0x0
	s_or_b32 exec_lo, exec_lo, s10
	s_delay_alu instid0(SALU_CYCLE_1) | instskip(NEXT) | instid1(SALU_CYCLE_1)
	s_and_b32 s6, exec_lo, s7
	s_or_b32 s3, s6, s3
	s_and_not1_b32 s0, s0, exec_lo
	s_and_b32 s6, s4, exec_lo
	s_delay_alu instid0(SALU_CYCLE_1)
	s_or_b32 s0, s0, s6
	s_and_not1_b32 exec_lo, exec_lo, s3
	s_cbranch_execz .LBB10_2945
.LBB10_2942:                            ; =>This Inner Loop Header: Depth=1
	s_cmp_lt_i32 s5, 0x270f
	s_cselect_b32 s6, -1, 0
	s_delay_alu instid0(SALU_CYCLE_1)
	s_and_b32 vcc_lo, exec_lo, s6
	s_cbranch_vccnz .LBB10_2944
; %bb.2943:                             ;   in Loop: Header=BB10_2942 Depth=1
	s_trap 2
	ds_load_b64 v[0:1], v0
	s_and_not1_b32 s6, s6, exec_lo
	s_mov_b32 s5, 0
	s_wait_storecnt_dscnt 0x0
	flat_load_b32 v0, v[0:1] scope:SCOPE_SYS
	s_wait_loadcnt_dscnt 0x0
	global_inv scope:SCOPE_SYS
	v_cmp_eq_u32_e32 vcc_lo, 0, v0
	s_and_b32 s7, vcc_lo, exec_lo
	s_delay_alu instid0(SALU_CYCLE_1)
	s_or_b32 s6, s6, s7
	s_mov_b32 s7, -1
	s_or_b32 s4, s4, exec_lo
	s_wait_xcnt 0x0
	s_and_saveexec_b32 s10, s6
	s_cbranch_execz .LBB10_2941
	s_branch .LBB10_2940
.LBB10_2944:                            ;   in Loop: Header=BB10_2942 Depth=1
	s_add_co_i32 s5, s5, 1
                                        ; implicit-def: $vgpr0
	s_mov_b32 s7, -1
	s_or_b32 s4, s4, exec_lo
	s_and_saveexec_b32 s10, s6
	s_cbranch_execz .LBB10_2941
	s_branch .LBB10_2940
.LBB10_2945:
	s_or_b32 exec_lo, exec_lo, s3
	s_and_saveexec_b32 s3, s0
	s_delay_alu instid0(SALU_CYCLE_1)
	s_xor_b32 s3, exec_lo, s3
	s_cbranch_execz .LBB10_2947
; %bb.2946:
	s_wait_loadcnt 0x0
	s_wait_storecnt 0x0
	ds_store_b32 v0, v0
	s_trap 2
.LBB10_2947:
	s_or_b32 exec_lo, exec_lo, s2
	v_and_b32_e32 v0, 0x2000, v30
	s_mov_b32 s0, exec_lo
	s_delay_alu instid0(VALU_DEP_1)
	v_cmpx_ne_u32_e32 0, v0
	s_cbranch_execz .LBB10_2949
; %bb.2948:
	s_trap 2
	scratch_load_b64 v[2:3], off, s33 offset:292 th:TH_LOAD_LU ; 8-byte Folded Reload
	ds_load_b64 v[0:1], v0
	s_wait_loadcnt_dscnt 0x0
	flat_store_b64 v[2:3], v[0:1] offset:16
.LBB10_2949:
	s_wait_xcnt 0x0
	s_or_b32 exec_lo, exec_lo, s0
	s_wait_loadcnt 0x3
	v_cmp_ne_u32_e32 vcc_lo, 32, v19
	s_and_b32 exec_lo, exec_lo, vcc_lo
	s_cbranch_execz .LBB10_2967
; %bb.2950:
	s_mov_b32 s0, exec_lo
	s_wait_loadcnt 0x0
	v_cmpx_ne_u32_e64 v19, v8
	s_xor_b32 s0, exec_lo, s0
	s_cbranch_execz .LBB10_2965
; %bb.2951:
	v_and_b32_e32 v0, 31, v31
	s_mov_b32 s2, exec_lo
	s_delay_alu instid0(VALU_DEP_1)
	v_cmpx_eq_u32_e32 0, v0
	s_cbranch_execz .LBB10_2964
; %bb.2952:
	s_mov_b32 s4, exec_lo
	s_mov_b32 s3, exec_lo
	v_mbcnt_lo_u32_b32 v0, s4, 0
	global_wb scope:SCOPE_DEV
	s_wait_storecnt_dscnt 0x0
	global_inv scope:SCOPE_DEV
	v_cmpx_eq_u32_e32 0, v0
	s_cbranch_execz .LBB10_2954
; %bb.2953:
	s_bcnt1_i32_b32 s4, s4
	s_delay_alu instid0(SALU_CYCLE_1)
	v_dual_mov_b32 v1, 0 :: v_dual_mov_b32 v0, s4
	s_wait_loadcnt 0x0
	ds_add_u64 v0, v[0:1]
	s_trap 2
.LBB10_2954:
	s_or_b32 exec_lo, exec_lo, s3
	s_trap 2
	ds_load_b64 v[2:3], v0
	s_wait_dscnt 0x0
	v_dual_mov_b32 v1, 0 :: v_dual_lshrrev_b32 v0, 5, v19
	s_mov_b32 s3, exec_lo
	s_delay_alu instid0(VALU_DEP_1) | instskip(NEXT) | instid1(VALU_DEP_1)
	v_add_nc_u64_e32 v[0:1], v[48:49], v[0:1]
	v_cmpx_lt_u64_e64 v[2:3], v[0:1]
	s_cbranch_execz .LBB10_2963
; %bb.2955:
	s_mov_b32 s4, 0
	s_mov_b32 s7, 0
                                        ; implicit-def: $sgpr5
                                        ; implicit-def: $sgpr6
	s_branch .LBB10_2957
.LBB10_2956:                            ;   in Loop: Header=BB10_2957 Depth=1
	s_or_b32 exec_lo, exec_lo, s11
	s_delay_alu instid0(SALU_CYCLE_1) | instskip(NEXT) | instid1(SALU_CYCLE_1)
	s_and_b32 s10, exec_lo, s12
	s_or_b32 s4, s10, s4
	s_and_not1_b32 s5, s5, exec_lo
	s_and_b32 s10, s6, exec_lo
	s_delay_alu instid0(SALU_CYCLE_1)
	s_or_b32 s5, s5, s10
	s_and_not1_b32 exec_lo, exec_lo, s4
	s_cbranch_execz .LBB10_2961
.LBB10_2957:                            ; =>This Inner Loop Header: Depth=1
	s_add_co_i32 s7, s7, 1
	s_delay_alu instid0(SALU_CYCLE_1) | instskip(SKIP_1) | instid1(SALU_CYCLE_1)
	s_cmp_lg_u32 s7, 0x2710
	s_cselect_b32 s10, -1, 0
	s_and_b32 vcc_lo, exec_lo, s10
	s_cbranch_vccz .LBB10_2959
; %bb.2958:                             ;   in Loop: Header=BB10_2957 Depth=1
	s_mov_b32 s12, -1
	s_or_b32 s6, s6, exec_lo
	s_and_saveexec_b32 s11, s10
	s_cbranch_execz .LBB10_2956
	s_branch .LBB10_2960
.LBB10_2959:                            ;   in Loop: Header=BB10_2957 Depth=1
	s_trap 2
	ds_load_b64 v[2:3], v0
	s_and_not1_b32 s10, s10, exec_lo
	s_mov_b32 s7, 0
	s_wait_loadcnt_dscnt 0x0
	flat_load_b32 v2, v[2:3] scope:SCOPE_SYS
	s_wait_loadcnt_dscnt 0x0
	global_inv scope:SCOPE_SYS
	v_cmp_eq_u32_e32 vcc_lo, 0, v2
	s_and_b32 s11, vcc_lo, exec_lo
	s_delay_alu instid0(SALU_CYCLE_1)
	s_or_b32 s10, s10, s11
	s_mov_b32 s12, -1
	s_or_b32 s6, s6, exec_lo
	s_and_saveexec_b32 s11, s10
	s_cbranch_execz .LBB10_2956
.LBB10_2960:                            ;   in Loop: Header=BB10_2957 Depth=1
	s_sleep 1
	s_trap 2
	ds_load_b64 v[2:3], v0
	s_wait_dscnt 0x0
	s_and_not1_b32 s6, s6, exec_lo
	v_cmp_ge_u64_e32 vcc_lo, v[2:3], v[0:1]
	s_or_not1_b32 s12, vcc_lo, exec_lo
	s_branch .LBB10_2956
.LBB10_2961:
	s_or_b32 exec_lo, exec_lo, s4
	s_and_saveexec_b32 s4, s5
	s_delay_alu instid0(SALU_CYCLE_1)
	s_xor_b32 s4, exec_lo, s4
	s_cbranch_execz .LBB10_2963
; %bb.2962:
	v_mov_b32_e32 v0, 1
	ds_store_b32 v0, v0
	s_trap 2
.LBB10_2963:
	s_or_b32 exec_lo, exec_lo, s3
	;;#ASMSTART
	s_wakeup
	;;#ASMEND
.LBB10_2964:
	s_or_b32 exec_lo, exec_lo, s2
.LBB10_2965:
	s_and_not1_saveexec_b32 s0, s0
	s_cbranch_execz .LBB10_2967
; %bb.2966:
	global_wb scope:SCOPE_DEV
	s_wait_storecnt 0x0
	s_wait_loadcnt_dscnt 0x0
	global_inv scope:SCOPE_DEV
	s_barrier_signal -1
	s_barrier_wait -1
.LBB10_2967:
	s_or_b32 exec_lo, exec_lo, s1
.LBB10_2968:
	s_and_not1_saveexec_b32 s21, s42
	s_cbranch_execz .LBB10_2970
; %bb.2969:
	s_get_pc_i64 s[0:1]
	s_add_nc_u64 s[0:1], s[0:1], __PRETTY_FUNCTION__._ZN10PrimitivesI12hip_bfloat1613FuncPreMulSumIS0_E12FanSymmetricILi1EELi0E11ProtoSimpleILi2ELi2ELi0ELi4ELi0ELi0EELi0ELb0ELi0ELi0ELi0EEC2EiiPKiS9_PKvPvmhhhP15ncclDevWorkCollP14ncclDevWorkP2pii@rel64+4
	s_get_pc_i64 s[2:3]
	s_add_nc_u64 s[2:3], s[2:3], __assert_fail@rel64+4
	v_dual_mov_b32 v0, s0 :: v_dual_mov_b32 v1, s1
	s_swap_pc_i64 s[30:31], s[2:3]
	; divergent unreachable
.LBB10_2970:
	s_or_b32 exec_lo, exec_lo, s21
	s_clause 0x2e
	scratch_load_b32 v126, off, s33
	scratch_load_b32 v125, off, s33 offset:4
	scratch_load_b32 v124, off, s33 offset:8
	;; [unrolled: 1-line block ×46, first 2 shown]
	v_readlane_b32 s30, v127, 0
	v_readlane_b32 s31, v127, 1
	s_mov_b32 s32, s33
	s_wait_xcnt 0x0
	s_or_saveexec_b32 s0, -1
	scratch_load_b32 v127, off, s33 offset:300 ; 4-byte Folded Reload
	s_wait_xcnt 0x0
	s_mov_b32 exec_lo, s0
	s_mov_b32 s33, s79
	s_wait_loadcnt_dscnt 0x0
	s_set_pc_i64 s[30:31]
.Lfunc_end10:
	.size	_ZN12_GLOBAL__N_17runRingI12hip_bfloat1613FuncPreMulSumIS1_E11ProtoSimpleILi2ELi2ELi0ELi4ELi0ELi0EELi0ELi0ELi4ELi0EEEviiP15ncclDevWorkColl, .Lfunc_end10-_ZN12_GLOBAL__N_17runRingI12hip_bfloat1613FuncPreMulSumIS1_E11ProtoSimpleILi2ELi2ELi0ELi4ELi0ELi0EELi0ELi0ELi4ELi0EEEviiP15ncclDevWorkColl
                                        ; -- End function
	.set .L_ZN12_GLOBAL__N_17runRingI12hip_bfloat1613FuncPreMulSumIS1_E11ProtoSimpleILi2ELi2ELi0ELi4ELi0ELi0EELi0ELi0ELi4ELi0EEEviiP15ncclDevWorkColl.num_vgpr, max(128, .L__assert_fail.num_vgpr)
	.set .L_ZN12_GLOBAL__N_17runRingI12hip_bfloat1613FuncPreMulSumIS1_E11ProtoSimpleILi2ELi2ELi0ELi4ELi0ELi0EELi0ELi0ELi4ELi0EEEviiP15ncclDevWorkColl.num_agpr, max(0, .L__assert_fail.num_agpr)
	.set .L_ZN12_GLOBAL__N_17runRingI12hip_bfloat1613FuncPreMulSumIS1_E11ProtoSimpleILi2ELi2ELi0ELi4ELi0ELi0EELi0ELi0ELi4ELi0EEEviiP15ncclDevWorkColl.numbered_sgpr, max(80, .L__assert_fail.numbered_sgpr)
	.set .L_ZN12_GLOBAL__N_17runRingI12hip_bfloat1613FuncPreMulSumIS1_E11ProtoSimpleILi2ELi2ELi0ELi4ELi0ELi0EELi0ELi0ELi4ELi0EEEviiP15ncclDevWorkColl.num_named_barrier, max(0, .L__assert_fail.num_named_barrier)
	.set .L_ZN12_GLOBAL__N_17runRingI12hip_bfloat1613FuncPreMulSumIS1_E11ProtoSimpleILi2ELi2ELi0ELi4ELi0ELi0EELi0ELi0ELi4ELi0EEEviiP15ncclDevWorkColl.private_seg_size, 320+max(.L__assert_fail.private_seg_size)
	.set .L_ZN12_GLOBAL__N_17runRingI12hip_bfloat1613FuncPreMulSumIS1_E11ProtoSimpleILi2ELi2ELi0ELi4ELi0ELi0EELi0ELi0ELi4ELi0EEEviiP15ncclDevWorkColl.uses_vcc, or(1, .L__assert_fail.uses_vcc)
	.set .L_ZN12_GLOBAL__N_17runRingI12hip_bfloat1613FuncPreMulSumIS1_E11ProtoSimpleILi2ELi2ELi0ELi4ELi0ELi0EELi0ELi0ELi4ELi0EEEviiP15ncclDevWorkColl.uses_flat_scratch, or(1, .L__assert_fail.uses_flat_scratch)
	.set .L_ZN12_GLOBAL__N_17runRingI12hip_bfloat1613FuncPreMulSumIS1_E11ProtoSimpleILi2ELi2ELi0ELi4ELi0ELi0EELi0ELi0ELi4ELi0EEEviiP15ncclDevWorkColl.has_dyn_sized_stack, or(0, .L__assert_fail.has_dyn_sized_stack)
	.set .L_ZN12_GLOBAL__N_17runRingI12hip_bfloat1613FuncPreMulSumIS1_E11ProtoSimpleILi2ELi2ELi0ELi4ELi0ELi0EELi0ELi0ELi4ELi0EEEviiP15ncclDevWorkColl.has_recursion, or(1, .L__assert_fail.has_recursion)
	.set .L_ZN12_GLOBAL__N_17runRingI12hip_bfloat1613FuncPreMulSumIS1_E11ProtoSimpleILi2ELi2ELi0ELi4ELi0ELi0EELi0ELi0ELi4ELi0EEEviiP15ncclDevWorkColl.has_indirect_call, or(0, .L__assert_fail.has_indirect_call)
	.section	.AMDGPU.csdata,"",@progbits
; Function info:
; codeLenInByte = 95652
; TotalNumSgprs: 82
; NumVgprs: 128
; ScratchSize: 384
; MemoryBound: 1
	.text
	.p2align	2                               ; -- Begin function _Z54ncclDevFunc_AllReduce_RING_SIMPLE_PreMulSum_bf16_0_0_4v
	.type	_Z54ncclDevFunc_AllReduce_RING_SIMPLE_PreMulSum_bf16_0_0_4v,@function
_Z54ncclDevFunc_AllReduce_RING_SIMPLE_PreMulSum_bf16_0_0_4v: ; @_Z54ncclDevFunc_AllReduce_RING_SIMPLE_PreMulSum_bf16_0_0_4v
; %bb.0:
	s_wait_loadcnt_dscnt 0x0
	s_wait_kmcnt 0x0
	s_mov_b32 s95, s33
	s_mov_b32 s33, s32
	s_or_saveexec_b32 s0, -1
	scratch_store_b32 off, v42, s33 offset:12 ; 4-byte Folded Spill
	s_wait_xcnt 0x0
	s_mov_b32 exec_lo, s0
	s_add_co_i32 s32, s32, 32
	s_clause 0x2
	scratch_store_b32 off, v40, s33 offset:8
	; meta instruction
	scratch_store_b32 off, v41, s33 offset:4
	; meta instruction
	scratch_store_b32 off, v127, s33
	v_writelane_b32 v42, s30, 0
	v_writelane_b32 v42, s31, 1
	s_trap 2
	ds_load_b32 v0, v0
	s_wait_xcnt 0x2
	v_mov_b32_e32 v40, v31
	s_mov_b32 s90, s12
	s_mov_b64 s[88:89], s[8:9]
	s_mov_b32 s2, exec_lo
	s_wait_xcnt 0x1
	v_and_b32_e32 v41, 0x3ff, v40
	s_wait_dscnt 0x0
	s_wait_xcnt 0x0
	s_delay_alu instid0(VALU_DEP_1)
	v_cmpx_lt_i32_e64 v41, v0
	s_cbranch_execz .LBB11_5
; %bb.1:
	s_load_b32 s0, s[88:89], 0x0
	s_bfe_u32 s1, ttmp6, 0x4000c
	s_and_b32 s3, ttmp6, 15
	s_add_co_i32 s1, s1, 1
	s_getreg_b32 s4, hwreg(HW_REG_IB_STS2, 6, 4)
	s_mul_i32 s1, ttmp9, s1
	v_mov_b32_e32 v2, v41
	s_add_co_i32 s3, s3, s1
	s_cmp_eq_u32 s4, 0
                                        ; implicit-def: $vgpr3
	s_cselect_b32 s1, ttmp9, s3
	s_mov_b32 s3, 0
	s_wait_kmcnt 0x0
	s_cmp_lt_u32 s1, s0
	s_mov_b32 s1, 0
	s_cselect_b32 s0, 12, 18
	s_delay_alu instid0(SALU_CYCLE_1)
	s_add_nc_u64 s[4:5], s[88:89], s[0:1]
	s_load_u16 s0, s[4:5], 0x0
	s_trap 2
	ds_load_b32 v1, v0
	s_wait_dscnt 0x0
	s_wait_kmcnt 0x0
	v_mul_lo_u32 v1, v1, s0
	s_branch .LBB11_3
.LBB11_2:                               ;   in Loop: Header=BB11_3 Depth=1
	s_or_b32 exec_lo, exec_lo, s4
	v_dual_add_nc_u32 v2, s0, v2 :: v_dual_add_nc_u32 v3, v3, v1
	s_delay_alu instid0(VALU_DEP_1) | instskip(SKIP_1) | instid1(SALU_CYCLE_1)
	v_cmp_ge_i32_e32 vcc_lo, v2, v0
	s_or_b32 s3, vcc_lo, s3
	s_and_not1_b32 exec_lo, exec_lo, s3
	s_cbranch_execz .LBB11_5
.LBB11_3:                               ; =>This Inner Loop Header: Depth=1
	ds_load_b32 v4, v3
	s_mov_b32 s4, exec_lo
	s_wait_dscnt 0x0
	v_and_b32_e32 v4, 0x1000000, v4
	s_delay_alu instid0(VALU_DEP_1)
	v_cmpx_ne_u32_e32 0, v4
	s_cbranch_execz .LBB11_2
; %bb.4:                                ;   in Loop: Header=BB11_3 Depth=1
	ds_load_b64 v[4:5], v3 offset:104
	s_wait_dscnt 0x0
	flat_load_u16 v4, v[4:5]
	s_wait_xcnt 0x0
	v_mov_b32_e32 v5, s1
	s_wait_loadcnt_dscnt 0x0
	v_and_b32_e32 v4, 0xffff, v4
	ds_store_b64 v3, v[4:5] offset:104
	s_branch .LBB11_2
.LBB11_5:
	s_or_b32 exec_lo, exec_lo, s2
	s_wait_storecnt_dscnt 0x0
	s_barrier_signal -1
	s_barrier_wait -1
	s_trap 2
	ds_load_b32 v0, v0
	s_wait_dscnt 0x0
	v_cmp_gt_i32_e32 vcc_lo, 1, v0
	s_cbranch_vccnz .LBB11_13
; %bb.6:
	s_mov_b32 s91, 0
	s_get_pc_i64 s[92:93]
	s_add_nc_u64 s[92:93], s[92:93], _ZN12_GLOBAL__N_17runRingI12hip_bfloat1613FuncPreMulSumIS1_E11ProtoSimpleILi2ELi2ELi0ELi4ELi0ELi0EELi0ELi0ELi4ELi0EEEviiP15ncclDevWorkColl@rel64+4
	s_branch .LBB11_8
.LBB11_7:                               ;   in Loop: Header=BB11_8 Depth=1
	s_or_b32 exec_lo, exec_lo, s94
	s_trap 2
	ds_load_b32 v0, v0
	s_add_co_i32 s91, s91, 1
	s_wait_dscnt 0x0
	v_cmp_lt_i32_e32 vcc_lo, s91, v0
	s_cbranch_vccz .LBB11_13
.LBB11_8:                               ; =>This Inner Loop Header: Depth=1
	s_trap 2
	ds_load_b32 v0, v0
	s_cmp_eq_u32 s91, 0
	s_cbranch_scc1 .LBB11_11
; %bb.9:                                ;   in Loop: Header=BB11_8 Depth=1
	s_trap 2
	s_wait_dscnt 0x0
	ds_load_b32 v1, v0
	s_wait_dscnt 0x0
	v_xor_b32_e32 v1, v1, v0
	s_delay_alu instid0(VALU_DEP_1) | instskip(NEXT) | instid1(VALU_DEP_1)
	v_and_b32_e32 v1, 0xff0000, v1
	v_cmp_eq_u32_e32 vcc_lo, 0, v1
	s_cbranch_vccnz .LBB11_11
; %bb.10:                               ;   in Loop: Header=BB11_8 Depth=1
	s_barrier_signal -1
	s_barrier_wait -1
	ds_load_b32 v0, v0
.LBB11_11:                              ;   in Loop: Header=BB11_8 Depth=1
	s_wait_dscnt 0x0
	v_lshrrev_b32_e32 v0, 11, v0
	s_mov_b32 s94, exec_lo
	s_delay_alu instid0(VALU_DEP_1) | instskip(NEXT) | instid1(VALU_DEP_1)
	v_and_b32_e32 v1, 0x1fe0, v0
	v_cmpx_lt_u32_e64 v41, v1
	s_cbranch_execz .LBB11_7
; %bb.12:                               ;   in Loop: Header=BB11_8 Depth=1
	s_mov_b64 s[0:1], src_shared_base
	v_dual_mov_b32 v31, v40 :: v_dual_mov_b32 v0, v41
	v_mov_b32_e32 v3, s1
	s_mov_b64 s[8:9], s[88:89]
	s_mov_b32 s12, s90
	s_swap_pc_i64 s[30:31], s[92:93]
	s_branch .LBB11_7
.LBB11_13:
	s_clause 0x2
	scratch_load_b32 v127, off, s33
	scratch_load_b32 v41, off, s33 offset:4
	scratch_load_b32 v40, off, s33 offset:8
	v_readlane_b32 s30, v42, 0
	v_readlane_b32 s31, v42, 1
	s_mov_b32 s32, s33
	s_wait_xcnt 0x0
	s_or_saveexec_b32 s0, -1
	scratch_load_b32 v42, off, s33 offset:12 ; 4-byte Folded Reload
	s_wait_xcnt 0x0
	s_mov_b32 exec_lo, s0
	s_mov_b32 s33, s95
	s_wait_loadcnt 0x0
	s_set_pc_i64 s[30:31]
.Lfunc_end11:
	.size	_Z54ncclDevFunc_AllReduce_RING_SIMPLE_PreMulSum_bf16_0_0_4v, .Lfunc_end11-_Z54ncclDevFunc_AllReduce_RING_SIMPLE_PreMulSum_bf16_0_0_4v
                                        ; -- End function
	.set .L_Z54ncclDevFunc_AllReduce_RING_SIMPLE_PreMulSum_bf16_0_0_4v.num_vgpr, max(128, .L_ZN12_GLOBAL__N_17runRingI12hip_bfloat1613FuncPreMulSumIS1_E11ProtoSimpleILi2ELi2ELi0ELi4ELi0ELi0EELi0ELi0ELi4ELi0EEEviiP15ncclDevWorkColl.num_vgpr)
	.set .L_Z54ncclDevFunc_AllReduce_RING_SIMPLE_PreMulSum_bf16_0_0_4v.num_agpr, max(0, .L_ZN12_GLOBAL__N_17runRingI12hip_bfloat1613FuncPreMulSumIS1_E11ProtoSimpleILi2ELi2ELi0ELi4ELi0ELi0EELi0ELi0ELi4ELi0EEEviiP15ncclDevWorkColl.num_agpr)
	.set .L_Z54ncclDevFunc_AllReduce_RING_SIMPLE_PreMulSum_bf16_0_0_4v.numbered_sgpr, max(96, .L_ZN12_GLOBAL__N_17runRingI12hip_bfloat1613FuncPreMulSumIS1_E11ProtoSimpleILi2ELi2ELi0ELi4ELi0ELi0EELi0ELi0ELi4ELi0EEEviiP15ncclDevWorkColl.numbered_sgpr)
	.set .L_Z54ncclDevFunc_AllReduce_RING_SIMPLE_PreMulSum_bf16_0_0_4v.num_named_barrier, max(0, .L_ZN12_GLOBAL__N_17runRingI12hip_bfloat1613FuncPreMulSumIS1_E11ProtoSimpleILi2ELi2ELi0ELi4ELi0ELi0EELi0ELi0ELi4ELi0EEEviiP15ncclDevWorkColl.num_named_barrier)
	.set .L_Z54ncclDevFunc_AllReduce_RING_SIMPLE_PreMulSum_bf16_0_0_4v.private_seg_size, 32+max(.L_ZN12_GLOBAL__N_17runRingI12hip_bfloat1613FuncPreMulSumIS1_E11ProtoSimpleILi2ELi2ELi0ELi4ELi0ELi0EELi0ELi0ELi4ELi0EEEviiP15ncclDevWorkColl.private_seg_size)
	.set .L_Z54ncclDevFunc_AllReduce_RING_SIMPLE_PreMulSum_bf16_0_0_4v.uses_vcc, or(1, .L_ZN12_GLOBAL__N_17runRingI12hip_bfloat1613FuncPreMulSumIS1_E11ProtoSimpleILi2ELi2ELi0ELi4ELi0ELi0EELi0ELi0ELi4ELi0EEEviiP15ncclDevWorkColl.uses_vcc)
	.set .L_Z54ncclDevFunc_AllReduce_RING_SIMPLE_PreMulSum_bf16_0_0_4v.uses_flat_scratch, or(1, .L_ZN12_GLOBAL__N_17runRingI12hip_bfloat1613FuncPreMulSumIS1_E11ProtoSimpleILi2ELi2ELi0ELi4ELi0ELi0EELi0ELi0ELi4ELi0EEEviiP15ncclDevWorkColl.uses_flat_scratch)
	.set .L_Z54ncclDevFunc_AllReduce_RING_SIMPLE_PreMulSum_bf16_0_0_4v.has_dyn_sized_stack, or(0, .L_ZN12_GLOBAL__N_17runRingI12hip_bfloat1613FuncPreMulSumIS1_E11ProtoSimpleILi2ELi2ELi0ELi4ELi0ELi0EELi0ELi0ELi4ELi0EEEviiP15ncclDevWorkColl.has_dyn_sized_stack)
	.set .L_Z54ncclDevFunc_AllReduce_RING_SIMPLE_PreMulSum_bf16_0_0_4v.has_recursion, or(1, .L_ZN12_GLOBAL__N_17runRingI12hip_bfloat1613FuncPreMulSumIS1_E11ProtoSimpleILi2ELi2ELi0ELi4ELi0ELi0EELi0ELi0ELi4ELi0EEEviiP15ncclDevWorkColl.has_recursion)
	.set .L_Z54ncclDevFunc_AllReduce_RING_SIMPLE_PreMulSum_bf16_0_0_4v.has_indirect_call, or(0, .L_ZN12_GLOBAL__N_17runRingI12hip_bfloat1613FuncPreMulSumIS1_E11ProtoSimpleILi2ELi2ELi0ELi4ELi0ELi0EELi0ELi0ELi4ELi0EEEviiP15ncclDevWorkColl.has_indirect_call)
	.section	.AMDGPU.csdata,"",@progbits
; Function info:
; codeLenInByte = 756
; TotalNumSgprs: 98
; NumVgprs: 128
; ScratchSize: 416
; MemoryBound: 0
	.text
	.p2align	2                               ; -- Begin function _ZN12_GLOBAL__N_17runRingI12hip_bfloat1613FuncPreMulSumIS1_E11ProtoSimpleILi2ELi2ELi0ELi4ELi0ELi0EELi0ELi0ELi4ELi1EEEviiP15ncclDevWorkColl
	.type	_ZN12_GLOBAL__N_17runRingI12hip_bfloat1613FuncPreMulSumIS1_E11ProtoSimpleILi2ELi2ELi0ELi4ELi0ELi0EELi0ELi0ELi4ELi1EEEviiP15ncclDevWorkColl,@function
_ZN12_GLOBAL__N_17runRingI12hip_bfloat1613FuncPreMulSumIS1_E11ProtoSimpleILi2ELi2ELi0ELi4ELi0ELi0EELi0ELi0ELi4ELi1EEEviiP15ncclDevWorkColl: ; @_ZN12_GLOBAL__N_17runRingI12hip_bfloat1613FuncPreMulSumIS1_E11ProtoSimpleILi2ELi2ELi0ELi4ELi0ELi0EELi0ELi0ELi4ELi1EEEviiP15ncclDevWorkColl
; %bb.0:
	s_wait_loadcnt_dscnt 0x0
	s_wait_kmcnt 0x0
	s_mov_b32 s94, s33
	s_mov_b32 s33, s32
	s_or_saveexec_b32 s0, -1
	scratch_store_b32 off, v127, s33 offset:504 ; 4-byte Folded Spill
	s_wait_xcnt 0x0
	s_mov_b32 exec_lo, s0
	s_addk_co_i32 s32, 0x200
	s_clause 0x2e
	scratch_store_b32 off, v40, s33 offset:184
	; meta instruction
	scratch_store_b32 off, v41, s33 offset:180
	; meta instruction
	;; [unrolled: 2-line block ×46, first 2 shown]
	scratch_store_b32 off, v126, s33
	v_writelane_b32 v127, s30, 0
	v_writelane_b32 v127, s31, 1
	scratch_store_b32 off, v0, s33 offset:356 ; 4-byte Folded Spill
	s_trap 2
	flat_load_b32 v0, v[2:3]
	v_mov_b32_e32 v18, v1
	s_mov_b32 s0, exec_lo
                                        ; implicit-def: $vgpr4_vgpr5
                                        ; implicit-def: $vgpr8_vgpr9
                                        ; kill: killed $vgpr8_vgpr9
                                        ; implicit-def: $vgpr20_vgpr21
	s_wait_loadcnt_dscnt 0x0
	ds_load_b32 v1, v0
	v_and_b32_e32 v7, 0xff, v0
	s_wait_dscnt 0x0
	v_readfirstlane_b32 s16, v1
	s_wait_xcnt 0x0
	s_delay_alu instid0(VALU_DEP_2)
	v_cmpx_ne_u32_e64 v1, v7
	s_xor_b32 s0, exec_lo, s0
	s_cbranch_execz .LBB12_6
; %bb.1:
	v_bfe_u32 v6, v0, 8, 8
	v_not_b32_e32 v0, v7
	s_mov_b32 s1, exec_lo
                                        ; implicit-def: $vgpr4_vgpr5
                                        ; implicit-def: $vgpr8_vgpr9
                                        ; kill: killed $vgpr8_vgpr9
                                        ; implicit-def: $vgpr20_vgpr21
	s_delay_alu instid0(VALU_DEP_2)
	v_cmpx_ne_u32_e64 v1, v6
	s_xor_b32 s1, exec_lo, s1
	s_cbranch_execz .LBB12_3
; %bb.2:
	s_clause 0x1
	flat_load_b128 v[4:7], v[2:3] offset:72
	flat_load_b64 v[8:9], v[2:3] offset:96
	v_add_nc_u32_e32 v0, v1, v0
	s_wait_loadcnt_dscnt 0x101
	s_delay_alu instid0(VALU_DEP_1) | instskip(SKIP_1) | instid1(VALU_DEP_2)
	v_mad_nc_u64_u32 v[4:5], v6, v0, v[4:5]
	v_mov_b64_e32 v[20:21], v[6:7]
	v_mad_u32 v1, v7, v0, v5
	v_ashrrev_i32_e32 v0, 31, v0
	s_delay_alu instid0(VALU_DEP_1)
	v_mad_u32 v5, v6, v0, v1
                                        ; implicit-def: $vgpr6
                                        ; implicit-def: $vgpr0
	scratch_store_b64 off, v[4:5], s33 offset:444 ; 8-byte Folded Spill
	s_wait_loadcnt_dscnt 0x0
	v_lshrrev_b64 v[4:5], 13, v[8:9]
.LBB12_3:
	s_and_not1_saveexec_b32 s1, s1
	s_cbranch_execz .LBB12_5
; %bb.4:
	s_clause 0x1
	flat_load_b128 v[8:11], v[2:3] offset:72
	flat_load_b128 v[20:23], v[2:3] offset:88
	v_add_nc_u32_e32 v0, v6, v0
	s_wait_loadcnt_dscnt 0x101
	s_delay_alu instid0(VALU_DEP_1) | instskip(NEXT) | instid1(VALU_DEP_1)
	v_mad_nc_u64_u32 v[4:5], v10, v0, v[8:9]
	v_mad_u32 v1, v11, v0, v5
	v_ashrrev_i32_e32 v0, 31, v0
	s_delay_alu instid0(VALU_DEP_1)
	v_mad_u32 v5, v10, v0, v1
	scratch_store_b64 off, v[4:5], s33 offset:444 ; 8-byte Folded Spill
	s_wait_loadcnt_dscnt 0x0
	v_lshrrev_b32_e32 v4, 2, v23
.LBB12_5:
	s_or_b32 exec_lo, exec_lo, s1
.LBB12_6:
	s_and_not1_saveexec_b32 s0, s0
	s_cbranch_execz .LBB12_8
; %bb.7:
	s_clause 0x1
	flat_load_b64 v[0:1], v[2:3] offset:96
	flat_load_b64 v[20:21], v[2:3] offset:72
	s_wait_loadcnt_dscnt 0x101
	v_lshlrev_b64_e32 v[4:5], 8, v[0:1]
	v_mov_b64_e32 v[0:1], 0
	scratch_store_b64 off, v[0:1], s33 offset:444 ; 8-byte Folded Spill
.LBB12_8:
	s_wait_xcnt 0x0
	s_or_b32 exec_lo, exec_lo, s0
	s_trap 2
	ds_load_b64 v[0:1], v0
	s_mov_b32 s1, 0
	s_mov_b32 s2, exec_lo
	s_wait_dscnt 0x0
	v_cmp_ne_u32_e32 vcc_lo, -1, v0
	v_cndmask_b32_e64 v0, 0, 1, vcc_lo
	v_cmp_ne_u32_e32 vcc_lo, -1, v1
	s_delay_alu instid0(VALU_DEP_2) | instskip(NEXT) | instid1(VALU_DEP_1)
	v_add_co_ci_u32_e64 v5, null, 0, v0, vcc_lo
	v_lshlrev_b32_e32 v1, 1, v5
	s_delay_alu instid0(VALU_DEP_1)
	v_cmpx_le_u32_e64 v1, v18
	s_xor_b32 s42, exec_lo, s2
	s_cbranch_execnz .LBB12_9
; %bb.6668:
	s_add_pc_i64 .LBB12_6665-.Lpost_addpc5
.Lpost_addpc5:
.LBB12_9:
	s_clause 0x3
	flat_load_b128 v[10:13], v[2:3] offset:16
	flat_load_b64 v[14:15], v[2:3] offset:104
	flat_load_u16 v7, v[2:3] offset:8
	flat_load_b32 v6, v[2:3] offset:4
	s_trap 2
	s_load_b32 s0, s[8:9], 0x0
	ds_load_b32 v8, v0
	s_bfe_u32 s2, ttmp6, 0x4000c
	s_and_b32 s3, ttmp6, 15
	s_add_co_i32 s2, s2, 1
	s_getreg_b32 s4, hwreg(HW_REG_IB_STS2, 6, 4)
	s_mul_i32 s2, ttmp9, s2
	v_dual_mov_b32 v1, 0 :: v_dual_mov_b32 v126, 4
	s_add_co_i32 s3, s3, s2
	s_cmp_eq_u32 s4, 0
	s_cselect_b32 s2, ttmp9, s3
	s_wait_kmcnt 0x0
	s_cmp_lt_u32 s2, s0
	s_wait_dscnt 0x0
	v_readfirstlane_b32 s6, v8
	s_cselect_b32 s0, 12, 18
	scratch_load_b32 v8, off, s33 offset:356 ; 4-byte Folded Reload
	s_add_nc_u64 s[0:1], s[8:9], s[0:1]
	global_load_u16 v1, v1, s[0:1]
	s_wait_xcnt 0x0
	s_mov_b32 s1, exec_lo
	s_wait_loadcnt 0x1
	v_cmpx_ge_u32_e64 v8, v0
	s_cbranch_execz .LBB12_19
; %bb.10:
	scratch_load_b32 v8, off, s33 offset:356 ; 4-byte Folded Reload
                                        ; implicit-def: $vgpr126
	s_wait_loadcnt 0x0
	v_cmp_ge_u32_e64 s0, v8, v5
	s_wait_xcnt 0x0
	s_and_saveexec_b32 s2, s0
	s_delay_alu instid0(SALU_CYCLE_1)
	s_xor_b32 s0, exec_lo, s2
	s_cbranch_execz .LBB12_16
; %bb.11:
	scratch_load_b32 v9, off, s33 offset:356 ; 4-byte Folded Reload
	v_cndmask_b32_e64 v8, 0, 1, vcc_lo
	s_mov_b32 s2, exec_lo
	s_delay_alu instid0(VALU_DEP_1) | instskip(SKIP_1) | instid1(VALU_DEP_1)
	v_sub_nc_u32_e32 v8, v18, v8
	s_wait_loadcnt 0x0
	v_cmpx_ge_u32_e64 v9, v8
	s_xor_b32 s2, exec_lo, s2
; %bb.12:
                                        ; implicit-def: $vgpr5
; %bb.13:
	s_delay_alu instid0(SALU_CYCLE_1)
	s_or_saveexec_b32 s2, s2
	v_mov_b32_e32 v126, 16
	s_xor_b32 exec_lo, exec_lo, s2
	s_cbranch_execz .LBB12_15
; %bb.14:
	scratch_load_b32 v8, off, s33 offset:356 ; 4-byte Folded Reload
	v_sub_nc_u32_e32 v5, v18, v5
	s_wait_loadcnt 0x0
	s_delay_alu instid0(VALU_DEP_1)
	v_cmp_lt_i32_e32 vcc_lo, v8, v5
	v_cndmask_b32_e64 v126, 32, 0, vcc_lo
.LBB12_15:
	s_wait_xcnt 0x0
	s_or_b32 exec_lo, exec_lo, s2
.LBB12_16:
	s_and_not1_saveexec_b32 s0, s0
; %bb.17:
	v_mov_b32_e32 v126, 8
; %bb.18:
	s_or_b32 exec_lo, exec_lo, s0
.LBB12_19:
	s_delay_alu instid0(SALU_CYCLE_1) | instskip(NEXT) | instid1(VALU_DEP_1)
	s_or_b32 exec_lo, exec_lo, s1
	v_and_b32_e32 v5, 36, v126
	s_delay_alu instid0(VALU_DEP_1)
	v_cmp_ne_u32_e32 vcc_lo, 0, v5
	v_mov_b32_e32 v5, -1
	s_and_saveexec_b32 s0, vcc_lo
	s_cbranch_execz .LBB12_21
; %bb.20:
	s_trap 2
	ds_load_b32 v5, v0
.LBB12_21:
	s_or_b32 exec_lo, exec_lo, s0
	v_and_b32_e32 v8, 24, v126
	s_mov_b32 s1, exec_lo
	s_delay_alu instid0(VALU_DEP_1)
	v_cmpx_ne_u32_e32 0, v8
	s_cbranch_execz .LBB12_23
; %bb.22:
	s_trap 2
	s_wait_dscnt 0x0
	ds_load_b32 v5, v0
.LBB12_23:
	s_or_b32 exec_lo, exec_lo, s1
	v_lshrrev_b64 v[6:7], 31, v[6:7]
	v_mov_b64_e32 v[8:9], 0
	v_mov_b64_e32 v[16:17], 0
                                        ; implicit-def: $vgpr116_vgpr117
                                        ; implicit-def: $vgpr58_vgpr59
                                        ; implicit-def: $vgpr40_vgpr41
	s_delay_alu instid0(VALU_DEP_3)
	v_and_b32_e32 v6, 3, v6
	s_clause 0x1
	scratch_store_b128 off, v[8:11], s33 offset:288
	; meta instruction
	; meta instruction
	;; [unrolled: 1-line block ×3, first 2 shown]
	scratch_store_b64 off, v[8:9], s33 offset:312
                                        ; implicit-def: $vgpr8_vgpr9
                                        ; kill: killed $vgpr8_vgpr9
	v_and_b32_e32 v6, 0xffff, v6
	s_wait_xcnt 0x0
	s_and_saveexec_b32 s0, vcc_lo
	s_cbranch_execz .LBB12_33
; %bb.24:
	s_trap 2
	ds_load_b64 v[8:9], v0
	s_mov_b32 s1, exec_lo
                                        ; implicit-def: $vgpr16_vgpr17
                                        ; kill: killed $vgpr16_vgpr17
	s_wait_dscnt 0x0
	v_readfirstlane_b32 s2, v8
	v_readfirstlane_b32 s3, v9
	flat_load_b64 v[8:9], v5, s[2:3] scale_offset
	s_wait_loadcnt_dscnt 0x0
	v_mad_nc_u64_u32 v[8:9], 0xa8, v6, v[8:9]
	flat_load_b32 v7, v[8:9] offset:640
	s_wait_loadcnt_dscnt 0x0
	v_cmpx_eq_u32_e32 1, v7
	s_cbranch_execz .LBB12_26
; %bb.25:
	flat_load_b64 v[22:23], v[8:9] offset:648
	v_or_b32_e32 v126, 0x2000, v126
	s_wait_loadcnt_dscnt 0x0
	flat_load_b64 v[16:17], v[22:23]
	s_trap 2
	scratch_store_b64 off, v[22:23], s33 offset:496 ; 8-byte Folded Spill
	s_wait_loadcnt_dscnt 0x0
	ds_store_b64 v0, v[16:17]
	flat_load_b64 v[16:17], v[22:23] offset:8
	s_wait_loadcnt_dscnt 0x0
	ds_store_b64 v0, v[16:17]
	flat_load_b64 v[16:17], v[22:23] offset:16
	s_wait_loadcnt_dscnt 0x0
	ds_store_b64 v0, v[16:17]
.LBB12_26:
	s_wait_xcnt 0x0
	s_or_b32 exec_lo, exec_lo, s1
	flat_load_b64 v[16:17], v[8:9] offset:608
	v_and_b32_e32 v7, 32, v126
	s_mov_b32 s1, exec_lo
                                        ; implicit-def: $vgpr40_vgpr41
	s_wait_loadcnt_dscnt 0x0
	v_add_nc_u64_e32 v[116:117], 3, v[16:17]
	s_delay_alu instid0(VALU_DEP_1)
	v_and_b32_e32 v116, -4, v116
	s_wait_xcnt 0x0
	v_cmpx_ne_u32_e32 0, v7
	s_cbranch_execz .LBB12_28
; %bb.27:
	flat_load_b64 v[40:41], v[8:9] offset:560
	global_wb scope:SCOPE_SYS
	s_wait_storecnt 0x0
	s_wait_xcnt 0x0
	s_wait_loadcnt_dscnt 0x0
	flat_store_b64 v[40:41], v[116:117] scope:SCOPE_SYS
.LBB12_28:
	s_wait_xcnt 0x0
	s_or_b32 exec_lo, exec_lo, s1
	v_mov_b64_e32 v[22:23], 0
	v_add_nc_u64_e32 v[16:17], 0x1f8, v[8:9]
	v_and_b32_e32 v7, 4, v126
	s_mov_b32 s1, exec_lo
                                        ; implicit-def: $vgpr58_vgpr59
	s_clause 0x1
	scratch_store_b128 off, v[22:25], s33 offset:288
	; meta instruction
	scratch_store_b64 off, v[22:23], s33 offset:312
                                        ; implicit-def: $vgpr22_vgpr23
                                        ; kill: killed $vgpr22_vgpr23
	s_wait_xcnt 0x0
	v_cmpx_ne_u32_e32 0, v7
	s_cbranch_execz .LBB12_32
; %bb.29:
	v_and_b32_e32 v7, 0x800, v126
	s_mov_b32 s2, exec_lo
	s_delay_alu instid0(VALU_DEP_1)
	v_cmpx_eq_u32_e32 0, v7
	s_cbranch_execz .LBB12_31
; %bb.30:
	s_trap 2
	ds_store_b64 v0, v[16:17]
.LBB12_31:
	s_or_b32 exec_lo, exec_lo, s2
	flat_load_b64 v[40:41], v[8:9] offset:552
                                        ; kill: killed $vgpr8_vgpr9
	s_wait_loadcnt_dscnt 0x0
	flat_load_b64 v[58:59], v[40:41] scope:SCOPE_SYS
	s_clause 0x2
	flat_load_b32 v7, v[8:9] offset:576
	flat_load_b64 v[24:25], v[8:9] offset:600
	flat_load_b64 v[22:23], v[8:9] offset:520
	s_wait_xcnt 0x0
	v_or_b32_e32 v8, 0x100, v126
	s_wait_loadcnt_dscnt 0x101
	v_cmp_eq_u64_e32 vcc_lo, 0, v[24:25]
	s_wait_loadcnt_dscnt 0x0
	scratch_store_b64 off, v[22:23], s33 offset:280 ; 8-byte Folded Spill
	s_wait_xcnt 0x0
	v_dual_ashrrev_i32 v22, 1, v7 :: v_dual_cndmask_b32 v126, v8, v126, vcc_lo
	scratch_store_b64 off, v[22:23], s33 offset:312 ; 8-byte Folded Spill
	s_wait_xcnt 0x0
	v_mov_b64_e32 v[22:23], v[24:25]
	scratch_store_b128 off, v[22:25], s33 offset:288 ; 16-byte Folded Spill
.LBB12_32:
	s_wait_xcnt 0x0
	s_or_b32 exec_lo, exec_lo, s1
.LBB12_33:
	s_delay_alu instid0(SALU_CYCLE_1) | instskip(SKIP_2) | instid1(VALU_DEP_1)
	s_or_b32 exec_lo, exec_lo, s0
	v_and_b32_e32 v7, 24, v126
	s_mov_b32 s0, exec_lo
                                        ; implicit-def: $vgpr8_vgpr9
                                        ; kill: killed $vgpr8_vgpr9
	v_cmpx_ne_u32_e32 0, v7
	s_cbranch_execz .LBB12_41
; %bb.34:
	s_trap 2
	ds_load_b64 v[8:9], v0
	s_mov_b32 s1, exec_lo
	s_wait_dscnt 0x0
	v_readfirstlane_b32 s2, v8
	v_readfirstlane_b32 s3, v9
	flat_load_b64 v[8:9], v5, s[2:3] scale_offset
	s_wait_xcnt 0x0
	v_or_b32_e32 v5, 0x100, v126
	s_wait_loadcnt_dscnt 0x0
	v_mad_nc_u64_u32 v[16:17], 0xa8, v6, v[8:9]
	flat_load_b128 v[6:9], v[16:17] offset:96
	s_wait_loadcnt_dscnt 0x0
	v_cmp_eq_u64_e32 vcc_lo, 0, v[6:7]
	scratch_store_b128 off, v[6:9], s33 offset:288 ; 16-byte Folded Spill
                                        ; implicit-def: $vgpr6_vgpr7
                                        ; kill: killed $vgpr6_vgpr7
	v_cndmask_b32_e32 v126, v5, v126, vcc_lo
	s_delay_alu instid0(VALU_DEP_1) | instskip(SKIP_1) | instid1(VALU_DEP_1)
	v_and_b32_e32 v5, 16, v126
	s_wait_xcnt 0x0
	v_cmpx_ne_u32_e32 0, v5
	s_cbranch_execz .LBB12_36
; %bb.35:
	s_clause 0x1
	flat_load_b64 v[40:41], v[16:17] offset:48
	flat_load_b64 v[6:7], v[16:17] offset:120
	s_wait_loadcnt_dscnt 0x0
	scratch_store_b64 off, v[6:7], s33 offset:304 ; 8-byte Folded Spill
	flat_load_b64 v[6:7], v[16:17] offset:16
	s_wait_loadcnt_dscnt 0x0
	scratch_store_b64 off, v[6:7], s33 offset:280 ; 8-byte Folded Spill
.LBB12_36:
	s_wait_xcnt 0x0
	s_or_b32 exec_lo, exec_lo, s1
	scratch_load_b128 v[6:9], off, s33 offset:288 ; 16-byte Folded Reload
	v_and_b32_e32 v5, 8, v126
	s_mov_b32 s1, exec_lo
	s_wait_loadcnt 0x0
	v_add_nc_u64_e32 v[116:117], 3, v[8:9]
	s_delay_alu instid0(VALU_DEP_1)
	v_and_b32_e32 v116, -4, v116
	s_wait_xcnt 0x0
	v_cmpx_ne_u32_e32 0, v5
	s_cbranch_execz .LBB12_40
; %bb.37:
	v_and_b32_e32 v5, 0x800, v126
	s_mov_b32 s2, exec_lo
	s_delay_alu instid0(VALU_DEP_1)
	v_cmpx_eq_u32_e32 0, v5
	s_cbranch_execz .LBB12_39
; %bb.38:
	s_trap 2
	ds_store_b64 v0, v[16:17]
.LBB12_39:
	s_or_b32 exec_lo, exec_lo, s2
	flat_load_b64 v[40:41], v[16:17] offset:56
	s_wait_loadcnt_dscnt 0x0
	flat_load_b64 v[58:59], v[40:41] scope:SCOPE_SYS
	s_clause 0x1
	flat_load_b32 v5, v[16:17] offset:72
	flat_load_b64 v[6:7], v[16:17] offset:16
	s_wait_loadcnt_dscnt 0x0
	scratch_store_b64 off, v[6:7], s33 offset:280 ; 8-byte Folded Spill
	s_wait_xcnt 0x0
	v_ashrrev_i32_e32 v6, 1, v5
	scratch_store_b64 off, v[6:7], s33 offset:312 ; 8-byte Folded Spill
.LBB12_40:
	s_wait_xcnt 0x0
	s_or_b32 exec_lo, exec_lo, s1
.LBB12_41:
	s_delay_alu instid0(SALU_CYCLE_1)
	s_or_b32 exec_lo, exec_lo, s0
	s_wait_dscnt 0x0
	scratch_load_b32 v5, off, s33 offset:356 ; 4-byte Folded Reload
	s_wait_loadcnt 0x0
	v_cmp_eq_u32_e64 s0, 0, v5
	s_wait_xcnt 0x0
	s_and_saveexec_b32 s1, s0
	s_cbranch_execz .LBB12_43
; %bb.42:
	flat_load_b64 v[6:7], v[2:3] offset:32
	v_dual_mov_b32 v8, v12 :: v_dual_mov_b32 v9, v13
	ds_store_2addr_b64 v0, v[8:9], v[10:11] offset1:1
	s_trap 2
	s_wait_loadcnt_dscnt 0x1
	ds_store_b64 v0, v[6:7]
	ds_store_b64 v0, v[14:15]
.LBB12_43:
	s_wait_xcnt 0x0
	s_or_b32 exec_lo, exec_lo, s1
	v_mov_b64_e32 v[56:57], 0
	v_and_b32_e32 v8, 0xffff, v1
	s_mov_b32 s43, exec_lo
	v_cmpx_lt_i64_e32 0, v[20:21]
	s_cbranch_execnz .LBB12_44
; %bb.6670:
	s_add_pc_i64 .LBB12_6631-.Lpost_addpc6
.Lpost_addpc6:
.LBB12_44:
	s_clause 0x1
	scratch_load_b64 v[6:7], off, s33 offset:312
	scratch_load_b32 v5, off, s33 offset:356
	flat_load_b32 v1, v[2:3] offset:4
	s_wait_xcnt 0x0
	v_and_b32_e32 v2, 0x1fffff00, v4
	v_dual_mov_b32 v3, 0 :: v_dual_bitop2_b32 v4, 31, v31 bitop3:0x40
	s_ashr_i32 s17, s16, 31
	s_clause 0x1
	scratch_store_b64 off, v[16:17], s33 offset:484
	scratch_store_b32 off, v8, s33 offset:492
	v_cmp_ne_u32_e64 s3, v18, v8
	v_mul_u64_e32 v[10:11], s[16:17], v[2:3]
	s_ashr_i32 s7, s6, 31
	s_add_co_i32 s44, s16, s16
	s_lshr_b32 s7, s7, 29
	s_not_b32 s12, s16
	s_add_co_i32 s13, s6, s7
	v_cmp_eq_u32_e64 s6, 0, v4
	s_ashr_i32 s14, s13, 4
	s_cmp_gt_i32 s16, 0
	v_mov_b64_e32 v[56:57], 0
	s_cselect_b32 s12, s12, -1
	s_ashr_i32 s13, s13, 31
	s_add_co_i32 s24, s12, s44
	s_lshr_b32 s13, s13, 28
	s_ashr_i32 s25, s24, 31
	s_add_co_i32 s14, s14, s13
	v_cmp_eq_u32_e64 s1, 32, v18
	s_ashr_i32 s45, s14, 4
	s_cmp_gt_i32 s16, 2
	v_cmp_ne_u32_e64 s2, 32, v18
	s_cselect_b32 s46, -1, 0
	s_add_co_i32 s13, s16, 1
	s_add_co_i32 s47, s33, 0xf0
	;; [unrolled: 1-line block ×7, first 2 shown]
	s_mov_b32 s19, 0
	s_mov_b64 s[20:21], 0xffffffff
	s_add_nc_u64 s[22:23], s[16:17], -1
	s_mov_b32 s73, 0
	s_clause 0x1
	scratch_store_b32 off, v18, s33 offset:480
	scratch_store_b64 off, v[2:3], s33 offset:380
	s_wait_loadcnt 0x2
	s_wait_xcnt 0x3
	v_dual_mov_b32 v17, v3 :: v_dual_ashrrev_i32 v7, 31, v6
	s_clause 0x2
	scratch_store_b64 off, v[6:7], s33 offset:312
	scratch_store_b32 off, v31, s33 offset:476
	scratch_load_b64 v[6:7], off, s33 offset:304
	s_wait_loadcnt 0x2
	v_dual_lshrrev_b32 v60, 5, v18 :: v_dual_bitop2_b32 v8, 31, v5 bitop3:0x40
	v_cmp_ge_u32_e32 vcc_lo, v5, v18
	v_dual_lshrrev_b32 v5, 5, v5 :: v_dual_mov_b32 v61, v3
	s_delay_alu instid0(VALU_DEP_3) | instskip(NEXT) | instid1(VALU_DEP_4)
	v_lshlrev_b32_e32 v4, 4, v8
	v_lshl_add_u32 v88, v60, 10, 0xfffffc00
	v_cmp_eq_u32_e64 s7, 0, v8
	v_cmp_lt_u32_e64 s10, v8, v0
	v_dual_mov_b32 v9, v3 :: v_dual_lshlrev_b32 v14, 9, v60
	v_lshlrev_b32_e32 v15, 6, v60
	v_cmp_le_u32_e64 s11, v8, v0
	v_lshl_or_b32 v16, v5, 11, v4
	s_clause 0x1
	scratch_store_b32 off, v8, s33 offset:328
	scratch_store_b32 off, v5, s33 offset:360
	s_wait_xcnt 0x1
	v_lshl_or_b32 v8, v5, 12, v4
	s_wait_loadcnt_dscnt 0x100
	v_dual_ashrrev_i32 v89, 31, v88 :: v_dual_bitop2_b32 v0, 1, v1 bitop3:0x40
	v_lshl_add_u32 v12, v60, 12, 0xfffff000
	v_lshl_add_u32 v92, v60, 11, 0xfffff800
	s_clause 0x1
	scratch_store_b64 off, v[8:9], s33 offset:364
	scratch_store_b64 off, v[16:17], s33 offset:348
	s_wait_xcnt 0x1
	v_add_nc_u32_e32 v8, 0xfffffe00, v14
	v_cmp_eq_u32_e64 s12, 1, v0
	v_dual_ashrrev_i32 v13, 31, v12 :: v_dual_mov_b32 v111, v15
	v_subrev_nc_u32_e32 v104, 64, v15
	s_delay_alu instid0(VALU_DEP_4)
	v_ashrrev_i32_e32 v9, 31, v8
	s_xor_b32 s61, s12, -1
	s_cmp_ge_i32 s13, s16
	v_add_nc_u64_e32 v[4:5], 0x1000, v[12:13]
	v_add_nc_u64_e32 v[108:109], 0x400, v[88:89]
	;; [unrolled: 1-line block ×3, first 2 shown]
	s_cselect_b32 s14, s16, 0
	v_ashrrev_i32_e32 v93, 31, v92
	v_ashrrev_i32_e32 v105, 31, v104
	s_sub_co_i32 s28, s13, s14
	s_add_co_i32 s62, s16, -2
	s_xor_b32 s63, vcc_lo, -1
	s_ashr_i32 s26, s17, 31
	s_sub_co_i32 s72, 0, s16
	s_ashr_i32 s29, s28, 31
	s_clause 0x3
	scratch_store_b64 off, v[8:9], s33 offset:256
	scratch_store_b64 off, v[12:13], s33 offset:320
	;; [unrolled: 1-line block ×4, first 2 shown]
	s_trap 2
	s_clause 0x1
	scratch_store_b64 off, v[10:11], s33 offset:468
	scratch_store_b128 off, v[20:23], s33 offset:452
	s_wait_loadcnt 0x0
	v_cmp_eq_u64_e64 s4, 0, v[6:7]
	v_cmp_ne_u64_e64 s5, 0, v[6:7]
	v_mov_b64_e32 v[6:7], 0
	s_branch .LBB12_47
.LBB12_45:                              ;   in Loop: Header=BB12_47 Depth=1
	s_or_b32 exec_lo, exec_lo, s15
.LBB12_46:                              ;   in Loop: Header=BB12_47 Depth=1
	s_delay_alu instid0(SALU_CYCLE_1)
	s_or_b32 exec_lo, exec_lo, s14
	s_clause 0x2
	scratch_load_b64 v[6:7], off, s33 offset:424 th:TH_LOAD_LU
	scratch_load_b64 v[10:11], off, s33 offset:468
	scratch_load_b128 v[20:23], off, s33 offset:452
	s_wait_loadcnt 0x1
	v_add_nc_u64_e32 v[6:7], v[6:7], v[10:11]
	s_wait_loadcnt 0x0
	s_delay_alu instid0(VALU_DEP_1)
	v_cmp_ge_i64_e32 vcc_lo, v[6:7], v[20:21]
	s_or_b32 s73, vcc_lo, s73
	s_wait_xcnt 0x0
	s_and_not1_b32 exec_lo, exec_lo, s73
	s_cbranch_execnz .LBB12_47
; %bb.6672:
	s_add_pc_i64 .LBB12_6630-.Lpost_addpc7
.Lpost_addpc7:
.LBB12_47:                              ; =>This Loop Header: Depth=1
                                        ;     Child Loop BB12_57 Depth 2
                                        ;       Child Loop BB12_65 Depth 3
                                        ;       Child Loop BB12_89 Depth 3
	;; [unrolled: 1-line block ×9, first 2 shown]
                                        ;     Child Loop BB12_1298 Depth 2
                                        ;       Child Loop BB12_1304 Depth 3
                                        ;       Child Loop BB12_1328 Depth 3
                                        ;       Child Loop BB12_1353 Depth 3
                                        ;     Child Loop BB12_1372 Depth 2
                                        ;       Child Loop BB12_1375 Depth 3
                                        ;         Child Loop BB12_1383 Depth 4
                                        ;         Child Loop BB12_1411 Depth 4
	;; [unrolled: 1-line block ×5, first 2 shown]
                                        ;           Child Loop BB12_2240 Depth 5
                                        ;           Child Loop BB12_2309 Depth 5
                                        ;         Child Loop BB12_2450 Depth 4
                                        ;         Child Loop BB12_2845 Depth 4
                                        ;           Child Loop BB12_2846 Depth 5
                                        ;           Child Loop BB12_2859 Depth 5
                                        ;         Child Loop BB12_2886 Depth 4
                                        ;         Child Loop BB12_2905 Depth 4
                                        ;       Child Loop BB12_2924 Depth 3
                                        ;         Child Loop BB12_2930 Depth 4
                                        ;         Child Loop BB12_2958 Depth 4
	;; [unrolled: 1-line block ×3, first 2 shown]
                                        ;     Child Loop BB12_2999 Depth 2
                                        ;       Child Loop BB12_3007 Depth 3
                                        ;       Child Loop BB12_3035 Depth 3
	;; [unrolled: 1-line block ×5, first 2 shown]
                                        ;         Child Loop BB12_3862 Depth 4
                                        ;         Child Loop BB12_3929 Depth 4
	;; [unrolled: 1-line block ×4, first 2 shown]
                                        ;       Child Loop BB12_4069 Depth 3
                                        ;       Child Loop BB12_4077 Depth 3
	;; [unrolled: 1-line block ×3, first 2 shown]
                                        ;         Child Loop BB12_4475 Depth 4
                                        ;         Child Loop BB12_4486 Depth 4
	;; [unrolled: 1-line block ×4, first 2 shown]
                                        ;       Child Loop BB12_4513 Depth 3
                                        ;       Child Loop BB12_4525 Depth 3
	;; [unrolled: 1-line block ×3, first 2 shown]
                                        ;         Child Loop BB12_5308 Depth 4
                                        ;         Child Loop BB12_5377 Depth 4
                                        ;       Child Loop BB12_5518 Depth 3
                                        ;       Child Loop BB12_5913 Depth 3
                                        ;         Child Loop BB12_5914 Depth 4
                                        ;         Child Loop BB12_5927 Depth 4
                                        ;       Child Loop BB12_5954 Depth 3
                                        ;       Child Loop BB12_5977 Depth 3
                                        ;     Child Loop BB12_5996 Depth 2
                                        ;       Child Loop BB12_6002 Depth 3
                                        ;       Child Loop BB12_6030 Depth 3
	;; [unrolled: 1-line block ×3, first 2 shown]
                                        ;     Child Loop BB12_6071 Depth 2
                                        ;       Child Loop BB12_6074 Depth 3
                                        ;         Child Loop BB12_6082 Depth 4
                                        ;         Child Loop BB12_6110 Depth 4
                                        ;         Child Loop BB12_6129 Depth 4
                                        ;         Child Loop BB12_6152 Depth 4
                                        ;         Child Loop BB12_6170 Depth 4
                                        ;           Child Loop BB12_6172 Depth 5
                                        ;           Child Loop BB12_6177 Depth 5
                                        ;         Child Loop BB12_6183 Depth 4
                                        ;         Child Loop BB12_6191 Depth 4
	;; [unrolled: 1-line block ×3, first 2 shown]
                                        ;           Child Loop BB12_6203 Depth 5
                                        ;           Child Loop BB12_6208 Depth 5
                                        ;         Child Loop BB12_6212 Depth 4
                                        ;         Child Loop BB12_6224 Depth 4
	;; [unrolled: 1-line block ×7, first 2 shown]
                                        ;       Child Loop BB12_6317 Depth 3
                                        ;         Child Loop BB12_6323 Depth 4
                                        ;         Child Loop BB12_6351 Depth 4
	;; [unrolled: 1-line block ×3, first 2 shown]
                                        ;     Child Loop BB12_6395 Depth 2
                                        ;       Child Loop BB12_6403 Depth 3
                                        ;       Child Loop BB12_6427 Depth 3
	;; [unrolled: 1-line block ×9, first 2 shown]
                                        ;     Child Loop BB12_6564 Depth 2
                                        ;       Child Loop BB12_6570 Depth 3
                                        ;       Child Loop BB12_6594 Depth 3
	;; [unrolled: 1-line block ×3, first 2 shown]
	s_wait_xcnt 0x2
	s_delay_alu instid0(VALU_DEP_1)
	v_sub_nc_u64_e32 v[0:1], v[20:21], v[6:7]
	s_mov_b32 s40, exec_lo
	s_clause 0x1
	scratch_store_b64 off, v[6:7], s33 offset:424
	scratch_store_b64 off, v[0:1], s33 offset:372
	s_wait_xcnt 0x0
	v_cmpx_lt_i64_e64 v[0:1], v[10:11]
	s_cbranch_execz .LBB12_53
; %bb.48:                               ;   in Loop: Header=BB12_47 Depth=1
	scratch_load_b64 v[0:1], off, s33 offset:372 ; 8-byte Folded Reload
                                        ; implicit-def: $vgpr8_vgpr9
	s_mov_b32 s13, exec_lo
	s_wait_loadcnt 0x0
	v_add_nc_u64_e32 v[4:5], s[22:23], v[0:1]
	s_delay_alu instid0(VALU_DEP_1) | instskip(SKIP_1) | instid1(VALU_DEP_1)
	v_dual_mov_b32 v0, v3 :: v_dual_bitop2_b32 v1, s17, v5 bitop3:0x54
	s_wait_xcnt 0x0
	v_cmpx_ne_u64_e32 0, v[0:1]
	s_xor_b32 s41, exec_lo, s13
	s_cbranch_execz .LBB12_50
; %bb.49:                               ;   in Loop: Header=BB12_47 Depth=1
	s_mov_b32 s27, s26
	v_dual_mov_b32 v9, v3 :: v_dual_ashrrev_i32 v0, 31, v5
	s_add_nc_u64 s[14:15], s[16:17], s[26:27]
	v_mov_b32_e32 v13, v3
	s_xor_b64 s[14:15], s[14:15], s[26:27]
	s_delay_alu instid0(VALU_DEP_2) | instskip(SKIP_3) | instid1(VALU_DEP_1)
	v_mov_b32_e32 v1, v0
	s_cvt_f32_u32 s13, s14
	s_cvt_f32_u32 s18, s15
	s_sub_nc_u64 s[76:77], 0, s[14:15]
	v_add_nc_u64_e32 v[4:5], v[4:5], v[0:1]
	s_delay_alu instid0(SALU_CYCLE_1) | instskip(NEXT) | instid1(SALU_CYCLE_3)
	s_fmamk_f32 s13, s18, 0x4f800000, s13
	v_s_rcp_f32 s13, s13
	s_delay_alu instid0(VALU_DEP_1) | instskip(NEXT) | instid1(VALU_DEP_2)
	v_xor_b32_e32 v2, v4, v0
	v_xor_b32_e32 v8, v5, v0
	;; [unrolled: 1-line block ×3, first 2 shown]
	s_delay_alu instid0(TRANS32_DEP_1) | instskip(NEXT) | instid1(SALU_CYCLE_3)
	s_mul_f32 s13, s13, 0x5f7ffffc
	s_mul_f32 s18, s13, 0x2f800000
	s_delay_alu instid0(SALU_CYCLE_3) | instskip(NEXT) | instid1(SALU_CYCLE_3)
	s_trunc_f32 s18, s18
	s_fmamk_f32 s13, s18, 0xcf800000, s13
	s_cvt_u32_f32 s75, s18
	s_delay_alu instid0(SALU_CYCLE_2) | instskip(NEXT) | instid1(SALU_CYCLE_3)
	s_cvt_u32_f32 s74, s13
	s_mul_u64 s[78:79], s[76:77], s[74:75]
	s_delay_alu instid0(SALU_CYCLE_1)
	s_mul_hi_u32 s89, s74, s79
	s_mul_i32 s88, s74, s79
	s_mul_hi_u32 s18, s74, s78
	s_mul_i32 s27, s75, s78
	s_add_nc_u64 s[88:89], s[18:19], s[88:89]
	s_mul_hi_u32 s13, s75, s78
	s_mul_hi_u32 s90, s75, s79
	s_add_co_u32 s18, s88, s27
	s_add_co_ci_u32 s18, s89, s13
	s_mul_i32 s78, s75, s79
	s_add_co_ci_u32 s79, s90, 0
	s_delay_alu instid0(SALU_CYCLE_1) | instskip(NEXT) | instid1(SALU_CYCLE_1)
	s_add_nc_u64 s[78:79], s[18:19], s[78:79]
	s_add_co_u32 s74, s74, s78
	s_cselect_b32 s13, -1, 0
	s_delay_alu instid0(SALU_CYCLE_1) | instskip(SKIP_1) | instid1(SALU_CYCLE_1)
	s_cmp_lg_u32 s13, 0
	s_add_co_ci_u32 s75, s75, s79
	s_mul_u64 s[76:77], s[76:77], s[74:75]
	s_delay_alu instid0(SALU_CYCLE_1)
	s_mul_hi_u32 s79, s74, s77
	s_mul_i32 s78, s74, s77
	s_mul_hi_u32 s18, s74, s76
	s_mul_i32 s27, s75, s76
	s_add_nc_u64 s[78:79], s[18:19], s[78:79]
	s_mul_hi_u32 s13, s75, s76
	s_mul_hi_u32 s88, s75, s77
	s_add_co_u32 s18, s78, s27
	s_add_co_ci_u32 s18, s79, s13
	s_mul_i32 s76, s75, s77
	s_add_co_ci_u32 s77, s88, 0
	s_delay_alu instid0(SALU_CYCLE_1) | instskip(NEXT) | instid1(SALU_CYCLE_1)
	s_add_nc_u64 s[76:77], s[18:19], s[76:77]
	s_add_co_u32 s74, s74, s76
	s_cselect_b32 s13, -1, 0
	v_mul_hi_u32 v12, v2, s74
	s_cmp_lg_u32 s13, 0
	s_add_co_ci_u32 s18, s75, s77
	s_and_b64 s[76:77], s[74:75], s[20:21]
	v_mul_u64_e32 v[6:7], s[18:19], v[2:3]
	v_mul_u64_e32 v[4:5], s[76:77], v[8:9]
	;; [unrolled: 1-line block ×3, first 2 shown]
	s_delay_alu instid0(VALU_DEP_3) | instskip(NEXT) | instid1(VALU_DEP_1)
	v_add_nc_u64_e32 v[6:7], v[12:13], v[6:7]
	v_add_co_u32 v1, vcc_lo, v6, v4
	s_delay_alu instid0(VALU_DEP_2) | instskip(NEXT) | instid1(VALU_DEP_4)
	v_add_co_ci_u32_e32 v12, vcc_lo, v7, v5, vcc_lo
	v_add_co_ci_u32_e32 v11, vcc_lo, 0, v11, vcc_lo
	s_delay_alu instid0(VALU_DEP_1) | instskip(NEXT) | instid1(VALU_DEP_1)
	v_add_nc_u64_e32 v[4:5], v[12:13], v[10:11]
	v_mul_u64_e32 v[6:7], s[14:15], v[4:5]
	s_delay_alu instid0(VALU_DEP_1) | instskip(NEXT) | instid1(VALU_DEP_2)
	v_sub_nc_u32_e32 v1, v8, v7
	v_sub_co_u32 v2, vcc_lo, v2, v6
	s_delay_alu instid0(VALU_DEP_1) | instskip(NEXT) | instid1(VALU_DEP_3)
	v_sub_co_ci_u32_e64 v10, null, v8, v7, vcc_lo
	v_subrev_co_ci_u32_e64 v1, null, s15, v1, vcc_lo
	s_delay_alu instid0(VALU_DEP_3) | instskip(SKIP_1) | instid1(VALU_DEP_3)
	v_sub_co_u32 v6, s13, v2, s14
	v_add_nc_u64_e32 v[8:9], 1, v[4:5]
	v_subrev_co_ci_u32_e64 v1, null, 0, v1, s13
	s_delay_alu instid0(VALU_DEP_3) | instskip(SKIP_1) | instid1(VALU_DEP_3)
	v_cmp_le_u32_e32 vcc_lo, s14, v6
	v_cndmask_b32_e64 v6, 0, -1, vcc_lo
	v_cmp_le_u32_e32 vcc_lo, s15, v1
	v_cndmask_b32_e64 v7, 0, -1, vcc_lo
	;; [unrolled: 2-line block ×4, first 2 shown]
	v_cmp_eq_u32_e32 vcc_lo, s15, v1
	v_cndmask_b32_e32 v1, v7, v6, vcc_lo
	v_cmp_eq_u32_e32 vcc_lo, s15, v10
	v_add_nc_u64_e32 v[6:7], 2, v[4:5]
	v_cndmask_b32_e32 v2, v11, v2, vcc_lo
	s_delay_alu instid0(VALU_DEP_4) | instskip(NEXT) | instid1(VALU_DEP_2)
	v_cmp_ne_u32_e32 vcc_lo, 0, v1
	v_cmp_ne_u32_e64 s13, 0, v2
	s_delay_alu instid0(VALU_DEP_4) | instskip(NEXT) | instid1(VALU_DEP_1)
	v_dual_cndmask_b32 v1, v9, v7 :: v_dual_cndmask_b32 v2, v8, v6
	v_dual_cndmask_b32 v5, v5, v1, s13 :: v_dual_cndmask_b32 v2, v4, v2, s13
	s_delay_alu instid0(VALU_DEP_1) | instskip(NEXT) | instid1(VALU_DEP_2)
	v_dual_mov_b32 v1, v0 :: v_dual_bitop2_b32 v5, v5, v0 bitop3:0x14
	v_xor_b32_e32 v4, v2, v0
	s_delay_alu instid0(VALU_DEP_1)
	v_sub_nc_u64_e32 v[8:9], v[4:5], v[0:1]
                                        ; implicit-def: $vgpr4_vgpr5
.LBB12_50:                              ;   in Loop: Header=BB12_47 Depth=1
	s_and_not1_saveexec_b32 s13, s41
	s_cbranch_execz .LBB12_52
; %bb.51:                               ;   in Loop: Header=BB12_47 Depth=1
	v_cvt_f32_u32_e32 v0, s16
	s_delay_alu instid0(VALU_DEP_1) | instskip(SKIP_1) | instid1(TRANS32_DEP_1)
	v_rcp_iflag_f32_e32 v0, v0
	v_nop
	v_mul_f32_e32 v0, 0x4f7ffffe, v0
	s_delay_alu instid0(VALU_DEP_1) | instskip(NEXT) | instid1(VALU_DEP_1)
	v_cvt_u32_f32_e32 v0, v0
	v_mul_lo_u32 v1, s72, v0
	s_delay_alu instid0(VALU_DEP_1) | instskip(NEXT) | instid1(VALU_DEP_1)
	v_mul_hi_u32 v1, v0, v1
	v_add_nc_u32_e32 v0, v0, v1
	s_delay_alu instid0(VALU_DEP_1) | instskip(NEXT) | instid1(VALU_DEP_1)
	v_mul_hi_u32 v0, v4, v0
	v_mul_lo_u32 v1, v0, s16
	s_delay_alu instid0(VALU_DEP_1) | instskip(NEXT) | instid1(VALU_DEP_1)
	v_dual_add_nc_u32 v2, 1, v0 :: v_dual_sub_nc_u32 v1, v4, v1
	v_subrev_nc_u32_e32 v4, s16, v1
	v_cmp_le_u32_e32 vcc_lo, s16, v1
	s_delay_alu instid0(VALU_DEP_2) | instskip(NEXT) | instid1(VALU_DEP_1)
	v_dual_cndmask_b32 v1, v1, v4 :: v_dual_cndmask_b32 v0, v0, v2
	v_cmp_le_u32_e32 vcc_lo, s16, v1
	s_delay_alu instid0(VALU_DEP_2) | instskip(NEXT) | instid1(VALU_DEP_1)
	v_add_nc_u32_e32 v2, 1, v0
	v_cndmask_b32_e32 v2, v0, v2, vcc_lo
	s_delay_alu instid0(VALU_DEP_1)
	v_mov_b64_e32 v[8:9], v[2:3]
.LBB12_52:                              ;   in Loop: Header=BB12_47 Depth=1
	s_or_b32 exec_lo, exec_lo, s13
	s_delay_alu instid0(VALU_DEP_1) | instskip(NEXT) | instid1(VALU_DEP_1)
	v_add_nc_u64_e32 v[0:1], 7, v[8:9]
	v_and_b32_e32 v0, -8, v0
	scratch_store_b64 off, v[0:1], s33 offset:380 ; 8-byte Folded Spill
.LBB12_53:                              ;   in Loop: Header=BB12_47 Depth=1
	s_wait_xcnt 0x0
	s_or_b32 exec_lo, exec_lo, s40
	s_clause 0x3
	scratch_load_b64 v[4:5], off, s33 offset:380
	scratch_load_b64 v[0:1], off, s33 offset:372
	;; [unrolled: 1-line block ×4, first 2 shown]
	v_mov_b32_e32 v112, 0
	s_wait_loadcnt 0x3
	v_mul_u64_e32 v[114:115], s[24:25], v[4:5]
	s_wait_loadcnt 0x0
	v_add_nc_u64_e32 v[6:7], v[8:9], v[6:7]
	scratch_store_b64 off, v[6:7], s33 offset:332 ; 8-byte Folded Spill
	v_sub_nc_u64_e32 v[0:1], v[0:1], v[114:115]
	s_delay_alu instid0(VALU_DEP_1) | instskip(NEXT) | instid1(VALU_DEP_1)
	v_min_i64 v[4:5], v[4:5], v[0:1]
	v_max_i32_e32 v100, 0, v4
	v_cmp_lt_i32_e32 vcc_lo, 0, v4
	s_delay_alu instid0(VALU_DEP_2) | instskip(SKIP_1) | instid1(VALU_DEP_1)
	v_add_nc_u32_e32 v0, 31, v100
	s_and_b32 s13, s63, vcc_lo
	v_lshrrev_b32_e32 v0, 1, v0
	s_delay_alu instid0(VALU_DEP_1) | instskip(NEXT) | instid1(VALU_DEP_1)
	v_and_b32_e32 v1, 0x3ffffff0, v0
	v_dual_mov_b32 v0, 0 :: v_dual_max_i32 v102, s45, v1
	s_wait_xcnt 0x0
	s_and_saveexec_b32 s14, s13
	s_cbranch_execz .LBB12_1294
; %bb.54:                               ;   in Loop: Header=BB12_47 Depth=1
	v_mov_b32_e32 v112, 0
	s_mov_b32 s27, 1
	s_mov_b32 s18, -1
	s_mov_b32 s15, 0
	s_clause 0x1
	scratch_store_b32 off, v100, s33 offset:432
	scratch_store_b64 off, v[114:115], s33 offset:436
	s_branch .LBB12_57
.LBB12_55:                              ;   in Loop: Header=BB12_57 Depth=2
	s_wait_xcnt 0x0
	s_or_b32 exec_lo, exec_lo, s40
	v_add_nc_u64_e32 v[116:117], 2, v[116:117]
	global_wb scope:SCOPE_SYS
	s_wait_storecnt 0x0
	s_wait_loadcnt_dscnt 0x0
	flat_store_b64 v[40:41], v[116:117] scope:SCOPE_SYS
.LBB12_56:                              ;   in Loop: Header=BB12_57 Depth=2
	s_wait_xcnt 0x0
	s_or_b32 exec_lo, exec_lo, s13
	v_dual_add_nc_u32 v112, v102, v112 :: v_dual_mov_b32 v0, s27
	s_xor_b32 s13, s18, -1
	s_mov_b32 s18, 0
	s_mov_b32 s27, 2
	s_delay_alu instid0(VALU_DEP_1) | instskip(SKIP_1) | instid1(SALU_CYCLE_1)
	v_cmp_ge_i32_e32 vcc_lo, v112, v100
	s_or_b32 s13, s13, vcc_lo
	s_and_b32 s13, exec_lo, s13
	s_delay_alu instid0(SALU_CYCLE_1) | instskip(NEXT) | instid1(SALU_CYCLE_1)
	s_or_b32 s15, s13, s15
	s_and_not1_b32 exec_lo, exec_lo, s15
	s_cbranch_execz .LBB12_1293
.LBB12_57:                              ;   Parent Loop BB12_47 Depth=1
                                        ; =>  This Loop Header: Depth=2
                                        ;       Child Loop BB12_65 Depth 3
                                        ;       Child Loop BB12_89 Depth 3
	;; [unrolled: 1-line block ×9, first 2 shown]
	s_wait_xcnt 0x0
	s_and_saveexec_b32 s13, s0
	s_cbranch_execz .LBB12_59
; %bb.58:                               ;   in Loop: Header=BB12_57 Depth=2
	s_trap 2
	s_wait_loadcnt 0x1
	scratch_load_b64 v[4:5], off, s33 offset:332 ; 8-byte Folded Reload
	ds_load_b64 v[0:1], v0
	v_ashrrev_i32_e32 v113, 31, v112
	s_wait_loadcnt_dscnt 0x0
	v_lshl_add_u64 v[0:1], v[4:5], 1, v[0:1]
	s_delay_alu instid0(VALU_DEP_1) | instskip(NEXT) | instid1(VALU_DEP_1)
	v_lshl_add_u64 v[0:1], v[114:115], 1, v[0:1]
	v_lshl_add_u64 v[0:1], v[112:113], 1, v[0:1]
	ds_store_b64 v0, v[0:1]
	v_mov_b64_e32 v[0:1], 0
	ds_store_b64 v0, v[0:1]
.LBB12_59:                              ;   in Loop: Header=BB12_57 Depth=2
	s_wait_xcnt 0x0
	s_or_b32 exec_lo, exec_lo, s13
	v_dual_sub_nc_u32 v0, v100, v112 :: v_dual_bitop2_b32 v1, 8, v126 bitop3:0x40
	s_mov_b32 s40, exec_lo
	s_delay_alu instid0(VALU_DEP_1) | instskip(NEXT) | instid1(VALU_DEP_2)
	v_min_i32_e32 v102, v102, v0
	v_cmpx_ne_u32_e32 0, v1
	s_cbranch_execz .LBB12_81
; %bb.60:                               ;   in Loop: Header=BB12_57 Depth=2
	s_wait_dscnt 0x1
	v_add_nc_u64_e32 v[0:1], 8, v[58:59]
	s_wait_loadcnt 0x0
	v_add_nc_u64_e32 v[8:9], 2, v[116:117]
	s_mov_b32 s41, exec_lo
	s_delay_alu instid0(VALU_DEP_1)
	v_cmpx_lt_u64_e64 v[0:1], v[8:9]
	s_cbranch_execz .LBB12_72
; %bb.61:                               ;   in Loop: Header=BB12_57 Depth=2
	v_and_b32_e32 v0, 64, v126
	s_mov_b32 s74, 0
	s_mov_b32 s78, 0
                                        ; implicit-def: $sgpr75
                                        ; implicit-def: $sgpr76
                                        ; implicit-def: $sgpr77
	s_delay_alu instid0(VALU_DEP_1)
	v_cmp_eq_u32_e32 vcc_lo, 0, v0
	s_branch .LBB12_65
.LBB12_62:                              ;   in Loop: Header=BB12_65 Depth=3
	s_wait_loadcnt_dscnt 0x0
	v_add_nc_u64_e32 v[4:5], 8, v[58:59]
	s_or_b32 s89, s89, exec_lo
	s_delay_alu instid0(VALU_DEP_1)
	v_cmp_ge_u64_e64 s13, v[4:5], v[8:9]
	s_or_not1_b32 s88, s13, exec_lo
.LBB12_63:                              ;   in Loop: Header=BB12_65 Depth=3
	s_or_b32 exec_lo, exec_lo, s91
	s_delay_alu instid0(SALU_CYCLE_1)
	s_and_not1_b32 s13, s77, exec_lo
	s_and_b32 s77, s89, exec_lo
	s_and_not1_b32 s76, s76, exec_lo
	s_and_b32 s88, s88, exec_lo
	s_or_b32 s77, s13, s77
	s_or_b32 s76, s76, s88
.LBB12_64:                              ;   in Loop: Header=BB12_65 Depth=3
	s_or_b32 exec_lo, exec_lo, s79
	s_delay_alu instid0(SALU_CYCLE_1) | instskip(NEXT) | instid1(SALU_CYCLE_1)
	s_and_b32 s13, exec_lo, s76
	s_or_b32 s74, s13, s74
	s_and_not1_b32 s13, s75, exec_lo
	s_and_b32 s75, s77, exec_lo
	s_delay_alu instid0(SALU_CYCLE_1)
	s_or_b32 s75, s13, s75
	s_and_not1_b32 exec_lo, exec_lo, s74
	s_cbranch_execz .LBB12_69
.LBB12_65:                              ;   Parent Loop BB12_47 Depth=1
                                        ;     Parent Loop BB12_57 Depth=2
                                        ; =>    This Inner Loop Header: Depth=3
	s_sleep 1
	s_wait_loadcnt_dscnt 0x0
	flat_load_b64 v[58:59], v[40:41] scope:SCOPE_SYS
	s_or_b32 s77, s77, exec_lo
	s_or_b32 s76, s76, exec_lo
                                        ; implicit-def: $vgpr0
	s_wait_xcnt 0x0
	s_and_saveexec_b32 s79, vcc_lo
	s_cbranch_execz .LBB12_64
; %bb.66:                               ;   in Loop: Header=BB12_65 Depth=3
	s_cmp_lt_i32 s78, 0x270f
	s_mov_b32 s88, -1
	s_cselect_b32 s90, -1, 0
	s_cmp_gt_i32 s78, 0x270e
	s_cbranch_scc0 .LBB12_68
; %bb.67:                               ;   in Loop: Header=BB12_65 Depth=3
	s_trap 2
	ds_load_b64 v[0:1], v0
	s_and_not1_b32 s78, s90, exec_lo
	s_mov_b32 s89, 0
	s_wait_storecnt 0x0
	s_wait_loadcnt_dscnt 0x0
	flat_load_b32 v0, v[0:1] scope:SCOPE_SYS
	s_wait_loadcnt_dscnt 0x0
	global_inv scope:SCOPE_SYS
	v_cmp_eq_u32_e64 s13, 0, v0
	s_and_b32 s13, s13, exec_lo
	s_delay_alu instid0(SALU_CYCLE_1)
	s_or_b32 s90, s78, s13
	s_mov_b32 s78, 0
	s_wait_xcnt 0x0
	s_and_saveexec_b32 s91, s90
	s_cbranch_execz .LBB12_63
	s_branch .LBB12_62
.LBB12_68:                              ;   in Loop: Header=BB12_65 Depth=3
	s_add_co_i32 s78, s78, 1
	s_mov_b32 s89, -1
                                        ; implicit-def: $vgpr0
	s_and_saveexec_b32 s91, s90
	s_cbranch_execz .LBB12_63
	s_branch .LBB12_62
.LBB12_69:                              ;   in Loop: Header=BB12_57 Depth=2
	s_or_b32 exec_lo, exec_lo, s74
	s_xor_b32 s13, s75, -1
	s_delay_alu instid0(SALU_CYCLE_1) | instskip(NEXT) | instid1(SALU_CYCLE_1)
	s_and_saveexec_b32 s74, s13
	s_xor_b32 s13, exec_lo, s74
	s_cbranch_execz .LBB12_71
; %bb.70:                               ;   in Loop: Header=BB12_57 Depth=2
	v_or_b32_e32 v126, 64, v126
	s_wait_storecnt 0x0
	s_wait_loadcnt_dscnt 0x0
	ds_store_b32 v0, v0
	s_trap 2
.LBB12_71:                              ;   in Loop: Header=BB12_57 Depth=2
	s_or_b32 exec_lo, exec_lo, s13
.LBB12_72:                              ;   in Loop: Header=BB12_57 Depth=2
	s_delay_alu instid0(SALU_CYCLE_1)
	s_or_b32 exec_lo, exec_lo, s41
	v_and_b32_e32 v0, 0x100, v126
	v_and_b32_e32 v2, 7, v116
	s_mov_b32 s41, 0
	s_mov_b32 s13, exec_lo
	;;#ASMSTART
	s_wakeup
	;;#ASMEND
                                        ; implicit-def: $vgpr10_vgpr11
	v_cmpx_ne_u32_e32 0, v0
	s_xor_b32 s13, exec_lo, s13
	s_cbranch_execz .LBB12_93
; %bb.73:                               ;   in Loop: Header=BB12_57 Depth=2
	scratch_load_b128 v[4:7], off, s33 offset:288 ; 16-byte Folded Reload
	v_ashrrev_i32_e32 v103, 31, v102
	s_mov_b32 s41, -1
	s_mov_b32 s74, exec_lo
                                        ; implicit-def: $vgpr10_vgpr11
	s_delay_alu instid0(VALU_DEP_1)
	v_lshlrev_b64_e32 v[0:1], 1, v[102:103]
	s_wait_loadcnt 0x0
	v_mad_nc_u64_u32 v[12:13], v2, 24, v[4:5]
	s_clause 0x1
	flat_load_b32 v4, v[12:13]
	flat_store_b64 v[12:13], v[0:1] offset:8
	s_wait_loadcnt_dscnt 0x1
	s_wait_xcnt 0x0
	v_cmpx_eq_u32_e32 1, v4
	s_cbranch_execz .LBB12_75
; %bb.74:                               ;   in Loop: Header=BB12_57 Depth=2
	flat_load_b32 v0, v[12:13] offset:4 scope:SCOPE_SYS
	s_xor_b32 s41, exec_lo, -1
	s_wait_loadcnt_dscnt 0x0
	v_ashrrev_i32_e32 v1, 31, v0
	s_delay_alu instid0(VALU_DEP_1)
	v_lshrrev_b64 v[10:11], 1, v[0:1]
.LBB12_75:                              ;   in Loop: Header=BB12_57 Depth=2
	s_wait_xcnt 0x0
	s_or_b32 exec_lo, exec_lo, s74
	s_delay_alu instid0(SALU_CYCLE_1)
	s_and_b32 s41, s41, exec_lo
	s_and_not1_saveexec_b32 s13, s13
	s_cbranch_execnz .LBB12_94
.LBB12_76:                              ;   in Loop: Header=BB12_57 Depth=2
	s_or_b32 exec_lo, exec_lo, s13
	s_and_saveexec_b32 s13, s41
	s_cbranch_execz .LBB12_78
.LBB12_77:                              ;   in Loop: Header=BB12_57 Depth=2
	scratch_load_b64 v[0:1], off, s33 offset:312 ; 8-byte Folded Reload
	s_wait_loadcnt 0x0
	v_mul_u64_e32 v[10:11], v[2:3], v[0:1]
.LBB12_78:                              ;   in Loop: Header=BB12_57 Depth=2
	s_wait_xcnt 0x0
	s_or_b32 exec_lo, exec_lo, s13
	scratch_load_b64 v[0:1], off, s33 offset:280 ; 8-byte Folded Reload
	v_and_b32_e32 v2, 0x2000, v126
	s_mov_b32 s13, exec_lo
	s_wait_loadcnt 0x0
	v_lshl_add_u64 v[0:1], v[10:11], 1, v[0:1]
	ds_store_b64 v0, v[0:1] offset:784
	s_wait_xcnt 0x0
	v_cmpx_ne_u32_e32 0, v2
	s_cbranch_execz .LBB12_80
; %bb.79:                               ;   in Loop: Header=BB12_57 Depth=2
	ds_load_b64 v[0:1], v0 offset:872
	s_wait_dscnt 0x0
	v_add_nc_u64_e32 v[0:1], 1, v[0:1]
	ds_store_b64 v0, v[0:1] offset:872
.LBB12_80:                              ;   in Loop: Header=BB12_57 Depth=2
	s_or_b32 exec_lo, exec_lo, s13
	v_mov_b64_e32 v[116:117], v[8:9]
.LBB12_81:                              ;   in Loop: Header=BB12_57 Depth=2
	s_or_b32 exec_lo, exec_lo, s40
	s_and_saveexec_b32 s13, s2
	s_cbranch_execz .LBB12_102
; %bb.82:                               ;   in Loop: Header=BB12_57 Depth=2
	s_and_saveexec_b32 s40, s3
	s_delay_alu instid0(SALU_CYCLE_1)
	s_xor_b32 s40, exec_lo, s40
	s_cbranch_execz .LBB12_99
; %bb.83:                               ;   in Loop: Header=BB12_57 Depth=2
	s_and_saveexec_b32 s41, s6
	s_cbranch_execz .LBB12_98
; %bb.84:                               ;   in Loop: Header=BB12_57 Depth=2
	s_mov_b32 s75, exec_lo
	s_mov_b32 s74, exec_lo
	v_mbcnt_lo_u32_b32 v0, s75, 0
	global_wb scope:SCOPE_DEV
	s_wait_storecnt_dscnt 0x0
	global_inv scope:SCOPE_DEV
	v_cmpx_eq_u32_e32 0, v0
	s_cbranch_execz .LBB12_86
; %bb.85:                               ;   in Loop: Header=BB12_57 Depth=2
	s_bcnt1_i32_b32 s75, s75
	s_delay_alu instid0(SALU_CYCLE_1)
	v_mov_b32_e32 v2, s75
	s_wait_loadcnt 0x0
	ds_add_u64 v0, v[2:3]
	s_trap 2
.LBB12_86:                              ;   in Loop: Header=BB12_57 Depth=2
	s_or_b32 exec_lo, exec_lo, s74
	s_trap 2
	ds_load_b64 v[0:1], v0
	s_wait_dscnt 0x0
	v_add_nc_u64_e32 v[56:57], v[56:57], v[60:61]
	s_mov_b32 s74, exec_lo
	s_delay_alu instid0(VALU_DEP_1)
	v_cmpx_lt_u64_e64 v[0:1], v[56:57]
	s_cbranch_execz .LBB12_97
; %bb.87:                               ;   in Loop: Header=BB12_57 Depth=2
	s_mov_b32 s75, 0
	s_mov_b32 s78, 0
                                        ; implicit-def: $sgpr76
                                        ; implicit-def: $sgpr77
	s_branch .LBB12_89
.LBB12_88:                              ;   in Loop: Header=BB12_89 Depth=3
	s_or_b32 exec_lo, exec_lo, s88
	s_delay_alu instid0(SALU_CYCLE_1) | instskip(NEXT) | instid1(SALU_CYCLE_1)
	s_and_b32 s79, exec_lo, s89
	s_or_b32 s75, s79, s75
	s_and_not1_b32 s76, s76, exec_lo
	s_and_b32 s79, s77, exec_lo
	s_delay_alu instid0(SALU_CYCLE_1)
	s_or_b32 s76, s76, s79
	s_and_not1_b32 exec_lo, exec_lo, s75
	s_cbranch_execz .LBB12_95
.LBB12_89:                              ;   Parent Loop BB12_47 Depth=1
                                        ;     Parent Loop BB12_57 Depth=2
                                        ; =>    This Inner Loop Header: Depth=3
	s_add_co_i32 s78, s78, 1
	s_delay_alu instid0(SALU_CYCLE_1) | instskip(SKIP_1) | instid1(SALU_CYCLE_1)
	s_cmp_lg_u32 s78, 0x2710
	s_cselect_b32 s79, -1, 0
	s_and_b32 vcc_lo, exec_lo, s79
	s_cbranch_vccz .LBB12_91
; %bb.90:                               ;   in Loop: Header=BB12_89 Depth=3
	s_mov_b32 s89, -1
	s_or_b32 s77, s77, exec_lo
	s_and_saveexec_b32 s88, s79
	s_cbranch_execz .LBB12_88
	s_branch .LBB12_92
.LBB12_91:                              ;   in Loop: Header=BB12_89 Depth=3
	s_trap 2
	ds_load_b64 v[0:1], v0
	s_and_not1_b32 s79, s79, exec_lo
	s_mov_b32 s78, 0
	s_wait_loadcnt_dscnt 0x0
	flat_load_b32 v0, v[0:1] scope:SCOPE_SYS
	s_wait_loadcnt_dscnt 0x0
	global_inv scope:SCOPE_SYS
	v_cmp_eq_u32_e32 vcc_lo, 0, v0
	s_and_b32 s88, vcc_lo, exec_lo
	s_delay_alu instid0(SALU_CYCLE_1)
	s_or_b32 s79, s79, s88
	s_mov_b32 s89, -1
	s_or_b32 s77, s77, exec_lo
	s_wait_xcnt 0x0
	s_and_saveexec_b32 s88, s79
	s_cbranch_execz .LBB12_88
.LBB12_92:                              ;   in Loop: Header=BB12_89 Depth=3
	s_sleep 1
	s_trap 2
	ds_load_b64 v[0:1], v0
	s_wait_dscnt 0x0
	s_and_not1_b32 s77, s77, exec_lo
	v_cmp_ge_u64_e32 vcc_lo, v[0:1], v[56:57]
	s_or_not1_b32 s89, vcc_lo, exec_lo
	s_branch .LBB12_88
.LBB12_93:                              ;   in Loop: Header=BB12_57 Depth=2
	s_and_not1_saveexec_b32 s13, s13
	s_cbranch_execz .LBB12_76
.LBB12_94:                              ;   in Loop: Header=BB12_57 Depth=2
	s_or_b32 s41, s41, exec_lo
	s_or_b32 exec_lo, exec_lo, s13
	s_and_saveexec_b32 s13, s41
	s_cbranch_execnz .LBB12_77
	s_branch .LBB12_78
.LBB12_95:                              ;   in Loop: Header=BB12_57 Depth=2
	s_or_b32 exec_lo, exec_lo, s75
	s_and_saveexec_b32 s75, s76
	s_delay_alu instid0(SALU_CYCLE_1)
	s_xor_b32 s75, exec_lo, s75
	s_cbranch_execz .LBB12_97
; %bb.96:                               ;   in Loop: Header=BB12_57 Depth=2
	v_mov_b32_e32 v0, 1
	ds_store_b32 v0, v0
	s_trap 2
.LBB12_97:                              ;   in Loop: Header=BB12_57 Depth=2
	s_or_b32 exec_lo, exec_lo, s74
	;;#ASMSTART
	s_wakeup
	;;#ASMEND
.LBB12_98:                              ;   in Loop: Header=BB12_57 Depth=2
	s_or_b32 exec_lo, exec_lo, s41
.LBB12_99:                              ;   in Loop: Header=BB12_57 Depth=2
	s_and_not1_saveexec_b32 s40, s40
	s_cbranch_execz .LBB12_101
; %bb.100:                              ;   in Loop: Header=BB12_57 Depth=2
	global_wb scope:SCOPE_DEV
	s_wait_storecnt 0x0
	s_wait_loadcnt_dscnt 0x0
	global_inv scope:SCOPE_DEV
	s_barrier_signal -1
	s_barrier_wait -1
.LBB12_101:                             ;   in Loop: Header=BB12_57 Depth=2
	s_or_b32 exec_lo, exec_lo, s40
.LBB12_102:                             ;   in Loop: Header=BB12_57 Depth=2
	s_delay_alu instid0(SALU_CYCLE_1) | instskip(SKIP_4) | instid1(VALU_DEP_1)
	s_or_b32 exec_lo, exec_lo, s13
	s_trap 2
	ds_load_b32 v0, v0
	v_and_b32_e32 v1, 0x4000, v126
	s_xor_b32 s13, s1, -1
	v_cmp_ne_u32_e32 vcc_lo, 0, v1
	s_and_b32 s40, s13, vcc_lo
	s_delay_alu instid0(SALU_CYCLE_1)
	s_and_saveexec_b32 s13, s40
	s_cbranch_execz .LBB12_121
; %bb.103:                              ;   in Loop: Header=BB12_57 Depth=2
	s_and_saveexec_b32 s40, s3
	s_delay_alu instid0(SALU_CYCLE_1)
	s_xor_b32 s40, exec_lo, s40
	s_cbranch_execz .LBB12_118
; %bb.104:                              ;   in Loop: Header=BB12_57 Depth=2
	s_and_saveexec_b32 s41, s6
	s_cbranch_execz .LBB12_117
; %bb.105:                              ;   in Loop: Header=BB12_57 Depth=2
	s_mov_b32 s75, exec_lo
	s_mov_b32 s74, exec_lo
	v_mbcnt_lo_u32_b32 v1, s75, 0
	global_wb scope:SCOPE_DEV
	s_wait_storecnt 0x0
	s_wait_loadcnt_dscnt 0x0
	global_inv scope:SCOPE_DEV
	v_cmpx_eq_u32_e32 0, v1
	s_cbranch_execz .LBB12_107
; %bb.106:                              ;   in Loop: Header=BB12_57 Depth=2
	s_bcnt1_i32_b32 s75, s75
	s_delay_alu instid0(SALU_CYCLE_1)
	v_mov_b32_e32 v2, s75
	s_wait_loadcnt 0x0
	ds_add_u64 v0, v[2:3]
	s_trap 2
.LBB12_107:                             ;   in Loop: Header=BB12_57 Depth=2
	s_or_b32 exec_lo, exec_lo, s74
	s_trap 2
	ds_load_b64 v[4:5], v0
	s_wait_dscnt 0x0
	v_add_nc_u64_e32 v[56:57], v[56:57], v[60:61]
	s_mov_b32 s74, exec_lo
	s_delay_alu instid0(VALU_DEP_1)
	v_cmpx_lt_u64_e64 v[4:5], v[56:57]
	s_cbranch_execz .LBB12_116
; %bb.108:                              ;   in Loop: Header=BB12_57 Depth=2
	s_mov_b32 s75, 0
	s_mov_b32 s78, 0
                                        ; implicit-def: $sgpr76
                                        ; implicit-def: $sgpr77
	s_branch .LBB12_110
.LBB12_109:                             ;   in Loop: Header=BB12_110 Depth=3
	s_or_b32 exec_lo, exec_lo, s88
	s_delay_alu instid0(SALU_CYCLE_1) | instskip(NEXT) | instid1(SALU_CYCLE_1)
	s_and_b32 s79, exec_lo, s89
	s_or_b32 s75, s79, s75
	s_and_not1_b32 s76, s76, exec_lo
	s_and_b32 s79, s77, exec_lo
	s_delay_alu instid0(SALU_CYCLE_1)
	s_or_b32 s76, s76, s79
	s_and_not1_b32 exec_lo, exec_lo, s75
	s_cbranch_execz .LBB12_114
.LBB12_110:                             ;   Parent Loop BB12_47 Depth=1
                                        ;     Parent Loop BB12_57 Depth=2
                                        ; =>    This Inner Loop Header: Depth=3
	s_add_co_i32 s78, s78, 1
	s_delay_alu instid0(SALU_CYCLE_1) | instskip(SKIP_1) | instid1(SALU_CYCLE_1)
	s_cmp_lg_u32 s78, 0x2710
	s_cselect_b32 s79, -1, 0
	s_and_b32 vcc_lo, exec_lo, s79
	s_cbranch_vccz .LBB12_112
; %bb.111:                              ;   in Loop: Header=BB12_110 Depth=3
	s_mov_b32 s89, -1
	s_or_b32 s77, s77, exec_lo
	s_and_saveexec_b32 s88, s79
	s_cbranch_execz .LBB12_109
	s_branch .LBB12_113
.LBB12_112:                             ;   in Loop: Header=BB12_110 Depth=3
	s_trap 2
	ds_load_b64 v[4:5], v0
	s_and_not1_b32 s79, s79, exec_lo
	s_mov_b32 s78, 0
	s_wait_loadcnt_dscnt 0x0
	flat_load_b32 v1, v[4:5] scope:SCOPE_SYS
	s_wait_loadcnt_dscnt 0x0
	global_inv scope:SCOPE_SYS
	v_cmp_eq_u32_e32 vcc_lo, 0, v1
	s_and_b32 s88, vcc_lo, exec_lo
	s_delay_alu instid0(SALU_CYCLE_1)
	s_or_b32 s79, s79, s88
	s_mov_b32 s89, -1
	s_or_b32 s77, s77, exec_lo
	s_wait_xcnt 0x0
	s_and_saveexec_b32 s88, s79
	s_cbranch_execz .LBB12_109
.LBB12_113:                             ;   in Loop: Header=BB12_110 Depth=3
	s_sleep 1
	s_trap 2
	ds_load_b64 v[4:5], v0
	s_wait_dscnt 0x0
	s_and_not1_b32 s77, s77, exec_lo
	v_cmp_ge_u64_e32 vcc_lo, v[4:5], v[56:57]
	s_or_not1_b32 s89, vcc_lo, exec_lo
	s_branch .LBB12_109
.LBB12_114:                             ;   in Loop: Header=BB12_57 Depth=2
	s_or_b32 exec_lo, exec_lo, s75
	s_and_saveexec_b32 s75, s76
	s_delay_alu instid0(SALU_CYCLE_1)
	s_xor_b32 s75, exec_lo, s75
	s_cbranch_execz .LBB12_116
; %bb.115:                              ;   in Loop: Header=BB12_57 Depth=2
	v_mov_b32_e32 v1, 1
	ds_store_b32 v0, v1
	s_trap 2
.LBB12_116:                             ;   in Loop: Header=BB12_57 Depth=2
	s_or_b32 exec_lo, exec_lo, s74
	;;#ASMSTART
	s_wakeup
	;;#ASMEND
.LBB12_117:                             ;   in Loop: Header=BB12_57 Depth=2
	s_or_b32 exec_lo, exec_lo, s41
.LBB12_118:                             ;   in Loop: Header=BB12_57 Depth=2
	s_and_not1_saveexec_b32 s40, s40
	s_cbranch_execz .LBB12_120
; %bb.119:                              ;   in Loop: Header=BB12_57 Depth=2
	global_wb scope:SCOPE_DEV
	s_wait_storecnt 0x0
	s_wait_loadcnt_dscnt 0x0
	global_inv scope:SCOPE_DEV
	s_barrier_signal -1
	s_barrier_wait -1
.LBB12_120:                             ;   in Loop: Header=BB12_57 Depth=2
	s_or_b32 exec_lo, exec_lo, s40
.LBB12_121:                             ;   in Loop: Header=BB12_57 Depth=2
	s_delay_alu instid0(SALU_CYCLE_1)
	s_or_b32 exec_lo, exec_lo, s13
	s_trap 2
	s_wait_dscnt 0x0
	ds_load_b64 v[42:43], v0
	s_wait_dscnt 0x0
	v_cmp_eq_u64_e32 vcc_lo, 0, v[42:43]
	s_cbranch_vccnz .LBB12_129
; %bb.122:                              ;   in Loop: Header=BB12_57 Depth=2
	s_trap 2
	ds_load_b64 v[118:119], v0
	s_wait_dscnt 0x0
	v_cmp_eq_u64_e32 vcc_lo, 0, v[118:119]
	s_cbranch_vccnz .LBB12_129
; %bb.123:                              ;   in Loop: Header=BB12_57 Depth=2
	s_mov_b32 s13, -1
	s_and_saveexec_b32 s40, s7
	s_cbranch_execz .LBB12_125
; %bb.124:                              ;   in Loop: Header=BB12_57 Depth=2
	ds_load_b32 v1, v0 offset:720
	s_wait_dscnt 0x0
	v_and_b32_e32 v1, 15, v1
	s_delay_alu instid0(VALU_DEP_1)
	v_cmp_eq_u32_e32 vcc_lo, 0, v1
	s_or_not1_b32 s13, vcc_lo, exec_lo
.LBB12_125:                             ;   in Loop: Header=BB12_57 Depth=2
	s_or_b32 exec_lo, exec_lo, s40
	s_and_saveexec_b32 s40, s10
	s_cbranch_execz .LBB12_127
; %bb.126:                              ;   in Loop: Header=BB12_57 Depth=2
	ds_load_b32 v1, v0 offset:784
	s_wait_dscnt 0x0
	v_and_b32_e32 v1, 15, v1
	s_delay_alu instid0(VALU_DEP_1) | instskip(SKIP_3) | instid1(SALU_CYCLE_1)
	v_cmp_eq_u32_e32 vcc_lo, 0, v1
	s_and_b32 s41, s13, vcc_lo
	s_and_not1_b32 s13, s13, exec_lo
	s_and_b32 s41, s41, exec_lo
	s_or_b32 s13, s13, s41
.LBB12_127:                             ;   in Loop: Header=BB12_57 Depth=2
	s_or_b32 exec_lo, exec_lo, s40
	s_xor_b32 s13, s13, -1
	s_mov_b32 s41, -1
	v_cndmask_b32_e64 v1, 0, 1, s13
	v_cmp_eq_u32_e64 s13, 0, v0
	s_delay_alu instid0(VALU_DEP_2)
	v_cmp_ne_u32_e32 vcc_lo, 0, v1
	s_cbranch_vccz .LBB12_130
; %bb.128:                              ;   in Loop: Header=BB12_57 Depth=2
	s_mov_b32 s41, 0
	s_mov_b32 s40, -1
	s_branch .LBB12_131
.LBB12_129:                             ;   in Loop: Header=BB12_57 Depth=2
	s_mov_b32 s13, 0
	s_and_saveexec_b32 s40, s2
	s_cbranch_execnz .LBB12_1249
	s_branch .LBB12_1267
.LBB12_130:                             ;   in Loop: Header=BB12_57 Depth=2
	s_mov_b32 s40, 0
.LBB12_131:                             ;   in Loop: Header=BB12_57 Depth=2
	v_dual_cndmask_b32 v101, 0, v102, s13 :: v_dual_mov_b32 v12, 0
	s_and_not1_b32 vcc_lo, exec_lo, s41
	s_delay_alu instid0(VALU_DEP_1)
	v_lshlrev_b32_e32 v103, 1, v101
	s_cbranch_vccnz .LBB12_651
; %bb.132:                              ;   in Loop: Header=BB12_57 Depth=2
	s_delay_alu instid0(VALU_DEP_1) | instskip(SKIP_2) | instid1(VALU_DEP_1)
	v_ashrrev_i32_e32 v0, 31, v103
	s_mov_b32 s41, 0
	s_mov_b32 s13, exec_lo
                                        ; implicit-def: $vgpr96_vgpr97
                                        ; implicit-def: $vgpr68_vgpr69
                                        ; implicit-def: $vgpr48_vgpr49
                                        ; implicit-def: $vgpr24_vgpr25
                                        ; implicit-def: $vgpr20_vgpr21
                                        ; implicit-def: $vgpr16_vgpr17
                                        ; implicit-def: $vgpr12_vgpr13
                                        ; implicit-def: $vgpr8_vgpr9
	v_lshrrev_b32_e32 v0, 20, v0
	s_delay_alu instid0(VALU_DEP_1) | instskip(NEXT) | instid1(VALU_DEP_1)
	v_add_nc_u32_e32 v0, v103, v0
	v_ashrrev_i32_e32 v113, 12, v0
	scratch_load_b32 v0, off, s33 offset:360 ; 4-byte Folded Reload
	s_wait_loadcnt 0x0
	v_sub_nc_u32_e32 v125, v113, v0
	scratch_load_b64 v[0:1], off, s33 offset:364 ; 8-byte Folded Reload
	s_wait_loadcnt 0x0
	v_add_nc_u64_e32 v[76:77], v[118:119], v[0:1]
	s_wait_xcnt 0x0
	v_cmpx_lt_i32_e32 0, v125
	s_cbranch_execz .LBB12_653
; %bb.133:                              ;   in Loop: Header=BB12_57 Depth=2
	s_clause 0x5
	scratch_store_b32 off, v113, s33 offset:420
	scratch_store_b32 off, v103, s33 offset:408
	scratch_store_b64 off, v[118:119], s33 offset:400
	scratch_store_b32 off, v101, s33 offset:396
	scratch_store_b64 off, v[112:113], s33 offset:388
	scratch_store_b64 off, v[102:103], s33 offset:340
	s_trap 2
	scratch_load_b64 v[4:5], off, s33 offset:364 ; 8-byte Folded Reload
	ds_load_b32 v0, v0
	s_mov_b32 s75, 0
	scratch_store_b64 off, v[42:43], s33 offset:412 ; 8-byte Folded Spill
                                        ; implicit-def: $sgpr74
                                        ; implicit-def: $vgpr96_vgpr97
                                        ; implicit-def: $vgpr68_vgpr69
                                        ; implicit-def: $vgpr48_vgpr49
                                        ; implicit-def: $vgpr24_vgpr25
                                        ; implicit-def: $vgpr20_vgpr21
                                        ; implicit-def: $vgpr16_vgpr17
                                        ; implicit-def: $vgpr12_vgpr13
                                        ; implicit-def: $vgpr8_vgpr9
	s_wait_dscnt 0x0
	v_lshlrev_b32_e32 v124, 16, v0
	s_wait_loadcnt 0x0
	v_add_nc_u64_e32 v[62:63], v[42:43], v[4:5]
	s_branch .LBB12_135
.LBB12_134:                             ;   in Loop: Header=BB12_135 Depth=3
	s_or_b32 exec_lo, exec_lo, s76
	v_dual_lshrrev_b32 v32, 16, v107 :: v_dual_lshrrev_b32 v34, 16, v106
	v_dual_lshrrev_b32 v35, 16, v120 :: v_dual_lshrrev_b32 v106, 16, v121
	v_lshrrev_b32_e32 v6, 16, v6
	s_delay_alu instid0(VALU_DEP_3) | instskip(NEXT) | instid1(VALU_DEP_4)
	v_and_or_b32 v33, 0xffff0000, v37, v32
	v_and_or_b32 v32, 0xffff0000, v36, v34
	v_dual_lshrrev_b32 v36, 16, v45 :: v_dual_lshrrev_b32 v44, 16, v44
	v_lshrrev_b32_e32 v45, 16, v46
	v_and_or_b32 v34, 0xffff0000, v38, v35
	v_and_or_b32 v35, 0xffff0000, v39, v106
	s_delay_alu instid0(VALU_DEP_4)
	v_and_or_b32 v37, 0xffff0000, v53, v36
	v_and_or_b32 v36, 0xffff0000, v52, v44
	v_lshrrev_b32_e32 v52, 16, v79
	v_lshrrev_b32_e32 v39, 16, v47
	v_and_or_b32 v38, 0xffff0000, v54, v45
	v_dual_lshrrev_b32 v54, 16, v64 :: v_dual_lshrrev_b32 v64, 16, v66
	s_delay_alu instid0(VALU_DEP_4) | instskip(SKIP_2) | instid1(VALU_DEP_4)
	v_and_or_b32 v52, 0xffff0000, v0, v52
	v_lshrrev_b32_e32 v0, 16, v74
	v_and_or_b32 v53, 0xffff0000, v7, v6
	v_and_or_b32 v54, 0xffff0000, v65, v54
	v_lshrrev_b32_e32 v6, 16, v43
	v_lshrrev_b32_e32 v43, 16, v91
	v_and_or_b32 v65, 0xffff0000, v81, v0
	v_lshrrev_b32_e32 v0, 16, v5
	v_and_or_b32 v39, 0xffff0000, v55, v39
	v_and_or_b32 v55, 0xffff0000, v67, v64
	v_dual_lshrrev_b32 v7, 16, v75 :: v_dual_lshrrev_b32 v67, 16, v78
	v_and_or_b32 v64, 0xffff0000, v80, v6
	v_dual_lshrrev_b32 v5, 16, v42 :: v_dual_lshrrev_b32 v1, 16, v1
	v_dual_lshrrev_b32 v2, 16, v2 :: v_dual_lshrrev_b32 v6, 16, v29
	v_and_or_b32 v80, 0xffff0000, v84, v0
	v_lshrrev_b32_e32 v0, 16, v72
	v_and_or_b32 v66, 0xffff0000, v82, v7
	v_and_or_b32 v67, 0xffff0000, v83, v67
	;; [unrolled: 1-line block ×7, first 2 shown]
	v_lshrrev_b32_e32 v1, 16, v73
	v_dual_lshrrev_b32 v2, 16, v125 :: v_dual_lshrrev_b32 v5, 16, v31
	v_lshrrev_b32_e32 v6, 16, v118
	v_and_or_b32 v86, 0xffff0000, v102, v0
	v_lshrrev_b32_e32 v0, 16, v119
	v_and_or_b32 v87, 0xffff0000, v103, v1
	v_and_or_b32 v101, 0xffff0000, v113, v2
	v_and_or_b32 v100, 0xffff0000, v112, v5
	v_and_or_b32 v102, 0xffff0000, v114, v6
	v_and_or_b32 v103, 0xffff0000, v115, v0
	v_dual_lshrrev_b32 v1, 16, v123 :: v_dual_lshrrev_b32 v2, 16, v4
	v_cndmask_b32_e64 v0, 0, v60, s75
	s_clause 0x5
	global_store_b128 v[76:77], v[100:103], off th:TH_STORE_NT
	global_store_b128 v[76:77], v[84:87], off offset:512 th:TH_STORE_NT
	global_store_b128 v[76:77], v[80:83], off offset:1024 th:TH_STORE_NT
	global_store_b128 v[76:77], v[64:67], off offset:1536 th:TH_STORE_NT
	global_store_b128 v[76:77], v[52:55], off offset:2048 th:TH_STORE_NT
	global_store_b128 v[76:77], v[36:39], off offset:2560 th:TH_STORE_NT
	v_dual_lshrrev_b32 v6, 16, v28 :: v_dual_lshrrev_b32 v7, 16, v95
	v_and_or_b32 v5, 0xffff0000, v90, v1
	v_sub_nc_u32_e32 v125, v30, v0
	s_clause 0x1
	scratch_load_b64 v[0:1], off, s33 offset:320
	scratch_load_b64 v[28:29], off, s33 offset:272
	v_and_or_b32 v4, 0xffff0000, v122, v2
	v_and_or_b32 v6, 0xffff0000, v94, v6
	;; [unrolled: 1-line block ×3, first 2 shown]
	s_clause 0x1
	global_store_b128 v[76:77], v[32:35], off offset:3072 th:TH_STORE_NT
	global_store_b128 v[76:77], v[4:7], off offset:3584 th:TH_STORE_NT
	s_wait_loadcnt 0x1
	v_dual_cndmask_b32 v1, 0, v1, s75 :: v_dual_cndmask_b32 v0, 0, v0, s75
	s_wait_loadcnt 0x0
	v_cndmask_b32_e64 v29, 0, v29, s75
	v_cndmask_b32_e64 v28, 0x1000, v28, s75
	v_cmp_gt_i32_e32 vcc_lo, 1, v125
	v_add_nc_u64_e32 v[62:63], v[62:63], v[0:1]
	s_wait_xcnt 0x0
	s_delay_alu instid0(VALU_DEP_3) | instskip(SKIP_3) | instid1(SALU_CYCLE_1)
	v_add_nc_u64_e32 v[76:77], v[76:77], v[28:29]
	s_or_b32 s41, vcc_lo, s41
	s_and_not1_b32 s74, s74, exec_lo
	s_and_b32 s76, s75, exec_lo
	s_or_b32 s74, s74, s76
	s_and_not1_b32 exec_lo, exec_lo, s41
	s_cbranch_execz .LBB12_652
.LBB12_135:                             ;   Parent Loop BB12_47 Depth=1
                                        ;     Parent Loop BB12_57 Depth=2
                                        ; =>    This Inner Loop Header: Depth=3
	s_clause 0x7
	global_load_b128 v[112:115], v[62:63], off th:TH_LOAD_NT
	global_load_b128 v[100:103], v[62:63], off offset:512 th:TH_LOAD_NT
	global_load_b128 v[84:87], v[62:63], off offset:1024 th:TH_LOAD_NT
	;; [unrolled: 1-line block ×7, first 2 shown]
	s_wait_xcnt 0x0
	s_and_saveexec_b32 s76, s75
	s_cbranch_execz .LBB12_393
; %bb.136:                              ;   in Loop: Header=BB12_135 Depth=3
	v_lshlrev_b32_e32 v0, 16, v96
	s_mov_b32 s75, exec_lo
                                        ; implicit-def: $vgpr30
	s_delay_alu instid0(VALU_DEP_1) | instskip(NEXT) | instid1(VALU_DEP_1)
	v_mul_f32_e32 v0, v124, v0
	v_and_b32_e32 v1, 0x7f800000, v0
	s_delay_alu instid0(VALU_DEP_1)
	v_cmpx_ne_u32_e32 0x7f800000, v1
	s_xor_b32 s75, exec_lo, s75
; %bb.137:                              ;   in Loop: Header=BB12_135 Depth=3
	v_bfe_u32 v1, v0, 16, 1
	s_delay_alu instid0(VALU_DEP_1)
	v_add3_u32 v30, v0, v1, 0x7fff
                                        ; implicit-def: $vgpr0
; %bb.138:                              ;   in Loop: Header=BB12_135 Depth=3
	s_and_not1_saveexec_b32 s75, s75
; %bb.139:                              ;   in Loop: Header=BB12_135 Depth=3
	v_and_b32_e32 v1, 0xffff, v0
	v_or_b32_e32 v2, 0x10000, v0
	s_delay_alu instid0(VALU_DEP_2) | instskip(NEXT) | instid1(VALU_DEP_2)
	v_cmp_eq_u32_e32 vcc_lo, 0, v1
	v_cndmask_b32_e32 v30, v2, v0, vcc_lo
; %bb.140:                              ;   in Loop: Header=BB12_135 Depth=3
	s_or_b32 exec_lo, exec_lo, s75
	v_and_b32_e32 v0, 0xffff0000, v96
	s_mov_b32 s75, exec_lo
                                        ; implicit-def: $vgpr31
	s_delay_alu instid0(VALU_DEP_1) | instskip(NEXT) | instid1(VALU_DEP_1)
	v_mul_f32_e32 v0, v124, v0
	v_and_b32_e32 v1, 0x7f800000, v0
	s_delay_alu instid0(VALU_DEP_1)
	v_cmpx_ne_u32_e32 0x7f800000, v1
	s_xor_b32 s75, exec_lo, s75
; %bb.141:                              ;   in Loop: Header=BB12_135 Depth=3
	v_bfe_u32 v1, v0, 16, 1
	s_delay_alu instid0(VALU_DEP_1)
	v_add3_u32 v31, v0, v1, 0x7fff
                                        ; implicit-def: $vgpr0
; %bb.142:                              ;   in Loop: Header=BB12_135 Depth=3
	s_and_not1_saveexec_b32 s75, s75
; %bb.143:                              ;   in Loop: Header=BB12_135 Depth=3
	v_and_b32_e32 v1, 0xffff, v0
	v_or_b32_e32 v2, 0x10000, v0
	s_delay_alu instid0(VALU_DEP_2) | instskip(NEXT) | instid1(VALU_DEP_2)
	v_cmp_eq_u32_e32 vcc_lo, 0, v1
	v_cndmask_b32_e32 v31, v2, v0, vcc_lo
; %bb.144:                              ;   in Loop: Header=BB12_135 Depth=3
	s_or_b32 exec_lo, exec_lo, s75
	v_lshlrev_b32_e32 v0, 16, v97
	s_mov_b32 s75, exec_lo
                                        ; implicit-def: $vgpr96
	s_delay_alu instid0(VALU_DEP_1) | instskip(NEXT) | instid1(VALU_DEP_1)
	v_mul_f32_e32 v0, v124, v0
	v_and_b32_e32 v1, 0x7f800000, v0
	s_delay_alu instid0(VALU_DEP_1)
	v_cmpx_ne_u32_e32 0x7f800000, v1
	s_xor_b32 s75, exec_lo, s75
; %bb.145:                              ;   in Loop: Header=BB12_135 Depth=3
	v_bfe_u32 v1, v0, 16, 1
	s_delay_alu instid0(VALU_DEP_1)
	v_add3_u32 v96, v0, v1, 0x7fff
                                        ; implicit-def: $vgpr0
; %bb.146:                              ;   in Loop: Header=BB12_135 Depth=3
	s_and_not1_saveexec_b32 s75, s75
; %bb.147:                              ;   in Loop: Header=BB12_135 Depth=3
	v_and_b32_e32 v1, 0xffff, v0
	v_or_b32_e32 v2, 0x10000, v0
	s_delay_alu instid0(VALU_DEP_2) | instskip(NEXT) | instid1(VALU_DEP_2)
	v_cmp_eq_u32_e32 vcc_lo, 0, v1
	v_cndmask_b32_e32 v96, v2, v0, vcc_lo
; %bb.148:                              ;   in Loop: Header=BB12_135 Depth=3
	s_or_b32 exec_lo, exec_lo, s75
	v_and_b32_e32 v0, 0xffff0000, v97
	s_mov_b32 s75, exec_lo
                                        ; implicit-def: $vgpr97
	s_delay_alu instid0(VALU_DEP_1) | instskip(NEXT) | instid1(VALU_DEP_1)
	v_mul_f32_e32 v0, v124, v0
	v_and_b32_e32 v1, 0x7f800000, v0
	s_delay_alu instid0(VALU_DEP_1)
	v_cmpx_ne_u32_e32 0x7f800000, v1
	s_xor_b32 s75, exec_lo, s75
; %bb.149:                              ;   in Loop: Header=BB12_135 Depth=3
	v_bfe_u32 v1, v0, 16, 1
	s_delay_alu instid0(VALU_DEP_1)
	v_add3_u32 v97, v0, v1, 0x7fff
                                        ; implicit-def: $vgpr0
; %bb.150:                              ;   in Loop: Header=BB12_135 Depth=3
	s_and_not1_saveexec_b32 s75, s75
; %bb.151:                              ;   in Loop: Header=BB12_135 Depth=3
	v_and_b32_e32 v1, 0xffff, v0
	v_or_b32_e32 v2, 0x10000, v0
	s_delay_alu instid0(VALU_DEP_2) | instskip(NEXT) | instid1(VALU_DEP_2)
	v_cmp_eq_u32_e32 vcc_lo, 0, v1
	v_cndmask_b32_e32 v97, v2, v0, vcc_lo
; %bb.152:                              ;   in Loop: Header=BB12_135 Depth=3
	s_or_b32 exec_lo, exec_lo, s75
	v_lshlrev_b32_e32 v0, 16, v98
	s_mov_b32 s75, exec_lo
                                        ; implicit-def: $vgpr118
	s_delay_alu instid0(VALU_DEP_1) | instskip(NEXT) | instid1(VALU_DEP_1)
	v_mul_f32_e32 v0, v124, v0
	v_and_b32_e32 v1, 0x7f800000, v0
	s_delay_alu instid0(VALU_DEP_1)
	v_cmpx_ne_u32_e32 0x7f800000, v1
	s_xor_b32 s75, exec_lo, s75
; %bb.153:                              ;   in Loop: Header=BB12_135 Depth=3
	v_bfe_u32 v1, v0, 16, 1
	s_delay_alu instid0(VALU_DEP_1)
	v_add3_u32 v118, v0, v1, 0x7fff
                                        ; implicit-def: $vgpr0
; %bb.154:                              ;   in Loop: Header=BB12_135 Depth=3
	s_and_not1_saveexec_b32 s75, s75
; %bb.155:                              ;   in Loop: Header=BB12_135 Depth=3
	v_and_b32_e32 v1, 0xffff, v0
	v_or_b32_e32 v2, 0x10000, v0
	s_delay_alu instid0(VALU_DEP_2) | instskip(NEXT) | instid1(VALU_DEP_2)
	v_cmp_eq_u32_e32 vcc_lo, 0, v1
	v_cndmask_b32_e32 v118, v2, v0, vcc_lo
; %bb.156:                              ;   in Loop: Header=BB12_135 Depth=3
	s_or_b32 exec_lo, exec_lo, s75
	v_and_b32_e32 v0, 0xffff0000, v98
	s_mov_b32 s75, exec_lo
                                        ; implicit-def: $vgpr98
	s_delay_alu instid0(VALU_DEP_1) | instskip(NEXT) | instid1(VALU_DEP_1)
	v_mul_f32_e32 v0, v124, v0
	v_and_b32_e32 v1, 0x7f800000, v0
	s_delay_alu instid0(VALU_DEP_1)
	v_cmpx_ne_u32_e32 0x7f800000, v1
	s_xor_b32 s75, exec_lo, s75
; %bb.157:                              ;   in Loop: Header=BB12_135 Depth=3
	v_bfe_u32 v1, v0, 16, 1
	s_delay_alu instid0(VALU_DEP_1)
	v_add3_u32 v98, v0, v1, 0x7fff
                                        ; implicit-def: $vgpr0
; %bb.158:                              ;   in Loop: Header=BB12_135 Depth=3
	s_and_not1_saveexec_b32 s75, s75
; %bb.159:                              ;   in Loop: Header=BB12_135 Depth=3
	v_and_b32_e32 v1, 0xffff, v0
	v_or_b32_e32 v2, 0x10000, v0
	s_delay_alu instid0(VALU_DEP_2) | instskip(NEXT) | instid1(VALU_DEP_2)
	v_cmp_eq_u32_e32 vcc_lo, 0, v1
	v_cndmask_b32_e32 v98, v2, v0, vcc_lo
; %bb.160:                              ;   in Loop: Header=BB12_135 Depth=3
	s_or_b32 exec_lo, exec_lo, s75
	v_lshlrev_b32_e32 v0, 16, v99
	s_mov_b32 s75, exec_lo
                                        ; implicit-def: $vgpr119
	s_delay_alu instid0(VALU_DEP_1) | instskip(NEXT) | instid1(VALU_DEP_1)
	v_mul_f32_e32 v0, v124, v0
	v_and_b32_e32 v1, 0x7f800000, v0
	s_delay_alu instid0(VALU_DEP_1)
	v_cmpx_ne_u32_e32 0x7f800000, v1
	s_xor_b32 s75, exec_lo, s75
; %bb.161:                              ;   in Loop: Header=BB12_135 Depth=3
	v_bfe_u32 v1, v0, 16, 1
	s_delay_alu instid0(VALU_DEP_1)
	v_add3_u32 v119, v0, v1, 0x7fff
                                        ; implicit-def: $vgpr0
; %bb.162:                              ;   in Loop: Header=BB12_135 Depth=3
	s_and_not1_saveexec_b32 s75, s75
; %bb.163:                              ;   in Loop: Header=BB12_135 Depth=3
	v_and_b32_e32 v1, 0xffff, v0
	v_or_b32_e32 v2, 0x10000, v0
	s_delay_alu instid0(VALU_DEP_2) | instskip(NEXT) | instid1(VALU_DEP_2)
	v_cmp_eq_u32_e32 vcc_lo, 0, v1
	v_cndmask_b32_e32 v119, v2, v0, vcc_lo
; %bb.164:                              ;   in Loop: Header=BB12_135 Depth=3
	s_or_b32 exec_lo, exec_lo, s75
	v_and_b32_e32 v0, 0xffff0000, v99
	s_mov_b32 s75, exec_lo
                                        ; implicit-def: $vgpr99
	s_delay_alu instid0(VALU_DEP_1) | instskip(NEXT) | instid1(VALU_DEP_1)
	v_mul_f32_e32 v0, v124, v0
	v_and_b32_e32 v1, 0x7f800000, v0
	s_delay_alu instid0(VALU_DEP_1)
	v_cmpx_ne_u32_e32 0x7f800000, v1
	s_xor_b32 s75, exec_lo, s75
; %bb.165:                              ;   in Loop: Header=BB12_135 Depth=3
	v_bfe_u32 v1, v0, 16, 1
	s_delay_alu instid0(VALU_DEP_1)
	v_add3_u32 v99, v0, v1, 0x7fff
                                        ; implicit-def: $vgpr0
; %bb.166:                              ;   in Loop: Header=BB12_135 Depth=3
	s_and_not1_saveexec_b32 s75, s75
; %bb.167:                              ;   in Loop: Header=BB12_135 Depth=3
	v_and_b32_e32 v1, 0xffff, v0
	v_or_b32_e32 v2, 0x10000, v0
	s_delay_alu instid0(VALU_DEP_2) | instskip(NEXT) | instid1(VALU_DEP_2)
	v_cmp_eq_u32_e32 vcc_lo, 0, v1
	v_cndmask_b32_e32 v99, v2, v0, vcc_lo
; %bb.168:                              ;   in Loop: Header=BB12_135 Depth=3
	s_or_b32 exec_lo, exec_lo, s75
	v_lshlrev_b32_e32 v0, 16, v68
	s_mov_b32 s75, exec_lo
                                        ; implicit-def: $vgpr29
	s_delay_alu instid0(VALU_DEP_1) | instskip(NEXT) | instid1(VALU_DEP_1)
	v_mul_f32_e32 v0, v124, v0
	v_and_b32_e32 v1, 0x7f800000, v0
	s_delay_alu instid0(VALU_DEP_1)
	v_cmpx_ne_u32_e32 0x7f800000, v1
	s_xor_b32 s75, exec_lo, s75
; %bb.169:                              ;   in Loop: Header=BB12_135 Depth=3
	v_bfe_u32 v1, v0, 16, 1
	s_delay_alu instid0(VALU_DEP_1)
	v_add3_u32 v29, v0, v1, 0x7fff
                                        ; implicit-def: $vgpr0
; %bb.170:                              ;   in Loop: Header=BB12_135 Depth=3
	s_and_not1_saveexec_b32 s75, s75
; %bb.171:                              ;   in Loop: Header=BB12_135 Depth=3
	v_and_b32_e32 v1, 0xffff, v0
	v_or_b32_e32 v2, 0x10000, v0
	s_delay_alu instid0(VALU_DEP_2) | instskip(NEXT) | instid1(VALU_DEP_2)
	v_cmp_eq_u32_e32 vcc_lo, 0, v1
	v_cndmask_b32_e32 v29, v2, v0, vcc_lo
; %bb.172:                              ;   in Loop: Header=BB12_135 Depth=3
	s_or_b32 exec_lo, exec_lo, s75
	v_and_b32_e32 v0, 0xffff0000, v68
	s_mov_b32 s75, exec_lo
                                        ; implicit-def: $vgpr68
	s_delay_alu instid0(VALU_DEP_1) | instskip(NEXT) | instid1(VALU_DEP_1)
	v_mul_f32_e32 v0, v124, v0
	v_and_b32_e32 v1, 0x7f800000, v0
	s_delay_alu instid0(VALU_DEP_1)
	v_cmpx_ne_u32_e32 0x7f800000, v1
	s_xor_b32 s75, exec_lo, s75
; %bb.173:                              ;   in Loop: Header=BB12_135 Depth=3
	v_bfe_u32 v1, v0, 16, 1
	s_delay_alu instid0(VALU_DEP_1)
	v_add3_u32 v68, v0, v1, 0x7fff
                                        ; implicit-def: $vgpr0
; %bb.174:                              ;   in Loop: Header=BB12_135 Depth=3
	s_and_not1_saveexec_b32 s75, s75
; %bb.175:                              ;   in Loop: Header=BB12_135 Depth=3
	v_and_b32_e32 v1, 0xffff, v0
	v_or_b32_e32 v2, 0x10000, v0
	s_delay_alu instid0(VALU_DEP_2) | instskip(NEXT) | instid1(VALU_DEP_2)
	v_cmp_eq_u32_e32 vcc_lo, 0, v1
	v_cndmask_b32_e32 v68, v2, v0, vcc_lo
; %bb.176:                              ;   in Loop: Header=BB12_135 Depth=3
	s_or_b32 exec_lo, exec_lo, s75
	v_lshlrev_b32_e32 v0, 16, v69
	s_mov_b32 s75, exec_lo
                                        ; implicit-def: $vgpr2
	s_delay_alu instid0(VALU_DEP_1) | instskip(NEXT) | instid1(VALU_DEP_1)
	v_mul_f32_e32 v0, v124, v0
	v_and_b32_e32 v1, 0x7f800000, v0
	s_delay_alu instid0(VALU_DEP_1)
	v_cmpx_ne_u32_e32 0x7f800000, v1
	s_xor_b32 s75, exec_lo, s75
; %bb.177:                              ;   in Loop: Header=BB12_135 Depth=3
	v_bfe_u32 v1, v0, 16, 1
	s_delay_alu instid0(VALU_DEP_1)
	v_add3_u32 v2, v0, v1, 0x7fff
                                        ; implicit-def: $vgpr0
; %bb.178:                              ;   in Loop: Header=BB12_135 Depth=3
	s_and_not1_saveexec_b32 s75, s75
; %bb.179:                              ;   in Loop: Header=BB12_135 Depth=3
	v_and_b32_e32 v1, 0xffff, v0
	v_or_b32_e32 v2, 0x10000, v0
	s_delay_alu instid0(VALU_DEP_2) | instskip(NEXT) | instid1(VALU_DEP_2)
	v_cmp_eq_u32_e32 vcc_lo, 0, v1
	v_cndmask_b32_e32 v2, v2, v0, vcc_lo
; %bb.180:                              ;   in Loop: Header=BB12_135 Depth=3
	s_or_b32 exec_lo, exec_lo, s75
	v_and_b32_e32 v0, 0xffff0000, v69
	s_mov_b32 s75, exec_lo
                                        ; implicit-def: $vgpr69
	s_delay_alu instid0(VALU_DEP_1) | instskip(NEXT) | instid1(VALU_DEP_1)
	v_mul_f32_e32 v0, v124, v0
	v_and_b32_e32 v1, 0x7f800000, v0
	s_delay_alu instid0(VALU_DEP_1)
	v_cmpx_ne_u32_e32 0x7f800000, v1
	s_xor_b32 s75, exec_lo, s75
; %bb.181:                              ;   in Loop: Header=BB12_135 Depth=3
	v_bfe_u32 v1, v0, 16, 1
	s_delay_alu instid0(VALU_DEP_1)
	v_add3_u32 v69, v0, v1, 0x7fff
                                        ; implicit-def: $vgpr0
; %bb.182:                              ;   in Loop: Header=BB12_135 Depth=3
	s_and_not1_saveexec_b32 s75, s75
; %bb.183:                              ;   in Loop: Header=BB12_135 Depth=3
	v_and_b32_e32 v1, 0xffff, v0
	v_or_b32_e32 v4, 0x10000, v0
	s_delay_alu instid0(VALU_DEP_2) | instskip(NEXT) | instid1(VALU_DEP_2)
	v_cmp_eq_u32_e32 vcc_lo, 0, v1
	v_cndmask_b32_e32 v69, v4, v0, vcc_lo
; %bb.184:                              ;   in Loop: Header=BB12_135 Depth=3
	s_or_b32 exec_lo, exec_lo, s75
	v_lshlrev_b32_e32 v0, 16, v70
	s_mov_b32 s75, exec_lo
                                        ; implicit-def: $vgpr72
	s_delay_alu instid0(VALU_DEP_1) | instskip(NEXT) | instid1(VALU_DEP_1)
	v_mul_f32_e32 v0, v124, v0
	v_and_b32_e32 v1, 0x7f800000, v0
	s_delay_alu instid0(VALU_DEP_1)
	v_cmpx_ne_u32_e32 0x7f800000, v1
	s_xor_b32 s75, exec_lo, s75
; %bb.185:                              ;   in Loop: Header=BB12_135 Depth=3
	v_bfe_u32 v1, v0, 16, 1
	s_delay_alu instid0(VALU_DEP_1)
	v_add3_u32 v72, v0, v1, 0x7fff
                                        ; implicit-def: $vgpr0
; %bb.186:                              ;   in Loop: Header=BB12_135 Depth=3
	s_and_not1_saveexec_b32 s75, s75
; %bb.187:                              ;   in Loop: Header=BB12_135 Depth=3
	v_and_b32_e32 v1, 0xffff, v0
	v_or_b32_e32 v4, 0x10000, v0
	s_delay_alu instid0(VALU_DEP_2) | instskip(NEXT) | instid1(VALU_DEP_2)
	v_cmp_eq_u32_e32 vcc_lo, 0, v1
	v_cndmask_b32_e32 v72, v4, v0, vcc_lo
; %bb.188:                              ;   in Loop: Header=BB12_135 Depth=3
	s_or_b32 exec_lo, exec_lo, s75
	v_and_b32_e32 v0, 0xffff0000, v70
	s_mov_b32 s75, exec_lo
                                        ; implicit-def: $vgpr70
	s_delay_alu instid0(VALU_DEP_1) | instskip(NEXT) | instid1(VALU_DEP_1)
	v_mul_f32_e32 v0, v124, v0
	v_and_b32_e32 v1, 0x7f800000, v0
	s_delay_alu instid0(VALU_DEP_1)
	v_cmpx_ne_u32_e32 0x7f800000, v1
	s_xor_b32 s75, exec_lo, s75
; %bb.189:                              ;   in Loop: Header=BB12_135 Depth=3
	v_bfe_u32 v1, v0, 16, 1
	s_delay_alu instid0(VALU_DEP_1)
	v_add3_u32 v70, v0, v1, 0x7fff
                                        ; implicit-def: $vgpr0
; %bb.190:                              ;   in Loop: Header=BB12_135 Depth=3
	s_and_not1_saveexec_b32 s75, s75
; %bb.191:                              ;   in Loop: Header=BB12_135 Depth=3
	v_and_b32_e32 v1, 0xffff, v0
	v_or_b32_e32 v4, 0x10000, v0
	s_delay_alu instid0(VALU_DEP_2) | instskip(NEXT) | instid1(VALU_DEP_2)
	v_cmp_eq_u32_e32 vcc_lo, 0, v1
	v_cndmask_b32_e32 v70, v4, v0, vcc_lo
; %bb.192:                              ;   in Loop: Header=BB12_135 Depth=3
	s_or_b32 exec_lo, exec_lo, s75
	v_lshlrev_b32_e32 v0, 16, v71
	s_mov_b32 s75, exec_lo
                                        ; implicit-def: $vgpr73
	s_delay_alu instid0(VALU_DEP_1) | instskip(NEXT) | instid1(VALU_DEP_1)
	v_mul_f32_e32 v0, v124, v0
	v_and_b32_e32 v1, 0x7f800000, v0
	s_delay_alu instid0(VALU_DEP_1)
	v_cmpx_ne_u32_e32 0x7f800000, v1
	s_xor_b32 s75, exec_lo, s75
; %bb.193:                              ;   in Loop: Header=BB12_135 Depth=3
	v_bfe_u32 v1, v0, 16, 1
	s_delay_alu instid0(VALU_DEP_1)
	v_add3_u32 v73, v0, v1, 0x7fff
                                        ; implicit-def: $vgpr0
; %bb.194:                              ;   in Loop: Header=BB12_135 Depth=3
	s_and_not1_saveexec_b32 s75, s75
; %bb.195:                              ;   in Loop: Header=BB12_135 Depth=3
	v_and_b32_e32 v1, 0xffff, v0
	v_or_b32_e32 v4, 0x10000, v0
	s_delay_alu instid0(VALU_DEP_2) | instskip(NEXT) | instid1(VALU_DEP_2)
	v_cmp_eq_u32_e32 vcc_lo, 0, v1
	v_cndmask_b32_e32 v73, v4, v0, vcc_lo
; %bb.196:                              ;   in Loop: Header=BB12_135 Depth=3
	s_or_b32 exec_lo, exec_lo, s75
	v_and_b32_e32 v0, 0xffff0000, v71
	s_mov_b32 s75, exec_lo
                                        ; implicit-def: $vgpr71
	s_delay_alu instid0(VALU_DEP_1) | instskip(NEXT) | instid1(VALU_DEP_1)
	v_mul_f32_e32 v0, v124, v0
	v_and_b32_e32 v1, 0x7f800000, v0
	s_delay_alu instid0(VALU_DEP_1)
	v_cmpx_ne_u32_e32 0x7f800000, v1
	s_xor_b32 s75, exec_lo, s75
; %bb.197:                              ;   in Loop: Header=BB12_135 Depth=3
	v_bfe_u32 v1, v0, 16, 1
	s_delay_alu instid0(VALU_DEP_1)
	v_add3_u32 v71, v0, v1, 0x7fff
                                        ; implicit-def: $vgpr0
; %bb.198:                              ;   in Loop: Header=BB12_135 Depth=3
	s_and_not1_saveexec_b32 s75, s75
; %bb.199:                              ;   in Loop: Header=BB12_135 Depth=3
	v_and_b32_e32 v1, 0xffff, v0
	v_or_b32_e32 v4, 0x10000, v0
	s_delay_alu instid0(VALU_DEP_2) | instskip(NEXT) | instid1(VALU_DEP_2)
	v_cmp_eq_u32_e32 vcc_lo, 0, v1
	v_cndmask_b32_e32 v71, v4, v0, vcc_lo
; %bb.200:                              ;   in Loop: Header=BB12_135 Depth=3
	s_or_b32 exec_lo, exec_lo, s75
	v_lshlrev_b32_e32 v0, 16, v48
	s_mov_b32 s75, exec_lo
                                        ; implicit-def: $vgpr5
	s_delay_alu instid0(VALU_DEP_1) | instskip(NEXT) | instid1(VALU_DEP_1)
	v_mul_f32_e32 v0, v124, v0
	v_and_b32_e32 v1, 0x7f800000, v0
	s_delay_alu instid0(VALU_DEP_1)
	v_cmpx_ne_u32_e32 0x7f800000, v1
	s_xor_b32 s75, exec_lo, s75
; %bb.201:                              ;   in Loop: Header=BB12_135 Depth=3
	v_bfe_u32 v1, v0, 16, 1
	s_delay_alu instid0(VALU_DEP_1)
	v_add3_u32 v5, v0, v1, 0x7fff
                                        ; implicit-def: $vgpr0
; %bb.202:                              ;   in Loop: Header=BB12_135 Depth=3
	s_and_not1_saveexec_b32 s75, s75
; %bb.203:                              ;   in Loop: Header=BB12_135 Depth=3
	v_and_b32_e32 v1, 0xffff, v0
	v_or_b32_e32 v4, 0x10000, v0
	s_delay_alu instid0(VALU_DEP_2) | instskip(NEXT) | instid1(VALU_DEP_2)
	v_cmp_eq_u32_e32 vcc_lo, 0, v1
	v_cndmask_b32_e32 v5, v4, v0, vcc_lo
; %bb.204:                              ;   in Loop: Header=BB12_135 Depth=3
	s_or_b32 exec_lo, exec_lo, s75
	v_and_b32_e32 v0, 0xffff0000, v48
	s_mov_b32 s75, exec_lo
                                        ; implicit-def: $vgpr48
	s_delay_alu instid0(VALU_DEP_1) | instskip(NEXT) | instid1(VALU_DEP_1)
	v_mul_f32_e32 v0, v124, v0
	v_and_b32_e32 v1, 0x7f800000, v0
	s_delay_alu instid0(VALU_DEP_1)
	v_cmpx_ne_u32_e32 0x7f800000, v1
	s_xor_b32 s75, exec_lo, s75
; %bb.205:                              ;   in Loop: Header=BB12_135 Depth=3
	v_bfe_u32 v1, v0, 16, 1
	s_delay_alu instid0(VALU_DEP_1)
	v_add3_u32 v48, v0, v1, 0x7fff
                                        ; implicit-def: $vgpr0
; %bb.206:                              ;   in Loop: Header=BB12_135 Depth=3
	s_and_not1_saveexec_b32 s75, s75
; %bb.207:                              ;   in Loop: Header=BB12_135 Depth=3
	v_and_b32_e32 v1, 0xffff, v0
	v_or_b32_e32 v4, 0x10000, v0
	s_delay_alu instid0(VALU_DEP_2) | instskip(NEXT) | instid1(VALU_DEP_2)
	v_cmp_eq_u32_e32 vcc_lo, 0, v1
	v_cndmask_b32_e32 v48, v4, v0, vcc_lo
; %bb.208:                              ;   in Loop: Header=BB12_135 Depth=3
	s_or_b32 exec_lo, exec_lo, s75
	v_lshlrev_b32_e32 v0, 16, v49
	s_mov_b32 s75, exec_lo
                                        ; implicit-def: $vgpr91
	s_delay_alu instid0(VALU_DEP_1) | instskip(NEXT) | instid1(VALU_DEP_1)
	v_mul_f32_e32 v0, v124, v0
	v_and_b32_e32 v1, 0x7f800000, v0
	s_delay_alu instid0(VALU_DEP_1)
	v_cmpx_ne_u32_e32 0x7f800000, v1
	s_xor_b32 s75, exec_lo, s75
; %bb.209:                              ;   in Loop: Header=BB12_135 Depth=3
	v_bfe_u32 v1, v0, 16, 1
	s_delay_alu instid0(VALU_DEP_1)
	v_add3_u32 v91, v0, v1, 0x7fff
                                        ; implicit-def: $vgpr0
; %bb.210:                              ;   in Loop: Header=BB12_135 Depth=3
	s_and_not1_saveexec_b32 s75, s75
; %bb.211:                              ;   in Loop: Header=BB12_135 Depth=3
	v_and_b32_e32 v1, 0xffff, v0
	v_or_b32_e32 v4, 0x10000, v0
	s_delay_alu instid0(VALU_DEP_2) | instskip(NEXT) | instid1(VALU_DEP_2)
	v_cmp_eq_u32_e32 vcc_lo, 0, v1
	v_cndmask_b32_e32 v91, v4, v0, vcc_lo
; %bb.212:                              ;   in Loop: Header=BB12_135 Depth=3
	s_or_b32 exec_lo, exec_lo, s75
	v_and_b32_e32 v0, 0xffff0000, v49
	s_mov_b32 s75, exec_lo
                                        ; implicit-def: $vgpr49
	s_delay_alu instid0(VALU_DEP_1) | instskip(NEXT) | instid1(VALU_DEP_1)
	v_mul_f32_e32 v0, v124, v0
	v_and_b32_e32 v1, 0x7f800000, v0
	s_delay_alu instid0(VALU_DEP_1)
	v_cmpx_ne_u32_e32 0x7f800000, v1
	s_xor_b32 s75, exec_lo, s75
; %bb.213:                              ;   in Loop: Header=BB12_135 Depth=3
	v_bfe_u32 v1, v0, 16, 1
	s_delay_alu instid0(VALU_DEP_1)
	v_add3_u32 v49, v0, v1, 0x7fff
                                        ; implicit-def: $vgpr0
; %bb.214:                              ;   in Loop: Header=BB12_135 Depth=3
	s_and_not1_saveexec_b32 s75, s75
; %bb.215:                              ;   in Loop: Header=BB12_135 Depth=3
	v_and_b32_e32 v1, 0xffff, v0
	v_or_b32_e32 v4, 0x10000, v0
	s_delay_alu instid0(VALU_DEP_2) | instskip(NEXT) | instid1(VALU_DEP_2)
	v_cmp_eq_u32_e32 vcc_lo, 0, v1
	v_cndmask_b32_e32 v49, v4, v0, vcc_lo
; %bb.216:                              ;   in Loop: Header=BB12_135 Depth=3
	s_or_b32 exec_lo, exec_lo, s75
	v_lshlrev_b32_e32 v0, 16, v50
	s_mov_b32 s75, exec_lo
                                        ; implicit-def: $vgpr74
	s_delay_alu instid0(VALU_DEP_1) | instskip(NEXT) | instid1(VALU_DEP_1)
	v_mul_f32_e32 v0, v124, v0
	v_and_b32_e32 v1, 0x7f800000, v0
	s_delay_alu instid0(VALU_DEP_1)
	v_cmpx_ne_u32_e32 0x7f800000, v1
	s_xor_b32 s75, exec_lo, s75
; %bb.217:                              ;   in Loop: Header=BB12_135 Depth=3
	v_bfe_u32 v1, v0, 16, 1
	s_delay_alu instid0(VALU_DEP_1)
	v_add3_u32 v74, v0, v1, 0x7fff
                                        ; implicit-def: $vgpr0
; %bb.218:                              ;   in Loop: Header=BB12_135 Depth=3
	s_and_not1_saveexec_b32 s75, s75
; %bb.219:                              ;   in Loop: Header=BB12_135 Depth=3
	v_and_b32_e32 v1, 0xffff, v0
	v_or_b32_e32 v4, 0x10000, v0
	s_delay_alu instid0(VALU_DEP_2) | instskip(NEXT) | instid1(VALU_DEP_2)
	v_cmp_eq_u32_e32 vcc_lo, 0, v1
	v_cndmask_b32_e32 v74, v4, v0, vcc_lo
; %bb.220:                              ;   in Loop: Header=BB12_135 Depth=3
	s_or_b32 exec_lo, exec_lo, s75
	v_and_b32_e32 v0, 0xffff0000, v50
	s_mov_b32 s75, exec_lo
                                        ; implicit-def: $vgpr50
	s_delay_alu instid0(VALU_DEP_1) | instskip(NEXT) | instid1(VALU_DEP_1)
	v_mul_f32_e32 v0, v124, v0
	v_and_b32_e32 v1, 0x7f800000, v0
	s_delay_alu instid0(VALU_DEP_1)
	v_cmpx_ne_u32_e32 0x7f800000, v1
	s_xor_b32 s75, exec_lo, s75
; %bb.221:                              ;   in Loop: Header=BB12_135 Depth=3
	v_bfe_u32 v1, v0, 16, 1
	s_delay_alu instid0(VALU_DEP_1)
	v_add3_u32 v50, v0, v1, 0x7fff
                                        ; implicit-def: $vgpr0
; %bb.222:                              ;   in Loop: Header=BB12_135 Depth=3
	s_and_not1_saveexec_b32 s75, s75
; %bb.223:                              ;   in Loop: Header=BB12_135 Depth=3
	v_and_b32_e32 v1, 0xffff, v0
	v_or_b32_e32 v4, 0x10000, v0
	s_delay_alu instid0(VALU_DEP_2) | instskip(NEXT) | instid1(VALU_DEP_2)
	v_cmp_eq_u32_e32 vcc_lo, 0, v1
	v_cndmask_b32_e32 v50, v4, v0, vcc_lo
; %bb.224:                              ;   in Loop: Header=BB12_135 Depth=3
	s_or_b32 exec_lo, exec_lo, s75
	v_lshlrev_b32_e32 v0, 16, v51
	s_mov_b32 s75, exec_lo
                                        ; implicit-def: $vgpr42
	s_delay_alu instid0(VALU_DEP_1) | instskip(NEXT) | instid1(VALU_DEP_1)
	v_mul_f32_e32 v0, v124, v0
	v_and_b32_e32 v1, 0x7f800000, v0
	s_delay_alu instid0(VALU_DEP_1)
	v_cmpx_ne_u32_e32 0x7f800000, v1
	s_xor_b32 s75, exec_lo, s75
; %bb.225:                              ;   in Loop: Header=BB12_135 Depth=3
	v_bfe_u32 v1, v0, 16, 1
	s_delay_alu instid0(VALU_DEP_1)
	v_add3_u32 v42, v0, v1, 0x7fff
                                        ; implicit-def: $vgpr0
; %bb.226:                              ;   in Loop: Header=BB12_135 Depth=3
	s_and_not1_saveexec_b32 s75, s75
; %bb.227:                              ;   in Loop: Header=BB12_135 Depth=3
	v_and_b32_e32 v1, 0xffff, v0
	v_or_b32_e32 v4, 0x10000, v0
	s_delay_alu instid0(VALU_DEP_2) | instskip(NEXT) | instid1(VALU_DEP_2)
	v_cmp_eq_u32_e32 vcc_lo, 0, v1
	v_cndmask_b32_e32 v42, v4, v0, vcc_lo
; %bb.228:                              ;   in Loop: Header=BB12_135 Depth=3
	s_or_b32 exec_lo, exec_lo, s75
	v_and_b32_e32 v0, 0xffff0000, v51
	s_delay_alu instid0(VALU_DEP_1) | instskip(NEXT) | instid1(VALU_DEP_1)
	v_mul_f32_e32 v0, v124, v0
	v_and_b32_e32 v1, 0x7f800000, v0
	s_delay_alu instid0(VALU_DEP_1) | instskip(SKIP_1) | instid1(SALU_CYCLE_1)
	v_cmp_ne_u32_e32 vcc_lo, 0x7f800000, v1
                                        ; implicit-def: $vgpr1
	s_and_saveexec_b32 s75, vcc_lo
	s_xor_b32 s75, exec_lo, s75
; %bb.229:                              ;   in Loop: Header=BB12_135 Depth=3
	v_bfe_u32 v1, v0, 16, 1
	s_delay_alu instid0(VALU_DEP_1)
	v_add3_u32 v1, v0, v1, 0x7fff
                                        ; implicit-def: $vgpr0
; %bb.230:                              ;   in Loop: Header=BB12_135 Depth=3
	s_and_not1_saveexec_b32 s75, s75
; %bb.231:                              ;   in Loop: Header=BB12_135 Depth=3
	v_and_b32_e32 v1, 0xffff, v0
	v_or_b32_e32 v4, 0x10000, v0
	s_delay_alu instid0(VALU_DEP_2) | instskip(NEXT) | instid1(VALU_DEP_2)
	v_cmp_eq_u32_e32 vcc_lo, 0, v1
	v_cndmask_b32_e32 v1, v4, v0, vcc_lo
; %bb.232:                              ;   in Loop: Header=BB12_135 Depth=3
	s_or_b32 exec_lo, exec_lo, s75
	v_lshlrev_b32_e32 v0, 16, v24
	s_mov_b32 s75, exec_lo
                                        ; implicit-def: $vgpr51
	s_delay_alu instid0(VALU_DEP_1) | instskip(NEXT) | instid1(VALU_DEP_1)
	v_mul_f32_e32 v0, v124, v0
	v_and_b32_e32 v4, 0x7f800000, v0
	s_delay_alu instid0(VALU_DEP_1)
	v_cmpx_ne_u32_e32 0x7f800000, v4
	s_xor_b32 s75, exec_lo, s75
; %bb.233:                              ;   in Loop: Header=BB12_135 Depth=3
	v_bfe_u32 v4, v0, 16, 1
	s_delay_alu instid0(VALU_DEP_1)
	v_add3_u32 v51, v0, v4, 0x7fff
                                        ; implicit-def: $vgpr0
; %bb.234:                              ;   in Loop: Header=BB12_135 Depth=3
	s_and_not1_saveexec_b32 s75, s75
; %bb.235:                              ;   in Loop: Header=BB12_135 Depth=3
	v_and_b32_e32 v4, 0xffff, v0
	v_or_b32_e32 v6, 0x10000, v0
	s_delay_alu instid0(VALU_DEP_2) | instskip(NEXT) | instid1(VALU_DEP_2)
	v_cmp_eq_u32_e32 vcc_lo, 0, v4
	v_cndmask_b32_e32 v51, v6, v0, vcc_lo
; %bb.236:                              ;   in Loop: Header=BB12_135 Depth=3
	s_or_b32 exec_lo, exec_lo, s75
	v_and_b32_e32 v0, 0xffff0000, v24
	s_mov_b32 s75, exec_lo
                                        ; implicit-def: $vgpr24
	s_delay_alu instid0(VALU_DEP_1) | instskip(NEXT) | instid1(VALU_DEP_1)
	v_mul_f32_e32 v0, v124, v0
	v_and_b32_e32 v4, 0x7f800000, v0
	s_delay_alu instid0(VALU_DEP_1)
	v_cmpx_ne_u32_e32 0x7f800000, v4
	s_xor_b32 s75, exec_lo, s75
; %bb.237:                              ;   in Loop: Header=BB12_135 Depth=3
	v_bfe_u32 v4, v0, 16, 1
	s_delay_alu instid0(VALU_DEP_1)
	v_add3_u32 v24, v0, v4, 0x7fff
                                        ; implicit-def: $vgpr0
; %bb.238:                              ;   in Loop: Header=BB12_135 Depth=3
	s_and_not1_saveexec_b32 s75, s75
; %bb.239:                              ;   in Loop: Header=BB12_135 Depth=3
	v_and_b32_e32 v4, 0xffff, v0
	v_or_b32_e32 v6, 0x10000, v0
	s_delay_alu instid0(VALU_DEP_2) | instskip(NEXT) | instid1(VALU_DEP_2)
	v_cmp_eq_u32_e32 vcc_lo, 0, v4
	v_cndmask_b32_e32 v24, v6, v0, vcc_lo
; %bb.240:                              ;   in Loop: Header=BB12_135 Depth=3
	s_or_b32 exec_lo, exec_lo, s75
	v_lshlrev_b32_e32 v0, 16, v25
	s_mov_b32 s75, exec_lo
                                        ; implicit-def: $vgpr43
	s_delay_alu instid0(VALU_DEP_1) | instskip(NEXT) | instid1(VALU_DEP_1)
	v_mul_f32_e32 v0, v124, v0
	v_and_b32_e32 v4, 0x7f800000, v0
	s_delay_alu instid0(VALU_DEP_1)
	v_cmpx_ne_u32_e32 0x7f800000, v4
	s_xor_b32 s75, exec_lo, s75
; %bb.241:                              ;   in Loop: Header=BB12_135 Depth=3
	v_bfe_u32 v4, v0, 16, 1
	s_delay_alu instid0(VALU_DEP_1)
	v_add3_u32 v43, v0, v4, 0x7fff
                                        ; implicit-def: $vgpr0
; %bb.242:                              ;   in Loop: Header=BB12_135 Depth=3
	s_and_not1_saveexec_b32 s75, s75
; %bb.243:                              ;   in Loop: Header=BB12_135 Depth=3
	v_and_b32_e32 v4, 0xffff, v0
	v_or_b32_e32 v6, 0x10000, v0
	s_delay_alu instid0(VALU_DEP_2) | instskip(NEXT) | instid1(VALU_DEP_2)
	v_cmp_eq_u32_e32 vcc_lo, 0, v4
	v_cndmask_b32_e32 v43, v6, v0, vcc_lo
; %bb.244:                              ;   in Loop: Header=BB12_135 Depth=3
	s_or_b32 exec_lo, exec_lo, s75
	v_and_b32_e32 v0, 0xffff0000, v25
	s_mov_b32 s75, exec_lo
                                        ; implicit-def: $vgpr25
	s_delay_alu instid0(VALU_DEP_1) | instskip(NEXT) | instid1(VALU_DEP_1)
	v_mul_f32_e32 v0, v124, v0
	v_and_b32_e32 v4, 0x7f800000, v0
	s_delay_alu instid0(VALU_DEP_1)
	v_cmpx_ne_u32_e32 0x7f800000, v4
	s_xor_b32 s75, exec_lo, s75
; %bb.245:                              ;   in Loop: Header=BB12_135 Depth=3
	v_bfe_u32 v4, v0, 16, 1
	s_delay_alu instid0(VALU_DEP_1)
	v_add3_u32 v25, v0, v4, 0x7fff
                                        ; implicit-def: $vgpr0
; %bb.246:                              ;   in Loop: Header=BB12_135 Depth=3
	s_and_not1_saveexec_b32 s75, s75
; %bb.247:                              ;   in Loop: Header=BB12_135 Depth=3
	v_and_b32_e32 v4, 0xffff, v0
	v_or_b32_e32 v6, 0x10000, v0
	s_delay_alu instid0(VALU_DEP_2) | instskip(NEXT) | instid1(VALU_DEP_2)
	v_cmp_eq_u32_e32 vcc_lo, 0, v4
	v_cndmask_b32_e32 v25, v6, v0, vcc_lo
; %bb.248:                              ;   in Loop: Header=BB12_135 Depth=3
	s_or_b32 exec_lo, exec_lo, s75
	v_lshlrev_b32_e32 v0, 16, v26
	s_mov_b32 s75, exec_lo
                                        ; implicit-def: $vgpr75
	s_delay_alu instid0(VALU_DEP_1) | instskip(NEXT) | instid1(VALU_DEP_1)
	v_mul_f32_e32 v0, v124, v0
	v_and_b32_e32 v4, 0x7f800000, v0
	s_delay_alu instid0(VALU_DEP_1)
	v_cmpx_ne_u32_e32 0x7f800000, v4
	s_xor_b32 s75, exec_lo, s75
; %bb.249:                              ;   in Loop: Header=BB12_135 Depth=3
	v_bfe_u32 v4, v0, 16, 1
	s_delay_alu instid0(VALU_DEP_1)
	v_add3_u32 v75, v0, v4, 0x7fff
                                        ; implicit-def: $vgpr0
; %bb.250:                              ;   in Loop: Header=BB12_135 Depth=3
	s_and_not1_saveexec_b32 s75, s75
; %bb.251:                              ;   in Loop: Header=BB12_135 Depth=3
	v_and_b32_e32 v4, 0xffff, v0
	v_or_b32_e32 v6, 0x10000, v0
	s_delay_alu instid0(VALU_DEP_2) | instskip(NEXT) | instid1(VALU_DEP_2)
	v_cmp_eq_u32_e32 vcc_lo, 0, v4
	v_cndmask_b32_e32 v75, v6, v0, vcc_lo
; %bb.252:                              ;   in Loop: Header=BB12_135 Depth=3
	s_or_b32 exec_lo, exec_lo, s75
	v_and_b32_e32 v0, 0xffff0000, v26
	s_mov_b32 s75, exec_lo
                                        ; implicit-def: $vgpr26
	s_delay_alu instid0(VALU_DEP_1) | instskip(NEXT) | instid1(VALU_DEP_1)
	v_mul_f32_e32 v0, v124, v0
	v_and_b32_e32 v4, 0x7f800000, v0
	s_delay_alu instid0(VALU_DEP_1)
	v_cmpx_ne_u32_e32 0x7f800000, v4
	s_xor_b32 s75, exec_lo, s75
; %bb.253:                              ;   in Loop: Header=BB12_135 Depth=3
	v_bfe_u32 v4, v0, 16, 1
	s_delay_alu instid0(VALU_DEP_1)
	v_add3_u32 v26, v0, v4, 0x7fff
                                        ; implicit-def: $vgpr0
; %bb.254:                              ;   in Loop: Header=BB12_135 Depth=3
	s_and_not1_saveexec_b32 s75, s75
; %bb.255:                              ;   in Loop: Header=BB12_135 Depth=3
	v_and_b32_e32 v4, 0xffff, v0
	v_or_b32_e32 v6, 0x10000, v0
	s_delay_alu instid0(VALU_DEP_2) | instskip(NEXT) | instid1(VALU_DEP_2)
	v_cmp_eq_u32_e32 vcc_lo, 0, v4
	v_cndmask_b32_e32 v26, v6, v0, vcc_lo
; %bb.256:                              ;   in Loop: Header=BB12_135 Depth=3
	s_or_b32 exec_lo, exec_lo, s75
	v_lshlrev_b32_e32 v0, 16, v27
	s_mov_b32 s75, exec_lo
                                        ; implicit-def: $vgpr78
	s_delay_alu instid0(VALU_DEP_1) | instskip(NEXT) | instid1(VALU_DEP_1)
	v_mul_f32_e32 v0, v124, v0
	v_and_b32_e32 v4, 0x7f800000, v0
	s_delay_alu instid0(VALU_DEP_1)
	v_cmpx_ne_u32_e32 0x7f800000, v4
	s_xor_b32 s75, exec_lo, s75
; %bb.257:                              ;   in Loop: Header=BB12_135 Depth=3
	v_bfe_u32 v4, v0, 16, 1
	s_delay_alu instid0(VALU_DEP_1)
	v_add3_u32 v78, v0, v4, 0x7fff
                                        ; implicit-def: $vgpr0
; %bb.258:                              ;   in Loop: Header=BB12_135 Depth=3
	s_and_not1_saveexec_b32 s75, s75
; %bb.259:                              ;   in Loop: Header=BB12_135 Depth=3
	v_and_b32_e32 v4, 0xffff, v0
	v_or_b32_e32 v6, 0x10000, v0
	s_delay_alu instid0(VALU_DEP_2) | instskip(NEXT) | instid1(VALU_DEP_2)
	v_cmp_eq_u32_e32 vcc_lo, 0, v4
	v_cndmask_b32_e32 v78, v6, v0, vcc_lo
; %bb.260:                              ;   in Loop: Header=BB12_135 Depth=3
	s_or_b32 exec_lo, exec_lo, s75
	v_and_b32_e32 v0, 0xffff0000, v27
	s_mov_b32 s75, exec_lo
                                        ; implicit-def: $vgpr27
	s_delay_alu instid0(VALU_DEP_1) | instskip(NEXT) | instid1(VALU_DEP_1)
	v_mul_f32_e32 v0, v124, v0
	v_and_b32_e32 v4, 0x7f800000, v0
	s_delay_alu instid0(VALU_DEP_1)
	v_cmpx_ne_u32_e32 0x7f800000, v4
	s_xor_b32 s75, exec_lo, s75
; %bb.261:                              ;   in Loop: Header=BB12_135 Depth=3
	v_bfe_u32 v4, v0, 16, 1
	s_delay_alu instid0(VALU_DEP_1)
	v_add3_u32 v27, v0, v4, 0x7fff
                                        ; implicit-def: $vgpr0
; %bb.262:                              ;   in Loop: Header=BB12_135 Depth=3
	s_and_not1_saveexec_b32 s75, s75
; %bb.263:                              ;   in Loop: Header=BB12_135 Depth=3
	v_and_b32_e32 v4, 0xffff, v0
	v_or_b32_e32 v6, 0x10000, v0
	s_delay_alu instid0(VALU_DEP_2) | instskip(NEXT) | instid1(VALU_DEP_2)
	v_cmp_eq_u32_e32 vcc_lo, 0, v4
	v_cndmask_b32_e32 v27, v6, v0, vcc_lo
; %bb.264:                              ;   in Loop: Header=BB12_135 Depth=3
	s_or_b32 exec_lo, exec_lo, s75
	v_lshlrev_b32_e32 v0, 16, v20
	s_mov_b32 s75, exec_lo
                                        ; implicit-def: $vgpr79
	s_delay_alu instid0(VALU_DEP_1) | instskip(NEXT) | instid1(VALU_DEP_1)
	v_mul_f32_e32 v0, v124, v0
	v_and_b32_e32 v4, 0x7f800000, v0
	s_delay_alu instid0(VALU_DEP_1)
	v_cmpx_ne_u32_e32 0x7f800000, v4
	s_xor_b32 s75, exec_lo, s75
; %bb.265:                              ;   in Loop: Header=BB12_135 Depth=3
	v_bfe_u32 v4, v0, 16, 1
	s_delay_alu instid0(VALU_DEP_1)
	v_add3_u32 v79, v0, v4, 0x7fff
                                        ; implicit-def: $vgpr0
; %bb.266:                              ;   in Loop: Header=BB12_135 Depth=3
	s_and_not1_saveexec_b32 s75, s75
; %bb.267:                              ;   in Loop: Header=BB12_135 Depth=3
	v_and_b32_e32 v4, 0xffff, v0
	v_or_b32_e32 v6, 0x10000, v0
	s_delay_alu instid0(VALU_DEP_2) | instskip(NEXT) | instid1(VALU_DEP_2)
	v_cmp_eq_u32_e32 vcc_lo, 0, v4
	v_cndmask_b32_e32 v79, v6, v0, vcc_lo
; %bb.268:                              ;   in Loop: Header=BB12_135 Depth=3
	s_or_b32 exec_lo, exec_lo, s75
	v_and_b32_e32 v0, 0xffff0000, v20
	s_mov_b32 s75, exec_lo
                                        ; implicit-def: $vgpr20
	s_delay_alu instid0(VALU_DEP_1) | instskip(NEXT) | instid1(VALU_DEP_1)
	v_mul_f32_e32 v0, v124, v0
	v_and_b32_e32 v4, 0x7f800000, v0
	s_delay_alu instid0(VALU_DEP_1)
	v_cmpx_ne_u32_e32 0x7f800000, v4
	s_xor_b32 s75, exec_lo, s75
; %bb.269:                              ;   in Loop: Header=BB12_135 Depth=3
	v_bfe_u32 v4, v0, 16, 1
	s_delay_alu instid0(VALU_DEP_1)
	v_add3_u32 v20, v0, v4, 0x7fff
                                        ; implicit-def: $vgpr0
; %bb.270:                              ;   in Loop: Header=BB12_135 Depth=3
	s_and_not1_saveexec_b32 s75, s75
; %bb.271:                              ;   in Loop: Header=BB12_135 Depth=3
	v_and_b32_e32 v4, 0xffff, v0
	v_or_b32_e32 v6, 0x10000, v0
	s_delay_alu instid0(VALU_DEP_2) | instskip(NEXT) | instid1(VALU_DEP_2)
	v_cmp_eq_u32_e32 vcc_lo, 0, v4
	v_cndmask_b32_e32 v20, v6, v0, vcc_lo
; %bb.272:                              ;   in Loop: Header=BB12_135 Depth=3
	s_or_b32 exec_lo, exec_lo, s75
	v_lshlrev_b32_e32 v0, 16, v21
	s_delay_alu instid0(VALU_DEP_1) | instskip(NEXT) | instid1(VALU_DEP_1)
	v_mul_f32_e32 v4, v124, v0
	v_and_b32_e32 v0, 0x7f800000, v4
	s_delay_alu instid0(VALU_DEP_1) | instskip(SKIP_1) | instid1(SALU_CYCLE_1)
	v_cmp_ne_u32_e32 vcc_lo, 0x7f800000, v0
                                        ; implicit-def: $vgpr0
	s_and_saveexec_b32 s75, vcc_lo
	s_xor_b32 s75, exec_lo, s75
; %bb.273:                              ;   in Loop: Header=BB12_135 Depth=3
	v_bfe_u32 v0, v4, 16, 1
	s_delay_alu instid0(VALU_DEP_1)
	v_add3_u32 v0, v4, v0, 0x7fff
                                        ; implicit-def: $vgpr4
; %bb.274:                              ;   in Loop: Header=BB12_135 Depth=3
	s_and_not1_saveexec_b32 s75, s75
; %bb.275:                              ;   in Loop: Header=BB12_135 Depth=3
	v_and_b32_e32 v0, 0xffff, v4
	v_or_b32_e32 v6, 0x10000, v4
	s_delay_alu instid0(VALU_DEP_2) | instskip(NEXT) | instid1(VALU_DEP_2)
	v_cmp_eq_u32_e32 vcc_lo, 0, v0
	v_cndmask_b32_e32 v0, v6, v4, vcc_lo
; %bb.276:                              ;   in Loop: Header=BB12_135 Depth=3
	s_or_b32 exec_lo, exec_lo, s75
	v_and_b32_e32 v4, 0xffff0000, v21
	s_delay_alu instid0(VALU_DEP_1) | instskip(NEXT) | instid1(VALU_DEP_1)
	v_mul_f32_e32 v4, v124, v4
	v_and_b32_e32 v6, 0x7f800000, v4
	s_delay_alu instid0(VALU_DEP_1) | instskip(SKIP_1) | instid1(SALU_CYCLE_1)
	v_cmp_ne_u32_e32 vcc_lo, 0x7f800000, v6
                                        ; implicit-def: $vgpr6
	s_and_saveexec_b32 s75, vcc_lo
	s_xor_b32 s75, exec_lo, s75
; %bb.277:                              ;   in Loop: Header=BB12_135 Depth=3
	v_bfe_u32 v6, v4, 16, 1
	s_delay_alu instid0(VALU_DEP_1)
	v_add3_u32 v6, v4, v6, 0x7fff
                                        ; implicit-def: $vgpr4
; %bb.278:                              ;   in Loop: Header=BB12_135 Depth=3
	s_and_not1_saveexec_b32 s75, s75
; %bb.279:                              ;   in Loop: Header=BB12_135 Depth=3
	v_and_b32_e32 v6, 0xffff, v4
	v_or_b32_e32 v7, 0x10000, v4
	s_delay_alu instid0(VALU_DEP_2) | instskip(NEXT) | instid1(VALU_DEP_2)
	v_cmp_eq_u32_e32 vcc_lo, 0, v6
	v_cndmask_b32_e32 v6, v7, v4, vcc_lo
; %bb.280:                              ;   in Loop: Header=BB12_135 Depth=3
	s_or_b32 exec_lo, exec_lo, s75
	v_lshlrev_b32_e32 v4, 16, v22
	s_delay_alu instid0(VALU_DEP_1) | instskip(NEXT) | instid1(VALU_DEP_1)
	v_mul_f32_e32 v4, v124, v4
	v_and_b32_e32 v7, 0x7f800000, v4
	s_delay_alu instid0(VALU_DEP_1) | instskip(SKIP_1) | instid1(SALU_CYCLE_1)
	v_cmp_ne_u32_e32 vcc_lo, 0x7f800000, v7
                                        ; implicit-def: $vgpr7
	s_and_saveexec_b32 s75, vcc_lo
	s_xor_b32 s75, exec_lo, s75
; %bb.281:                              ;   in Loop: Header=BB12_135 Depth=3
	v_bfe_u32 v7, v4, 16, 1
	s_delay_alu instid0(VALU_DEP_1)
	v_add3_u32 v7, v4, v7, 0x7fff
                                        ; implicit-def: $vgpr4
; %bb.282:                              ;   in Loop: Header=BB12_135 Depth=3
	s_and_not1_saveexec_b32 s75, s75
; %bb.283:                              ;   in Loop: Header=BB12_135 Depth=3
	v_and_b32_e32 v7, 0xffff, v4
	v_or_b32_e32 v21, 0x10000, v4
	s_delay_alu instid0(VALU_DEP_2) | instskip(NEXT) | instid1(VALU_DEP_2)
	v_cmp_eq_u32_e32 vcc_lo, 0, v7
	v_cndmask_b32_e32 v7, v21, v4, vcc_lo
; %bb.284:                              ;   in Loop: Header=BB12_135 Depth=3
	s_or_b32 exec_lo, exec_lo, s75
	v_and_b32_e32 v4, 0xffff0000, v22
	s_mov_b32 s75, exec_lo
                                        ; implicit-def: $vgpr22
	s_delay_alu instid0(VALU_DEP_1) | instskip(NEXT) | instid1(VALU_DEP_1)
	v_mul_f32_e32 v4, v124, v4
	v_and_b32_e32 v21, 0x7f800000, v4
	s_delay_alu instid0(VALU_DEP_1)
	v_cmpx_ne_u32_e32 0x7f800000, v21
	s_xor_b32 s75, exec_lo, s75
; %bb.285:                              ;   in Loop: Header=BB12_135 Depth=3
	v_bfe_u32 v21, v4, 16, 1
	s_delay_alu instid0(VALU_DEP_1)
	v_add3_u32 v22, v4, v21, 0x7fff
                                        ; implicit-def: $vgpr4
; %bb.286:                              ;   in Loop: Header=BB12_135 Depth=3
	s_and_not1_saveexec_b32 s75, s75
; %bb.287:                              ;   in Loop: Header=BB12_135 Depth=3
	v_and_b32_e32 v21, 0xffff, v4
	v_or_b32_e32 v22, 0x10000, v4
	s_delay_alu instid0(VALU_DEP_2) | instskip(NEXT) | instid1(VALU_DEP_2)
	v_cmp_eq_u32_e32 vcc_lo, 0, v21
	v_cndmask_b32_e32 v22, v22, v4, vcc_lo
; %bb.288:                              ;   in Loop: Header=BB12_135 Depth=3
	s_or_b32 exec_lo, exec_lo, s75
	v_lshlrev_b32_e32 v4, 16, v23
	s_delay_alu instid0(VALU_DEP_1) | instskip(NEXT) | instid1(VALU_DEP_1)
	v_mul_f32_e32 v4, v124, v4
	v_and_b32_e32 v21, 0x7f800000, v4
	s_delay_alu instid0(VALU_DEP_1) | instskip(SKIP_1) | instid1(SALU_CYCLE_1)
	v_cmp_ne_u32_e32 vcc_lo, 0x7f800000, v21
                                        ; implicit-def: $vgpr21
	s_and_saveexec_b32 s75, vcc_lo
	s_xor_b32 s75, exec_lo, s75
; %bb.289:                              ;   in Loop: Header=BB12_135 Depth=3
	v_bfe_u32 v21, v4, 16, 1
	s_delay_alu instid0(VALU_DEP_1)
	v_add3_u32 v21, v4, v21, 0x7fff
                                        ; implicit-def: $vgpr4
; %bb.290:                              ;   in Loop: Header=BB12_135 Depth=3
	s_and_not1_saveexec_b32 s75, s75
; %bb.291:                              ;   in Loop: Header=BB12_135 Depth=3
	v_and_b32_e32 v21, 0xffff, v4
	v_or_b32_e32 v28, 0x10000, v4
	s_delay_alu instid0(VALU_DEP_2) | instskip(NEXT) | instid1(VALU_DEP_2)
	v_cmp_eq_u32_e32 vcc_lo, 0, v21
	v_cndmask_b32_e32 v21, v28, v4, vcc_lo
; %bb.292:                              ;   in Loop: Header=BB12_135 Depth=3
	s_or_b32 exec_lo, exec_lo, s75
	v_and_b32_e32 v4, 0xffff0000, v23
	s_delay_alu instid0(VALU_DEP_1) | instskip(NEXT) | instid1(VALU_DEP_1)
	v_mul_f32_e32 v4, v124, v4
	v_and_b32_e32 v23, 0x7f800000, v4
	s_delay_alu instid0(VALU_DEP_1) | instskip(SKIP_1) | instid1(SALU_CYCLE_1)
	v_cmp_ne_u32_e32 vcc_lo, 0x7f800000, v23
                                        ; implicit-def: $vgpr23
	s_and_saveexec_b32 s75, vcc_lo
	s_xor_b32 s75, exec_lo, s75
; %bb.293:                              ;   in Loop: Header=BB12_135 Depth=3
	v_bfe_u32 v23, v4, 16, 1
	s_delay_alu instid0(VALU_DEP_1)
	v_add3_u32 v23, v4, v23, 0x7fff
                                        ; implicit-def: $vgpr4
; %bb.294:                              ;   in Loop: Header=BB12_135 Depth=3
	s_and_not1_saveexec_b32 s75, s75
; %bb.295:                              ;   in Loop: Header=BB12_135 Depth=3
	v_and_b32_e32 v23, 0xffff, v4
	v_or_b32_e32 v28, 0x10000, v4
	s_delay_alu instid0(VALU_DEP_2) | instskip(NEXT) | instid1(VALU_DEP_2)
	v_cmp_eq_u32_e32 vcc_lo, 0, v23
	v_cndmask_b32_e32 v23, v28, v4, vcc_lo
; %bb.296:                              ;   in Loop: Header=BB12_135 Depth=3
	s_or_b32 exec_lo, exec_lo, s75
	v_lshlrev_b32_e32 v4, 16, v16
	s_mov_b32 s75, exec_lo
                                        ; implicit-def: $vgpr44
	s_delay_alu instid0(VALU_DEP_1) | instskip(NEXT) | instid1(VALU_DEP_1)
	v_mul_f32_e32 v4, v124, v4
	v_and_b32_e32 v28, 0x7f800000, v4
	s_delay_alu instid0(VALU_DEP_1)
	v_cmpx_ne_u32_e32 0x7f800000, v28
	s_xor_b32 s75, exec_lo, s75
; %bb.297:                              ;   in Loop: Header=BB12_135 Depth=3
	v_bfe_u32 v28, v4, 16, 1
	s_delay_alu instid0(VALU_DEP_1)
	v_add3_u32 v44, v4, v28, 0x7fff
                                        ; implicit-def: $vgpr4
; %bb.298:                              ;   in Loop: Header=BB12_135 Depth=3
	s_and_not1_saveexec_b32 s75, s75
; %bb.299:                              ;   in Loop: Header=BB12_135 Depth=3
	v_and_b32_e32 v28, 0xffff, v4
	v_or_b32_e32 v44, 0x10000, v4
	s_delay_alu instid0(VALU_DEP_2) | instskip(NEXT) | instid1(VALU_DEP_2)
	v_cmp_eq_u32_e32 vcc_lo, 0, v28
	v_cndmask_b32_e32 v44, v44, v4, vcc_lo
; %bb.300:                              ;   in Loop: Header=BB12_135 Depth=3
	s_or_b32 exec_lo, exec_lo, s75
	v_and_b32_e32 v4, 0xffff0000, v16
	s_delay_alu instid0(VALU_DEP_1) | instskip(NEXT) | instid1(VALU_DEP_1)
	v_mul_f32_e32 v4, v124, v4
	v_and_b32_e32 v16, 0x7f800000, v4
	s_delay_alu instid0(VALU_DEP_1) | instskip(SKIP_1) | instid1(SALU_CYCLE_1)
	v_cmp_ne_u32_e32 vcc_lo, 0x7f800000, v16
                                        ; implicit-def: $vgpr16
	s_and_saveexec_b32 s75, vcc_lo
	s_xor_b32 s75, exec_lo, s75
; %bb.301:                              ;   in Loop: Header=BB12_135 Depth=3
	v_bfe_u32 v16, v4, 16, 1
	s_delay_alu instid0(VALU_DEP_1)
	v_add3_u32 v16, v4, v16, 0x7fff
                                        ; implicit-def: $vgpr4
; %bb.302:                              ;   in Loop: Header=BB12_135 Depth=3
	s_and_not1_saveexec_b32 s75, s75
; %bb.303:                              ;   in Loop: Header=BB12_135 Depth=3
	v_and_b32_e32 v16, 0xffff, v4
	v_or_b32_e32 v28, 0x10000, v4
	s_delay_alu instid0(VALU_DEP_2) | instskip(NEXT) | instid1(VALU_DEP_2)
	v_cmp_eq_u32_e32 vcc_lo, 0, v16
	v_cndmask_b32_e32 v16, v28, v4, vcc_lo
; %bb.304:                              ;   in Loop: Header=BB12_135 Depth=3
	s_or_b32 exec_lo, exec_lo, s75
	v_lshlrev_b32_e32 v4, 16, v17
	s_mov_b32 s75, exec_lo
                                        ; implicit-def: $vgpr45
	s_delay_alu instid0(VALU_DEP_1) | instskip(NEXT) | instid1(VALU_DEP_1)
	v_mul_f32_e32 v4, v124, v4
	v_and_b32_e32 v28, 0x7f800000, v4
	s_delay_alu instid0(VALU_DEP_1)
	v_cmpx_ne_u32_e32 0x7f800000, v28
	s_xor_b32 s75, exec_lo, s75
; %bb.305:                              ;   in Loop: Header=BB12_135 Depth=3
	v_bfe_u32 v28, v4, 16, 1
	s_delay_alu instid0(VALU_DEP_1)
	v_add3_u32 v45, v4, v28, 0x7fff
                                        ; implicit-def: $vgpr4
; %bb.306:                              ;   in Loop: Header=BB12_135 Depth=3
	s_and_not1_saveexec_b32 s75, s75
; %bb.307:                              ;   in Loop: Header=BB12_135 Depth=3
	v_and_b32_e32 v28, 0xffff, v4
	v_or_b32_e32 v45, 0x10000, v4
	s_delay_alu instid0(VALU_DEP_2) | instskip(NEXT) | instid1(VALU_DEP_2)
	v_cmp_eq_u32_e32 vcc_lo, 0, v28
	v_cndmask_b32_e32 v45, v45, v4, vcc_lo
; %bb.308:                              ;   in Loop: Header=BB12_135 Depth=3
	s_or_b32 exec_lo, exec_lo, s75
	v_and_b32_e32 v4, 0xffff0000, v17
	s_delay_alu instid0(VALU_DEP_1) | instskip(NEXT) | instid1(VALU_DEP_1)
	v_mul_f32_e32 v4, v124, v4
	v_and_b32_e32 v17, 0x7f800000, v4
	s_delay_alu instid0(VALU_DEP_1) | instskip(SKIP_1) | instid1(SALU_CYCLE_1)
	v_cmp_ne_u32_e32 vcc_lo, 0x7f800000, v17
                                        ; implicit-def: $vgpr17
	s_and_saveexec_b32 s75, vcc_lo
	s_xor_b32 s75, exec_lo, s75
; %bb.309:                              ;   in Loop: Header=BB12_135 Depth=3
	v_bfe_u32 v17, v4, 16, 1
	s_delay_alu instid0(VALU_DEP_1)
	v_add3_u32 v17, v4, v17, 0x7fff
                                        ; implicit-def: $vgpr4
; %bb.310:                              ;   in Loop: Header=BB12_135 Depth=3
	s_and_not1_saveexec_b32 s75, s75
; %bb.311:                              ;   in Loop: Header=BB12_135 Depth=3
	v_and_b32_e32 v17, 0xffff, v4
	v_or_b32_e32 v28, 0x10000, v4
	s_delay_alu instid0(VALU_DEP_2) | instskip(NEXT) | instid1(VALU_DEP_2)
	v_cmp_eq_u32_e32 vcc_lo, 0, v17
	v_cndmask_b32_e32 v17, v28, v4, vcc_lo
; %bb.312:                              ;   in Loop: Header=BB12_135 Depth=3
	s_or_b32 exec_lo, exec_lo, s75
	v_lshlrev_b32_e32 v4, 16, v18
	s_mov_b32 s75, exec_lo
                                        ; implicit-def: $vgpr46
	s_delay_alu instid0(VALU_DEP_1) | instskip(NEXT) | instid1(VALU_DEP_1)
	v_mul_f32_e32 v4, v124, v4
	v_and_b32_e32 v28, 0x7f800000, v4
	s_delay_alu instid0(VALU_DEP_1)
	v_cmpx_ne_u32_e32 0x7f800000, v28
	s_xor_b32 s75, exec_lo, s75
; %bb.313:                              ;   in Loop: Header=BB12_135 Depth=3
	v_bfe_u32 v28, v4, 16, 1
	s_delay_alu instid0(VALU_DEP_1)
	v_add3_u32 v46, v4, v28, 0x7fff
                                        ; implicit-def: $vgpr4
; %bb.314:                              ;   in Loop: Header=BB12_135 Depth=3
	s_and_not1_saveexec_b32 s75, s75
; %bb.315:                              ;   in Loop: Header=BB12_135 Depth=3
	v_and_b32_e32 v28, 0xffff, v4
	v_or_b32_e32 v46, 0x10000, v4
	s_delay_alu instid0(VALU_DEP_2) | instskip(NEXT) | instid1(VALU_DEP_2)
	v_cmp_eq_u32_e32 vcc_lo, 0, v28
	v_cndmask_b32_e32 v46, v46, v4, vcc_lo
; %bb.316:                              ;   in Loop: Header=BB12_135 Depth=3
	s_or_b32 exec_lo, exec_lo, s75
	v_and_b32_e32 v4, 0xffff0000, v18
	s_delay_alu instid0(VALU_DEP_1) | instskip(NEXT) | instid1(VALU_DEP_1)
	v_mul_f32_e32 v4, v124, v4
	v_and_b32_e32 v18, 0x7f800000, v4
	s_delay_alu instid0(VALU_DEP_1) | instskip(SKIP_1) | instid1(SALU_CYCLE_1)
	v_cmp_ne_u32_e32 vcc_lo, 0x7f800000, v18
                                        ; implicit-def: $vgpr18
	s_and_saveexec_b32 s75, vcc_lo
	s_xor_b32 s75, exec_lo, s75
; %bb.317:                              ;   in Loop: Header=BB12_135 Depth=3
	v_bfe_u32 v18, v4, 16, 1
	s_delay_alu instid0(VALU_DEP_1)
	v_add3_u32 v18, v4, v18, 0x7fff
                                        ; implicit-def: $vgpr4
; %bb.318:                              ;   in Loop: Header=BB12_135 Depth=3
	s_and_not1_saveexec_b32 s75, s75
; %bb.319:                              ;   in Loop: Header=BB12_135 Depth=3
	v_and_b32_e32 v18, 0xffff, v4
	v_or_b32_e32 v28, 0x10000, v4
	s_delay_alu instid0(VALU_DEP_2) | instskip(NEXT) | instid1(VALU_DEP_2)
	v_cmp_eq_u32_e32 vcc_lo, 0, v18
	v_cndmask_b32_e32 v18, v28, v4, vcc_lo
; %bb.320:                              ;   in Loop: Header=BB12_135 Depth=3
	s_or_b32 exec_lo, exec_lo, s75
	v_lshlrev_b32_e32 v4, 16, v19
	s_mov_b32 s75, exec_lo
                                        ; implicit-def: $vgpr47
	s_delay_alu instid0(VALU_DEP_1) | instskip(NEXT) | instid1(VALU_DEP_1)
	v_mul_f32_e32 v4, v124, v4
	v_and_b32_e32 v28, 0x7f800000, v4
	s_delay_alu instid0(VALU_DEP_1)
	v_cmpx_ne_u32_e32 0x7f800000, v28
	s_xor_b32 s75, exec_lo, s75
; %bb.321:                              ;   in Loop: Header=BB12_135 Depth=3
	v_bfe_u32 v28, v4, 16, 1
	s_delay_alu instid0(VALU_DEP_1)
	v_add3_u32 v47, v4, v28, 0x7fff
                                        ; implicit-def: $vgpr4
; %bb.322:                              ;   in Loop: Header=BB12_135 Depth=3
	s_and_not1_saveexec_b32 s75, s75
; %bb.323:                              ;   in Loop: Header=BB12_135 Depth=3
	v_and_b32_e32 v28, 0xffff, v4
	v_or_b32_e32 v47, 0x10000, v4
	s_delay_alu instid0(VALU_DEP_2) | instskip(NEXT) | instid1(VALU_DEP_2)
	v_cmp_eq_u32_e32 vcc_lo, 0, v28
	v_cndmask_b32_e32 v47, v47, v4, vcc_lo
; %bb.324:                              ;   in Loop: Header=BB12_135 Depth=3
	s_or_b32 exec_lo, exec_lo, s75
	v_and_b32_e32 v4, 0xffff0000, v19
	s_delay_alu instid0(VALU_DEP_1) | instskip(NEXT) | instid1(VALU_DEP_1)
	v_mul_f32_e32 v4, v124, v4
	v_and_b32_e32 v19, 0x7f800000, v4
	s_delay_alu instid0(VALU_DEP_1) | instskip(SKIP_1) | instid1(SALU_CYCLE_1)
	v_cmp_ne_u32_e32 vcc_lo, 0x7f800000, v19
                                        ; implicit-def: $vgpr19
	s_and_saveexec_b32 s75, vcc_lo
	s_xor_b32 s75, exec_lo, s75
; %bb.325:                              ;   in Loop: Header=BB12_135 Depth=3
	v_bfe_u32 v19, v4, 16, 1
	s_delay_alu instid0(VALU_DEP_1)
	v_add3_u32 v19, v4, v19, 0x7fff
                                        ; implicit-def: $vgpr4
; %bb.326:                              ;   in Loop: Header=BB12_135 Depth=3
	s_and_not1_saveexec_b32 s75, s75
; %bb.327:                              ;   in Loop: Header=BB12_135 Depth=3
	v_and_b32_e32 v19, 0xffff, v4
	v_or_b32_e32 v28, 0x10000, v4
	s_delay_alu instid0(VALU_DEP_2) | instskip(NEXT) | instid1(VALU_DEP_2)
	v_cmp_eq_u32_e32 vcc_lo, 0, v19
	v_cndmask_b32_e32 v19, v28, v4, vcc_lo
; %bb.328:                              ;   in Loop: Header=BB12_135 Depth=3
	s_or_b32 exec_lo, exec_lo, s75
	v_lshlrev_b32_e32 v4, 16, v12
	s_mov_b32 s75, exec_lo
                                        ; implicit-def: $vgpr106
	s_delay_alu instid0(VALU_DEP_1) | instskip(NEXT) | instid1(VALU_DEP_1)
	v_mul_f32_e32 v4, v124, v4
	v_and_b32_e32 v28, 0x7f800000, v4
	s_delay_alu instid0(VALU_DEP_1)
	v_cmpx_ne_u32_e32 0x7f800000, v28
	s_xor_b32 s75, exec_lo, s75
; %bb.329:                              ;   in Loop: Header=BB12_135 Depth=3
	v_bfe_u32 v28, v4, 16, 1
	s_delay_alu instid0(VALU_DEP_1)
	v_add3_u32 v106, v4, v28, 0x7fff
                                        ; implicit-def: $vgpr4
; %bb.330:                              ;   in Loop: Header=BB12_135 Depth=3
	s_and_not1_saveexec_b32 s75, s75
; %bb.331:                              ;   in Loop: Header=BB12_135 Depth=3
	v_and_b32_e32 v28, 0xffff, v4
	v_or_b32_e32 v90, 0x10000, v4
	s_delay_alu instid0(VALU_DEP_2) | instskip(NEXT) | instid1(VALU_DEP_2)
	v_cmp_eq_u32_e32 vcc_lo, 0, v28
	v_cndmask_b32_e32 v106, v90, v4, vcc_lo
; %bb.332:                              ;   in Loop: Header=BB12_135 Depth=3
	s_or_b32 exec_lo, exec_lo, s75
	v_and_b32_e32 v4, 0xffff0000, v12
	s_delay_alu instid0(VALU_DEP_1) | instskip(NEXT) | instid1(VALU_DEP_1)
	v_mul_f32_e32 v4, v124, v4
	v_and_b32_e32 v12, 0x7f800000, v4
	s_delay_alu instid0(VALU_DEP_1) | instskip(SKIP_1) | instid1(SALU_CYCLE_1)
	v_cmp_ne_u32_e32 vcc_lo, 0x7f800000, v12
                                        ; implicit-def: $vgpr12
	s_and_saveexec_b32 s75, vcc_lo
	s_xor_b32 s75, exec_lo, s75
; %bb.333:                              ;   in Loop: Header=BB12_135 Depth=3
	v_bfe_u32 v12, v4, 16, 1
	s_delay_alu instid0(VALU_DEP_1)
	v_add3_u32 v12, v4, v12, 0x7fff
                                        ; implicit-def: $vgpr4
; %bb.334:                              ;   in Loop: Header=BB12_135 Depth=3
	s_and_not1_saveexec_b32 s75, s75
; %bb.335:                              ;   in Loop: Header=BB12_135 Depth=3
	v_and_b32_e32 v12, 0xffff, v4
	v_or_b32_e32 v28, 0x10000, v4
	s_delay_alu instid0(VALU_DEP_2) | instskip(NEXT) | instid1(VALU_DEP_2)
	v_cmp_eq_u32_e32 vcc_lo, 0, v12
	v_cndmask_b32_e32 v12, v28, v4, vcc_lo
; %bb.336:                              ;   in Loop: Header=BB12_135 Depth=3
	s_or_b32 exec_lo, exec_lo, s75
	v_lshlrev_b32_e32 v4, 16, v13
	s_mov_b32 s75, exec_lo
                                        ; implicit-def: $vgpr107
	s_delay_alu instid0(VALU_DEP_1) | instskip(NEXT) | instid1(VALU_DEP_1)
	v_mul_f32_e32 v4, v124, v4
	v_and_b32_e32 v28, 0x7f800000, v4
	s_delay_alu instid0(VALU_DEP_1)
	v_cmpx_ne_u32_e32 0x7f800000, v28
	s_xor_b32 s75, exec_lo, s75
; %bb.337:                              ;   in Loop: Header=BB12_135 Depth=3
	v_bfe_u32 v28, v4, 16, 1
	s_delay_alu instid0(VALU_DEP_1)
	v_add3_u32 v107, v4, v28, 0x7fff
                                        ; implicit-def: $vgpr4
; %bb.338:                              ;   in Loop: Header=BB12_135 Depth=3
	s_and_not1_saveexec_b32 s75, s75
; %bb.339:                              ;   in Loop: Header=BB12_135 Depth=3
	v_and_b32_e32 v28, 0xffff, v4
	v_or_b32_e32 v90, 0x10000, v4
	s_delay_alu instid0(VALU_DEP_2) | instskip(NEXT) | instid1(VALU_DEP_2)
	v_cmp_eq_u32_e32 vcc_lo, 0, v28
	v_cndmask_b32_e32 v107, v90, v4, vcc_lo
; %bb.340:                              ;   in Loop: Header=BB12_135 Depth=3
	s_or_b32 exec_lo, exec_lo, s75
	v_and_b32_e32 v4, 0xffff0000, v13
	s_delay_alu instid0(VALU_DEP_1) | instskip(NEXT) | instid1(VALU_DEP_1)
	v_mul_f32_e32 v4, v124, v4
	v_and_b32_e32 v13, 0x7f800000, v4
	s_delay_alu instid0(VALU_DEP_1) | instskip(SKIP_1) | instid1(SALU_CYCLE_1)
	v_cmp_ne_u32_e32 vcc_lo, 0x7f800000, v13
                                        ; implicit-def: $vgpr13
	s_and_saveexec_b32 s75, vcc_lo
	s_xor_b32 s75, exec_lo, s75
; %bb.341:                              ;   in Loop: Header=BB12_135 Depth=3
	v_bfe_u32 v13, v4, 16, 1
	s_delay_alu instid0(VALU_DEP_1)
	v_add3_u32 v13, v4, v13, 0x7fff
                                        ; implicit-def: $vgpr4
; %bb.342:                              ;   in Loop: Header=BB12_135 Depth=3
	s_and_not1_saveexec_b32 s75, s75
; %bb.343:                              ;   in Loop: Header=BB12_135 Depth=3
	v_and_b32_e32 v13, 0xffff, v4
	v_or_b32_e32 v28, 0x10000, v4
	s_delay_alu instid0(VALU_DEP_2) | instskip(NEXT) | instid1(VALU_DEP_2)
	v_cmp_eq_u32_e32 vcc_lo, 0, v13
	v_cndmask_b32_e32 v13, v28, v4, vcc_lo
; %bb.344:                              ;   in Loop: Header=BB12_135 Depth=3
	s_or_b32 exec_lo, exec_lo, s75
	v_lshlrev_b32_e32 v4, 16, v14
	s_mov_b32 s75, exec_lo
                                        ; implicit-def: $vgpr120
	s_delay_alu instid0(VALU_DEP_1) | instskip(NEXT) | instid1(VALU_DEP_1)
	v_mul_f32_e32 v4, v124, v4
	v_and_b32_e32 v28, 0x7f800000, v4
	s_delay_alu instid0(VALU_DEP_1)
	v_cmpx_ne_u32_e32 0x7f800000, v28
	s_xor_b32 s75, exec_lo, s75
; %bb.345:                              ;   in Loop: Header=BB12_135 Depth=3
	v_bfe_u32 v28, v4, 16, 1
	s_delay_alu instid0(VALU_DEP_1)
	v_add3_u32 v120, v4, v28, 0x7fff
                                        ; implicit-def: $vgpr4
; %bb.346:                              ;   in Loop: Header=BB12_135 Depth=3
	s_and_not1_saveexec_b32 s75, s75
; %bb.347:                              ;   in Loop: Header=BB12_135 Depth=3
	v_and_b32_e32 v28, 0xffff, v4
	v_or_b32_e32 v90, 0x10000, v4
	s_delay_alu instid0(VALU_DEP_2) | instskip(NEXT) | instid1(VALU_DEP_2)
	v_cmp_eq_u32_e32 vcc_lo, 0, v28
	v_cndmask_b32_e32 v120, v90, v4, vcc_lo
; %bb.348:                              ;   in Loop: Header=BB12_135 Depth=3
	s_or_b32 exec_lo, exec_lo, s75
	v_and_b32_e32 v4, 0xffff0000, v14
	s_delay_alu instid0(VALU_DEP_1) | instskip(NEXT) | instid1(VALU_DEP_1)
	v_mul_f32_e32 v4, v124, v4
	v_and_b32_e32 v14, 0x7f800000, v4
	s_delay_alu instid0(VALU_DEP_1) | instskip(SKIP_1) | instid1(SALU_CYCLE_1)
	v_cmp_ne_u32_e32 vcc_lo, 0x7f800000, v14
                                        ; implicit-def: $vgpr14
	s_and_saveexec_b32 s75, vcc_lo
	s_xor_b32 s75, exec_lo, s75
; %bb.349:                              ;   in Loop: Header=BB12_135 Depth=3
	v_bfe_u32 v14, v4, 16, 1
	s_delay_alu instid0(VALU_DEP_1)
	v_add3_u32 v14, v4, v14, 0x7fff
                                        ; implicit-def: $vgpr4
; %bb.350:                              ;   in Loop: Header=BB12_135 Depth=3
	s_and_not1_saveexec_b32 s75, s75
; %bb.351:                              ;   in Loop: Header=BB12_135 Depth=3
	v_and_b32_e32 v14, 0xffff, v4
	v_or_b32_e32 v28, 0x10000, v4
	s_delay_alu instid0(VALU_DEP_2) | instskip(NEXT) | instid1(VALU_DEP_2)
	v_cmp_eq_u32_e32 vcc_lo, 0, v14
	v_cndmask_b32_e32 v14, v28, v4, vcc_lo
; %bb.352:                              ;   in Loop: Header=BB12_135 Depth=3
	s_or_b32 exec_lo, exec_lo, s75
	v_lshlrev_b32_e32 v4, 16, v15
	s_delay_alu instid0(VALU_DEP_1) | instskip(NEXT) | instid1(VALU_DEP_1)
	v_mul_f32_e32 v28, v124, v4
	v_and_b32_e32 v4, 0x7f800000, v28
	s_delay_alu instid0(VALU_DEP_1) | instskip(SKIP_1) | instid1(SALU_CYCLE_1)
	v_cmp_ne_u32_e32 vcc_lo, 0x7f800000, v4
                                        ; implicit-def: $vgpr4
	s_and_saveexec_b32 s75, vcc_lo
	s_xor_b32 s75, exec_lo, s75
; %bb.353:                              ;   in Loop: Header=BB12_135 Depth=3
	v_bfe_u32 v4, v28, 16, 1
	s_delay_alu instid0(VALU_DEP_1)
	v_add3_u32 v4, v28, v4, 0x7fff
                                        ; implicit-def: $vgpr28
; %bb.354:                              ;   in Loop: Header=BB12_135 Depth=3
	s_and_not1_saveexec_b32 s75, s75
; %bb.355:                              ;   in Loop: Header=BB12_135 Depth=3
	v_and_b32_e32 v4, 0xffff, v28
	v_or_b32_e32 v90, 0x10000, v28
	s_delay_alu instid0(VALU_DEP_2) | instskip(NEXT) | instid1(VALU_DEP_2)
	v_cmp_eq_u32_e32 vcc_lo, 0, v4
	v_cndmask_b32_e32 v4, v90, v28, vcc_lo
; %bb.356:                              ;   in Loop: Header=BB12_135 Depth=3
	s_or_b32 exec_lo, exec_lo, s75
	v_and_b32_e32 v15, 0xffff0000, v15
	s_delay_alu instid0(VALU_DEP_1) | instskip(NEXT) | instid1(VALU_DEP_1)
	v_mul_f32_e32 v28, v124, v15
	v_and_b32_e32 v15, 0x7f800000, v28
	s_delay_alu instid0(VALU_DEP_1) | instskip(SKIP_1) | instid1(SALU_CYCLE_1)
	v_cmp_ne_u32_e32 vcc_lo, 0x7f800000, v15
                                        ; implicit-def: $vgpr15
	s_and_saveexec_b32 s75, vcc_lo
	s_xor_b32 s75, exec_lo, s75
; %bb.357:                              ;   in Loop: Header=BB12_135 Depth=3
	v_bfe_u32 v15, v28, 16, 1
	s_delay_alu instid0(VALU_DEP_1)
	v_add3_u32 v15, v28, v15, 0x7fff
                                        ; implicit-def: $vgpr28
; %bb.358:                              ;   in Loop: Header=BB12_135 Depth=3
	s_and_not1_saveexec_b32 s75, s75
; %bb.359:                              ;   in Loop: Header=BB12_135 Depth=3
	v_and_b32_e32 v15, 0xffff, v28
	v_or_b32_e32 v90, 0x10000, v28
	s_delay_alu instid0(VALU_DEP_2) | instskip(NEXT) | instid1(VALU_DEP_2)
	v_cmp_eq_u32_e32 vcc_lo, 0, v15
	v_cndmask_b32_e32 v15, v90, v28, vcc_lo
; %bb.360:                              ;   in Loop: Header=BB12_135 Depth=3
	s_or_b32 exec_lo, exec_lo, s75
	v_lshlrev_b32_e32 v28, 16, v8
	s_mov_b32 s75, exec_lo
                                        ; implicit-def: $vgpr121
	s_delay_alu instid0(VALU_DEP_1) | instskip(NEXT) | instid1(VALU_DEP_1)
	v_mul_f32_e32 v28, v124, v28
	v_and_b32_e32 v90, 0x7f800000, v28
	s_delay_alu instid0(VALU_DEP_1)
	v_cmpx_ne_u32_e32 0x7f800000, v90
	s_xor_b32 s75, exec_lo, s75
; %bb.361:                              ;   in Loop: Header=BB12_135 Depth=3
	v_bfe_u32 v90, v28, 16, 1
	s_delay_alu instid0(VALU_DEP_1)
	v_add3_u32 v121, v28, v90, 0x7fff
                                        ; implicit-def: $vgpr28
; %bb.362:                              ;   in Loop: Header=BB12_135 Depth=3
	s_and_not1_saveexec_b32 s75, s75
; %bb.363:                              ;   in Loop: Header=BB12_135 Depth=3
	v_and_b32_e32 v90, 0xffff, v28
	v_or_b32_e32 v94, 0x10000, v28
	s_delay_alu instid0(VALU_DEP_2) | instskip(NEXT) | instid1(VALU_DEP_2)
	v_cmp_eq_u32_e32 vcc_lo, 0, v90
	v_cndmask_b32_e32 v121, v94, v28, vcc_lo
; %bb.364:                              ;   in Loop: Header=BB12_135 Depth=3
	s_or_b32 exec_lo, exec_lo, s75
	v_and_b32_e32 v8, 0xffff0000, v8
	s_delay_alu instid0(VALU_DEP_1) | instskip(NEXT) | instid1(VALU_DEP_1)
	v_mul_f32_e32 v28, v124, v8
	v_and_b32_e32 v8, 0x7f800000, v28
	s_delay_alu instid0(VALU_DEP_1) | instskip(SKIP_1) | instid1(SALU_CYCLE_1)
	v_cmp_ne_u32_e32 vcc_lo, 0x7f800000, v8
                                        ; implicit-def: $vgpr8
	s_and_saveexec_b32 s75, vcc_lo
	s_xor_b32 s75, exec_lo, s75
; %bb.365:                              ;   in Loop: Header=BB12_135 Depth=3
	v_bfe_u32 v8, v28, 16, 1
	s_delay_alu instid0(VALU_DEP_1)
	v_add3_u32 v8, v28, v8, 0x7fff
                                        ; implicit-def: $vgpr28
; %bb.366:                              ;   in Loop: Header=BB12_135 Depth=3
	s_and_not1_saveexec_b32 s75, s75
; %bb.367:                              ;   in Loop: Header=BB12_135 Depth=3
	v_and_b32_e32 v8, 0xffff, v28
	v_or_b32_e32 v90, 0x10000, v28
	s_delay_alu instid0(VALU_DEP_2) | instskip(NEXT) | instid1(VALU_DEP_2)
	v_cmp_eq_u32_e32 vcc_lo, 0, v8
	v_cndmask_b32_e32 v8, v90, v28, vcc_lo
; %bb.368:                              ;   in Loop: Header=BB12_135 Depth=3
	s_or_b32 exec_lo, exec_lo, s75
	v_lshlrev_b32_e32 v28, 16, v9
	s_mov_b32 s75, exec_lo
                                        ; implicit-def: $vgpr122
	s_delay_alu instid0(VALU_DEP_1) | instskip(NEXT) | instid1(VALU_DEP_1)
	v_mul_f32_e32 v28, v124, v28
	v_and_b32_e32 v90, 0x7f800000, v28
	s_delay_alu instid0(VALU_DEP_1)
	v_cmpx_ne_u32_e32 0x7f800000, v90
	s_xor_b32 s75, exec_lo, s75
; %bb.369:                              ;   in Loop: Header=BB12_135 Depth=3
	v_bfe_u32 v90, v28, 16, 1
	s_delay_alu instid0(VALU_DEP_1)
	v_add3_u32 v122, v28, v90, 0x7fff
                                        ; implicit-def: $vgpr28
; %bb.370:                              ;   in Loop: Header=BB12_135 Depth=3
	s_and_not1_saveexec_b32 s75, s75
; %bb.371:                              ;   in Loop: Header=BB12_135 Depth=3
	v_and_b32_e32 v90, 0xffff, v28
	v_or_b32_e32 v94, 0x10000, v28
	s_delay_alu instid0(VALU_DEP_2) | instskip(NEXT) | instid1(VALU_DEP_2)
	v_cmp_eq_u32_e32 vcc_lo, 0, v90
	v_cndmask_b32_e32 v122, v94, v28, vcc_lo
; %bb.372:                              ;   in Loop: Header=BB12_135 Depth=3
	s_or_b32 exec_lo, exec_lo, s75
	v_and_b32_e32 v9, 0xffff0000, v9
	s_delay_alu instid0(VALU_DEP_1) | instskip(NEXT) | instid1(VALU_DEP_1)
	v_mul_f32_e32 v28, v124, v9
	v_and_b32_e32 v9, 0x7f800000, v28
	s_delay_alu instid0(VALU_DEP_1) | instskip(SKIP_1) | instid1(SALU_CYCLE_1)
	v_cmp_ne_u32_e32 vcc_lo, 0x7f800000, v9
                                        ; implicit-def: $vgpr9
	s_and_saveexec_b32 s75, vcc_lo
	s_xor_b32 s75, exec_lo, s75
; %bb.373:                              ;   in Loop: Header=BB12_135 Depth=3
	v_bfe_u32 v9, v28, 16, 1
	s_delay_alu instid0(VALU_DEP_1)
	v_add3_u32 v9, v28, v9, 0x7fff
                                        ; implicit-def: $vgpr28
; %bb.374:                              ;   in Loop: Header=BB12_135 Depth=3
	s_and_not1_saveexec_b32 s75, s75
; %bb.375:                              ;   in Loop: Header=BB12_135 Depth=3
	v_and_b32_e32 v9, 0xffff, v28
	v_or_b32_e32 v90, 0x10000, v28
	s_delay_alu instid0(VALU_DEP_2) | instskip(NEXT) | instid1(VALU_DEP_2)
	v_cmp_eq_u32_e32 vcc_lo, 0, v9
	v_cndmask_b32_e32 v9, v90, v28, vcc_lo
; %bb.376:                              ;   in Loop: Header=BB12_135 Depth=3
	s_or_b32 exec_lo, exec_lo, s75
	v_lshlrev_b32_e32 v28, 16, v10
	s_mov_b32 s75, exec_lo
                                        ; implicit-def: $vgpr123
	s_delay_alu instid0(VALU_DEP_1) | instskip(NEXT) | instid1(VALU_DEP_1)
	v_mul_f32_e32 v28, v124, v28
	v_and_b32_e32 v90, 0x7f800000, v28
	s_delay_alu instid0(VALU_DEP_1)
	v_cmpx_ne_u32_e32 0x7f800000, v90
	s_xor_b32 s75, exec_lo, s75
; %bb.377:                              ;   in Loop: Header=BB12_135 Depth=3
	v_bfe_u32 v90, v28, 16, 1
	s_delay_alu instid0(VALU_DEP_1)
	v_add3_u32 v123, v28, v90, 0x7fff
                                        ; implicit-def: $vgpr28
; %bb.378:                              ;   in Loop: Header=BB12_135 Depth=3
	s_and_not1_saveexec_b32 s75, s75
; %bb.379:                              ;   in Loop: Header=BB12_135 Depth=3
	v_and_b32_e32 v90, 0xffff, v28
	v_or_b32_e32 v94, 0x10000, v28
	s_delay_alu instid0(VALU_DEP_2) | instskip(NEXT) | instid1(VALU_DEP_2)
	v_cmp_eq_u32_e32 vcc_lo, 0, v90
	v_cndmask_b32_e32 v123, v94, v28, vcc_lo
; %bb.380:                              ;   in Loop: Header=BB12_135 Depth=3
	s_or_b32 exec_lo, exec_lo, s75
	v_and_b32_e32 v10, 0xffff0000, v10
	s_delay_alu instid0(VALU_DEP_1) | instskip(NEXT) | instid1(VALU_DEP_1)
	v_mul_f32_e32 v28, v124, v10
	v_and_b32_e32 v10, 0x7f800000, v28
	s_delay_alu instid0(VALU_DEP_1) | instskip(SKIP_1) | instid1(SALU_CYCLE_1)
	v_cmp_ne_u32_e32 vcc_lo, 0x7f800000, v10
                                        ; implicit-def: $vgpr10
	s_and_saveexec_b32 s75, vcc_lo
	s_xor_b32 s75, exec_lo, s75
; %bb.381:                              ;   in Loop: Header=BB12_135 Depth=3
	v_bfe_u32 v10, v28, 16, 1
	s_delay_alu instid0(VALU_DEP_1)
	v_add3_u32 v10, v28, v10, 0x7fff
                                        ; implicit-def: $vgpr28
; %bb.382:                              ;   in Loop: Header=BB12_135 Depth=3
	s_and_not1_saveexec_b32 s75, s75
; %bb.383:                              ;   in Loop: Header=BB12_135 Depth=3
	v_and_b32_e32 v10, 0xffff, v28
	v_or_b32_e32 v90, 0x10000, v28
	s_delay_alu instid0(VALU_DEP_2) | instskip(NEXT) | instid1(VALU_DEP_2)
	v_cmp_eq_u32_e32 vcc_lo, 0, v10
	v_cndmask_b32_e32 v10, v90, v28, vcc_lo
; %bb.384:                              ;   in Loop: Header=BB12_135 Depth=3
	s_or_b32 exec_lo, exec_lo, s75
	v_lshlrev_b32_e32 v28, 16, v11
	s_delay_alu instid0(VALU_DEP_1) | instskip(NEXT) | instid1(VALU_DEP_1)
	v_mul_f32_e32 v90, v124, v28
	v_and_b32_e32 v28, 0x7f800000, v90
	s_delay_alu instid0(VALU_DEP_1) | instskip(SKIP_1) | instid1(SALU_CYCLE_1)
	v_cmp_ne_u32_e32 vcc_lo, 0x7f800000, v28
                                        ; implicit-def: $vgpr28
	s_and_saveexec_b32 s75, vcc_lo
	s_xor_b32 s75, exec_lo, s75
; %bb.385:                              ;   in Loop: Header=BB12_135 Depth=3
	v_bfe_u32 v28, v90, 16, 1
	s_delay_alu instid0(VALU_DEP_1)
	v_add3_u32 v28, v90, v28, 0x7fff
                                        ; implicit-def: $vgpr90
; %bb.386:                              ;   in Loop: Header=BB12_135 Depth=3
	s_and_not1_saveexec_b32 s75, s75
; %bb.387:                              ;   in Loop: Header=BB12_135 Depth=3
	v_and_b32_e32 v28, 0xffff, v90
	v_or_b32_e32 v94, 0x10000, v90
	s_delay_alu instid0(VALU_DEP_2) | instskip(NEXT) | instid1(VALU_DEP_2)
	v_cmp_eq_u32_e32 vcc_lo, 0, v28
	v_cndmask_b32_e32 v28, v94, v90, vcc_lo
; %bb.388:                              ;   in Loop: Header=BB12_135 Depth=3
	s_or_b32 exec_lo, exec_lo, s75
	v_and_b32_e32 v11, 0xffff0000, v11
	s_delay_alu instid0(VALU_DEP_1) | instskip(NEXT) | instid1(VALU_DEP_1)
	v_mul_f32_e32 v90, v124, v11
	v_and_b32_e32 v11, 0x7f800000, v90
	s_delay_alu instid0(VALU_DEP_1) | instskip(SKIP_1) | instid1(SALU_CYCLE_1)
	v_cmp_ne_u32_e32 vcc_lo, 0x7f800000, v11
                                        ; implicit-def: $vgpr11
	s_and_saveexec_b32 s75, vcc_lo
	s_xor_b32 s75, exec_lo, s75
; %bb.389:                              ;   in Loop: Header=BB12_135 Depth=3
	v_bfe_u32 v11, v90, 16, 1
	s_delay_alu instid0(VALU_DEP_1)
	v_add3_u32 v11, v90, v11, 0x7fff
                                        ; implicit-def: $vgpr90
; %bb.390:                              ;   in Loop: Header=BB12_135 Depth=3
	s_and_not1_saveexec_b32 s75, s75
; %bb.391:                              ;   in Loop: Header=BB12_135 Depth=3
	v_and_b32_e32 v11, 0xffff, v90
	v_or_b32_e32 v94, 0x10000, v90
	s_delay_alu instid0(VALU_DEP_2) | instskip(NEXT) | instid1(VALU_DEP_2)
	v_cmp_eq_u32_e32 vcc_lo, 0, v11
	v_cndmask_b32_e32 v11, v94, v90, vcc_lo
; %bb.392:                              ;   in Loop: Header=BB12_135 Depth=3
	s_or_b32 exec_lo, exec_lo, s75
	v_dual_lshrrev_b32 v95, 16, v120 :: v_dual_lshrrev_b32 v45, 16, v45
	v_dual_lshrrev_b32 v4, 16, v4 :: v_dual_lshrrev_b32 v46, 16, v46
	v_lshrrev_b32_e32 v44, 16, v44
	v_lshrrev_b32_e32 v0, 16, v0
	s_delay_alu instid0(VALU_DEP_4) | instskip(NEXT) | instid1(VALU_DEP_4)
	v_and_or_b32 v17, 0xffff0000, v17, v45
	v_and_or_b32 v15, 0xffff0000, v15, v4
	v_lshrrev_b32_e32 v4, 16, v47
	v_and_or_b32 v16, 0xffff0000, v16, v44
	v_lshrrev_b32_e32 v44, 16, v79
	v_dual_lshrrev_b32 v7, 16, v7 :: v_dual_lshrrev_b32 v45, 16, v21
	v_and_or_b32 v21, 0xffff0000, v6, v0
	v_lshrrev_b32_e32 v0, 16, v43
	v_and_or_b32 v19, 0xffff0000, v19, v4
	s_delay_alu instid0(VALU_DEP_4) | instskip(SKIP_1) | instid1(VALU_DEP_4)
	v_and_or_b32 v22, 0xffff0000, v22, v7
	v_dual_lshrrev_b32 v4, 16, v51 :: v_dual_lshrrev_b32 v7, 16, v78
	v_and_or_b32 v25, 0xffff0000, v25, v0
	v_dual_lshrrev_b32 v0, 16, v5 :: v_dual_lshrrev_b32 v6, 16, v75
	v_dual_lshrrev_b32 v51, 16, v91 :: v_dual_lshrrev_b32 v5, 16, v42
	s_delay_alu instid0(VALU_DEP_4)
	v_and_or_b32 v24, 0xffff0000, v24, v4
	v_lshrrev_b32_e32 v4, 16, v74
	v_lshrrev_b32_e32 v2, 16, v2
	v_and_or_b32 v48, 0xffff0000, v48, v0
	v_lshrrev_b32_e32 v0, 16, v72
	v_and_or_b32 v26, 0xffff0000, v26, v6
	v_and_or_b32 v49, 0xffff0000, v49, v51
	v_lshrrev_b32_e32 v6, 16, v29
	v_and_or_b32 v50, 0xffff0000, v50, v4
	v_and_or_b32 v51, 0xffff0000, v1, v5
	;; [unrolled: 1-line block ×3, first 2 shown]
	v_dual_lshrrev_b32 v1, 16, v73 :: v_dual_lshrrev_b32 v2, 16, v96
	v_lshrrev_b32_e32 v4, 16, v30
	v_lshrrev_b32_e32 v5, 16, v118
	v_and_or_b32 v70, 0xffff0000, v70, v0
	v_lshrrev_b32_e32 v0, 16, v119
	v_dual_lshrrev_b32 v90, 16, v107 :: v_dual_lshrrev_b32 v94, 16, v106
	v_and_or_b32 v71, 0xffff0000, v71, v1
	v_and_or_b32 v97, 0xffff0000, v97, v2
	;; [unrolled: 1-line block ×4, first 2 shown]
	v_dual_lshrrev_b32 v1, 16, v122 :: v_dual_lshrrev_b32 v2, 16, v121
	v_dual_lshrrev_b32 v4, 16, v123 :: v_dual_lshrrev_b32 v5, 16, v28
	v_and_or_b32 v99, 0xffff0000, v99, v0
	v_and_or_b32 v68, 0xffff0000, v68, v6
	;; [unrolled: 1-line block ×13, first 2 shown]
	s_clause 0x7
	global_store_b128 v[76:77], v[96:99], off th:TH_STORE_NT
	global_store_b128 v[76:77], v[68:71], off offset:512 th:TH_STORE_NT
	global_store_b128 v[76:77], v[48:51], off offset:1024 th:TH_STORE_NT
	global_store_b128 v[76:77], v[24:27], off offset:1536 th:TH_STORE_NT
	global_store_b128 v[76:77], v[20:23], off offset:2048 th:TH_STORE_NT
	global_store_b128 v[76:77], v[16:19], off offset:2560 th:TH_STORE_NT
	global_store_b128 v[76:77], v[12:15], off offset:3072 th:TH_STORE_NT
	global_store_b128 v[76:77], v[8:11], off offset:3584 th:TH_STORE_NT
	scratch_load_b64 v[0:1], off, s33 offset:272 ; 8-byte Folded Reload
	s_wait_loadcnt 0x0
	s_wait_xcnt 0x1
	v_add_nc_u64_e32 v[76:77], v[76:77], v[0:1]
.LBB12_393:                             ;   in Loop: Header=BB12_135 Depth=3
	s_wait_xcnt 0x0
	s_or_b32 exec_lo, exec_lo, s76
	scratch_load_b64 v[0:1], off, s33 offset:272 ; 8-byte Folded Reload
	v_sub_nc_u32_e32 v30, v125, v60
	s_delay_alu instid0(VALU_DEP_1)
	v_cmp_lt_i32_e64 s75, 0, v30
	s_wait_loadcnt 0x0
	v_add_nc_u64_e32 v[62:63], v[62:63], v[0:1]
	s_wait_xcnt 0x0
	s_and_saveexec_b32 s76, s75
	s_cbranch_execz .LBB12_395
; %bb.394:                              ;   in Loop: Header=BB12_135 Depth=3
	s_clause 0x7
	global_load_b128 v[96:99], v[62:63], off th:TH_LOAD_NT
	global_load_b128 v[68:71], v[62:63], off offset:512 th:TH_LOAD_NT
	global_load_b128 v[48:51], v[62:63], off offset:1024 th:TH_LOAD_NT
	;; [unrolled: 1-line block ×7, first 2 shown]
	s_wait_xcnt 0x0
	v_add_nc_u64_e32 v[62:63], 0x1000, v[62:63]
.LBB12_395:                             ;   in Loop: Header=BB12_135 Depth=3
	s_or_b32 exec_lo, exec_lo, s76
	v_lshlrev_b32_e32 v0, 16, v112
	s_mov_b32 s76, exec_lo
                                        ; implicit-def: $vgpr31
	s_delay_alu instid0(VALU_DEP_1) | instskip(NEXT) | instid1(VALU_DEP_1)
	v_mul_f32_e32 v0, v124, v0
	v_and_b32_e32 v1, 0x7f800000, v0
	s_delay_alu instid0(VALU_DEP_1)
	v_cmpx_ne_u32_e32 0x7f800000, v1
	s_xor_b32 s76, exec_lo, s76
; %bb.396:                              ;   in Loop: Header=BB12_135 Depth=3
	v_bfe_u32 v1, v0, 16, 1
	s_delay_alu instid0(VALU_DEP_1)
	v_add3_u32 v31, v0, v1, 0x7fff
                                        ; implicit-def: $vgpr0
; %bb.397:                              ;   in Loop: Header=BB12_135 Depth=3
	s_and_not1_saveexec_b32 s76, s76
; %bb.398:                              ;   in Loop: Header=BB12_135 Depth=3
	v_and_b32_e32 v1, 0xffff, v0
	v_or_b32_e32 v2, 0x10000, v0
	s_delay_alu instid0(VALU_DEP_2) | instskip(NEXT) | instid1(VALU_DEP_2)
	v_cmp_eq_u32_e32 vcc_lo, 0, v1
	v_cndmask_b32_e32 v31, v2, v0, vcc_lo
; %bb.399:                              ;   in Loop: Header=BB12_135 Depth=3
	s_or_b32 exec_lo, exec_lo, s76
	v_and_b32_e32 v0, 0xffff0000, v112
	s_mov_b32 s76, exec_lo
                                        ; implicit-def: $vgpr112
	s_delay_alu instid0(VALU_DEP_1) | instskip(NEXT) | instid1(VALU_DEP_1)
	v_mul_f32_e32 v0, v124, v0
	v_and_b32_e32 v1, 0x7f800000, v0
	s_delay_alu instid0(VALU_DEP_1)
	v_cmpx_ne_u32_e32 0x7f800000, v1
	s_xor_b32 s76, exec_lo, s76
; %bb.400:                              ;   in Loop: Header=BB12_135 Depth=3
	v_bfe_u32 v1, v0, 16, 1
	s_delay_alu instid0(VALU_DEP_1)
	v_add3_u32 v112, v0, v1, 0x7fff
                                        ; implicit-def: $vgpr0
; %bb.401:                              ;   in Loop: Header=BB12_135 Depth=3
	s_and_not1_saveexec_b32 s76, s76
; %bb.402:                              ;   in Loop: Header=BB12_135 Depth=3
	v_and_b32_e32 v1, 0xffff, v0
	v_or_b32_e32 v2, 0x10000, v0
	s_delay_alu instid0(VALU_DEP_2) | instskip(NEXT) | instid1(VALU_DEP_2)
	v_cmp_eq_u32_e32 vcc_lo, 0, v1
	v_cndmask_b32_e32 v112, v2, v0, vcc_lo
; %bb.403:                              ;   in Loop: Header=BB12_135 Depth=3
	s_or_b32 exec_lo, exec_lo, s76
	v_lshlrev_b32_e32 v0, 16, v113
	s_mov_b32 s76, exec_lo
                                        ; implicit-def: $vgpr125
	s_delay_alu instid0(VALU_DEP_1) | instskip(NEXT) | instid1(VALU_DEP_1)
	v_mul_f32_e32 v0, v124, v0
	v_and_b32_e32 v1, 0x7f800000, v0
	s_delay_alu instid0(VALU_DEP_1)
	v_cmpx_ne_u32_e32 0x7f800000, v1
	s_xor_b32 s76, exec_lo, s76
; %bb.404:                              ;   in Loop: Header=BB12_135 Depth=3
	v_bfe_u32 v1, v0, 16, 1
	s_delay_alu instid0(VALU_DEP_1)
	v_add3_u32 v125, v0, v1, 0x7fff
                                        ; implicit-def: $vgpr0
; %bb.405:                              ;   in Loop: Header=BB12_135 Depth=3
	s_and_not1_saveexec_b32 s76, s76
; %bb.406:                              ;   in Loop: Header=BB12_135 Depth=3
	v_and_b32_e32 v1, 0xffff, v0
	v_or_b32_e32 v2, 0x10000, v0
	s_delay_alu instid0(VALU_DEP_2) | instskip(NEXT) | instid1(VALU_DEP_2)
	v_cmp_eq_u32_e32 vcc_lo, 0, v1
	v_cndmask_b32_e32 v125, v2, v0, vcc_lo
; %bb.407:                              ;   in Loop: Header=BB12_135 Depth=3
	s_or_b32 exec_lo, exec_lo, s76
	v_and_b32_e32 v0, 0xffff0000, v113
	s_mov_b32 s76, exec_lo
                                        ; implicit-def: $vgpr113
	s_delay_alu instid0(VALU_DEP_1) | instskip(NEXT) | instid1(VALU_DEP_1)
	v_mul_f32_e32 v0, v124, v0
	v_and_b32_e32 v1, 0x7f800000, v0
	s_delay_alu instid0(VALU_DEP_1)
	v_cmpx_ne_u32_e32 0x7f800000, v1
	s_xor_b32 s76, exec_lo, s76
; %bb.408:                              ;   in Loop: Header=BB12_135 Depth=3
	v_bfe_u32 v1, v0, 16, 1
	s_delay_alu instid0(VALU_DEP_1)
	v_add3_u32 v113, v0, v1, 0x7fff
                                        ; implicit-def: $vgpr0
; %bb.409:                              ;   in Loop: Header=BB12_135 Depth=3
	s_and_not1_saveexec_b32 s76, s76
; %bb.410:                              ;   in Loop: Header=BB12_135 Depth=3
	v_and_b32_e32 v1, 0xffff, v0
	v_or_b32_e32 v2, 0x10000, v0
	s_delay_alu instid0(VALU_DEP_2) | instskip(NEXT) | instid1(VALU_DEP_2)
	v_cmp_eq_u32_e32 vcc_lo, 0, v1
	v_cndmask_b32_e32 v113, v2, v0, vcc_lo
; %bb.411:                              ;   in Loop: Header=BB12_135 Depth=3
	s_or_b32 exec_lo, exec_lo, s76
	v_lshlrev_b32_e32 v0, 16, v114
	s_mov_b32 s76, exec_lo
                                        ; implicit-def: $vgpr118
	s_delay_alu instid0(VALU_DEP_1) | instskip(NEXT) | instid1(VALU_DEP_1)
	v_mul_f32_e32 v0, v124, v0
	v_and_b32_e32 v1, 0x7f800000, v0
	s_delay_alu instid0(VALU_DEP_1)
	v_cmpx_ne_u32_e32 0x7f800000, v1
	s_xor_b32 s76, exec_lo, s76
; %bb.412:                              ;   in Loop: Header=BB12_135 Depth=3
	v_bfe_u32 v1, v0, 16, 1
	s_delay_alu instid0(VALU_DEP_1)
	v_add3_u32 v118, v0, v1, 0x7fff
                                        ; implicit-def: $vgpr0
; %bb.413:                              ;   in Loop: Header=BB12_135 Depth=3
	s_and_not1_saveexec_b32 s76, s76
; %bb.414:                              ;   in Loop: Header=BB12_135 Depth=3
	v_and_b32_e32 v1, 0xffff, v0
	v_or_b32_e32 v2, 0x10000, v0
	s_delay_alu instid0(VALU_DEP_2) | instskip(NEXT) | instid1(VALU_DEP_2)
	v_cmp_eq_u32_e32 vcc_lo, 0, v1
	v_cndmask_b32_e32 v118, v2, v0, vcc_lo
; %bb.415:                              ;   in Loop: Header=BB12_135 Depth=3
	s_or_b32 exec_lo, exec_lo, s76
	v_and_b32_e32 v0, 0xffff0000, v114
	s_mov_b32 s76, exec_lo
                                        ; implicit-def: $vgpr114
	s_delay_alu instid0(VALU_DEP_1) | instskip(NEXT) | instid1(VALU_DEP_1)
	v_mul_f32_e32 v0, v124, v0
	v_and_b32_e32 v1, 0x7f800000, v0
	s_delay_alu instid0(VALU_DEP_1)
	v_cmpx_ne_u32_e32 0x7f800000, v1
	s_xor_b32 s76, exec_lo, s76
; %bb.416:                              ;   in Loop: Header=BB12_135 Depth=3
	v_bfe_u32 v1, v0, 16, 1
	s_delay_alu instid0(VALU_DEP_1)
	v_add3_u32 v114, v0, v1, 0x7fff
                                        ; implicit-def: $vgpr0
; %bb.417:                              ;   in Loop: Header=BB12_135 Depth=3
	s_and_not1_saveexec_b32 s76, s76
; %bb.418:                              ;   in Loop: Header=BB12_135 Depth=3
	v_and_b32_e32 v1, 0xffff, v0
	v_or_b32_e32 v2, 0x10000, v0
	s_delay_alu instid0(VALU_DEP_2) | instskip(NEXT) | instid1(VALU_DEP_2)
	v_cmp_eq_u32_e32 vcc_lo, 0, v1
	v_cndmask_b32_e32 v114, v2, v0, vcc_lo
; %bb.419:                              ;   in Loop: Header=BB12_135 Depth=3
	s_or_b32 exec_lo, exec_lo, s76
	v_lshlrev_b32_e32 v0, 16, v115
	s_mov_b32 s76, exec_lo
                                        ; implicit-def: $vgpr119
	s_delay_alu instid0(VALU_DEP_1) | instskip(NEXT) | instid1(VALU_DEP_1)
	v_mul_f32_e32 v0, v124, v0
	v_and_b32_e32 v1, 0x7f800000, v0
	s_delay_alu instid0(VALU_DEP_1)
	v_cmpx_ne_u32_e32 0x7f800000, v1
	s_xor_b32 s76, exec_lo, s76
; %bb.420:                              ;   in Loop: Header=BB12_135 Depth=3
	v_bfe_u32 v1, v0, 16, 1
	s_delay_alu instid0(VALU_DEP_1)
	v_add3_u32 v119, v0, v1, 0x7fff
                                        ; implicit-def: $vgpr0
; %bb.421:                              ;   in Loop: Header=BB12_135 Depth=3
	s_and_not1_saveexec_b32 s76, s76
; %bb.422:                              ;   in Loop: Header=BB12_135 Depth=3
	v_and_b32_e32 v1, 0xffff, v0
	v_or_b32_e32 v2, 0x10000, v0
	s_delay_alu instid0(VALU_DEP_2) | instskip(NEXT) | instid1(VALU_DEP_2)
	v_cmp_eq_u32_e32 vcc_lo, 0, v1
	v_cndmask_b32_e32 v119, v2, v0, vcc_lo
; %bb.423:                              ;   in Loop: Header=BB12_135 Depth=3
	s_or_b32 exec_lo, exec_lo, s76
	v_and_b32_e32 v0, 0xffff0000, v115
	s_mov_b32 s76, exec_lo
                                        ; implicit-def: $vgpr115
	s_delay_alu instid0(VALU_DEP_1) | instskip(NEXT) | instid1(VALU_DEP_1)
	v_mul_f32_e32 v0, v124, v0
	v_and_b32_e32 v1, 0x7f800000, v0
	s_delay_alu instid0(VALU_DEP_1)
	v_cmpx_ne_u32_e32 0x7f800000, v1
	s_xor_b32 s76, exec_lo, s76
; %bb.424:                              ;   in Loop: Header=BB12_135 Depth=3
	v_bfe_u32 v1, v0, 16, 1
	s_delay_alu instid0(VALU_DEP_1)
	v_add3_u32 v115, v0, v1, 0x7fff
                                        ; implicit-def: $vgpr0
; %bb.425:                              ;   in Loop: Header=BB12_135 Depth=3
	s_and_not1_saveexec_b32 s76, s76
; %bb.426:                              ;   in Loop: Header=BB12_135 Depth=3
	v_and_b32_e32 v1, 0xffff, v0
	v_or_b32_e32 v2, 0x10000, v0
	s_delay_alu instid0(VALU_DEP_2) | instskip(NEXT) | instid1(VALU_DEP_2)
	v_cmp_eq_u32_e32 vcc_lo, 0, v1
	v_cndmask_b32_e32 v115, v2, v0, vcc_lo
; %bb.427:                              ;   in Loop: Header=BB12_135 Depth=3
	s_or_b32 exec_lo, exec_lo, s76
	v_lshlrev_b32_e32 v0, 16, v100
	s_mov_b32 s76, exec_lo
                                        ; implicit-def: $vgpr29
	s_delay_alu instid0(VALU_DEP_1) | instskip(NEXT) | instid1(VALU_DEP_1)
	v_mul_f32_e32 v0, v124, v0
	v_and_b32_e32 v1, 0x7f800000, v0
	s_delay_alu instid0(VALU_DEP_1)
	v_cmpx_ne_u32_e32 0x7f800000, v1
	s_xor_b32 s76, exec_lo, s76
; %bb.428:                              ;   in Loop: Header=BB12_135 Depth=3
	v_bfe_u32 v1, v0, 16, 1
	s_delay_alu instid0(VALU_DEP_1)
	v_add3_u32 v29, v0, v1, 0x7fff
                                        ; implicit-def: $vgpr0
; %bb.429:                              ;   in Loop: Header=BB12_135 Depth=3
	s_and_not1_saveexec_b32 s76, s76
; %bb.430:                              ;   in Loop: Header=BB12_135 Depth=3
	v_and_b32_e32 v1, 0xffff, v0
	v_or_b32_e32 v2, 0x10000, v0
	s_delay_alu instid0(VALU_DEP_2) | instskip(NEXT) | instid1(VALU_DEP_2)
	v_cmp_eq_u32_e32 vcc_lo, 0, v1
	v_cndmask_b32_e32 v29, v2, v0, vcc_lo
; %bb.431:                              ;   in Loop: Header=BB12_135 Depth=3
	s_or_b32 exec_lo, exec_lo, s76
	v_and_b32_e32 v0, 0xffff0000, v100
	s_mov_b32 s76, exec_lo
                                        ; implicit-def: $vgpr100
	s_delay_alu instid0(VALU_DEP_1) | instskip(NEXT) | instid1(VALU_DEP_1)
	v_mul_f32_e32 v0, v124, v0
	v_and_b32_e32 v1, 0x7f800000, v0
	s_delay_alu instid0(VALU_DEP_1)
	v_cmpx_ne_u32_e32 0x7f800000, v1
	s_xor_b32 s76, exec_lo, s76
; %bb.432:                              ;   in Loop: Header=BB12_135 Depth=3
	v_bfe_u32 v1, v0, 16, 1
	s_delay_alu instid0(VALU_DEP_1)
	v_add3_u32 v100, v0, v1, 0x7fff
                                        ; implicit-def: $vgpr0
; %bb.433:                              ;   in Loop: Header=BB12_135 Depth=3
	s_and_not1_saveexec_b32 s76, s76
; %bb.434:                              ;   in Loop: Header=BB12_135 Depth=3
	v_and_b32_e32 v1, 0xffff, v0
	v_or_b32_e32 v2, 0x10000, v0
	s_delay_alu instid0(VALU_DEP_2) | instskip(NEXT) | instid1(VALU_DEP_2)
	v_cmp_eq_u32_e32 vcc_lo, 0, v1
	v_cndmask_b32_e32 v100, v2, v0, vcc_lo
; %bb.435:                              ;   in Loop: Header=BB12_135 Depth=3
	s_or_b32 exec_lo, exec_lo, s76
	v_lshlrev_b32_e32 v0, 16, v101
	s_mov_b32 s76, exec_lo
                                        ; implicit-def: $vgpr2
	s_delay_alu instid0(VALU_DEP_1) | instskip(NEXT) | instid1(VALU_DEP_1)
	v_mul_f32_e32 v0, v124, v0
	v_and_b32_e32 v1, 0x7f800000, v0
	s_delay_alu instid0(VALU_DEP_1)
	v_cmpx_ne_u32_e32 0x7f800000, v1
	s_xor_b32 s76, exec_lo, s76
; %bb.436:                              ;   in Loop: Header=BB12_135 Depth=3
	v_bfe_u32 v1, v0, 16, 1
	s_delay_alu instid0(VALU_DEP_1)
	v_add3_u32 v2, v0, v1, 0x7fff
                                        ; implicit-def: $vgpr0
; %bb.437:                              ;   in Loop: Header=BB12_135 Depth=3
	s_and_not1_saveexec_b32 s76, s76
; %bb.438:                              ;   in Loop: Header=BB12_135 Depth=3
	v_and_b32_e32 v1, 0xffff, v0
	v_or_b32_e32 v2, 0x10000, v0
	s_delay_alu instid0(VALU_DEP_2) | instskip(NEXT) | instid1(VALU_DEP_2)
	v_cmp_eq_u32_e32 vcc_lo, 0, v1
	v_cndmask_b32_e32 v2, v2, v0, vcc_lo
; %bb.439:                              ;   in Loop: Header=BB12_135 Depth=3
	s_or_b32 exec_lo, exec_lo, s76
	v_and_b32_e32 v0, 0xffff0000, v101
	s_mov_b32 s76, exec_lo
                                        ; implicit-def: $vgpr101
	s_delay_alu instid0(VALU_DEP_1) | instskip(NEXT) | instid1(VALU_DEP_1)
	v_mul_f32_e32 v0, v124, v0
	v_and_b32_e32 v1, 0x7f800000, v0
	s_delay_alu instid0(VALU_DEP_1)
	v_cmpx_ne_u32_e32 0x7f800000, v1
	s_xor_b32 s76, exec_lo, s76
; %bb.440:                              ;   in Loop: Header=BB12_135 Depth=3
	v_bfe_u32 v1, v0, 16, 1
	s_delay_alu instid0(VALU_DEP_1)
	v_add3_u32 v101, v0, v1, 0x7fff
                                        ; implicit-def: $vgpr0
; %bb.441:                              ;   in Loop: Header=BB12_135 Depth=3
	s_and_not1_saveexec_b32 s76, s76
; %bb.442:                              ;   in Loop: Header=BB12_135 Depth=3
	v_and_b32_e32 v1, 0xffff, v0
	v_or_b32_e32 v4, 0x10000, v0
	s_delay_alu instid0(VALU_DEP_2) | instskip(NEXT) | instid1(VALU_DEP_2)
	v_cmp_eq_u32_e32 vcc_lo, 0, v1
	v_cndmask_b32_e32 v101, v4, v0, vcc_lo
; %bb.443:                              ;   in Loop: Header=BB12_135 Depth=3
	s_or_b32 exec_lo, exec_lo, s76
	v_lshlrev_b32_e32 v0, 16, v102
	s_mov_b32 s76, exec_lo
                                        ; implicit-def: $vgpr72
	s_delay_alu instid0(VALU_DEP_1) | instskip(NEXT) | instid1(VALU_DEP_1)
	v_mul_f32_e32 v0, v124, v0
	v_and_b32_e32 v1, 0x7f800000, v0
	s_delay_alu instid0(VALU_DEP_1)
	v_cmpx_ne_u32_e32 0x7f800000, v1
	s_xor_b32 s76, exec_lo, s76
; %bb.444:                              ;   in Loop: Header=BB12_135 Depth=3
	v_bfe_u32 v1, v0, 16, 1
	s_delay_alu instid0(VALU_DEP_1)
	v_add3_u32 v72, v0, v1, 0x7fff
                                        ; implicit-def: $vgpr0
; %bb.445:                              ;   in Loop: Header=BB12_135 Depth=3
	s_and_not1_saveexec_b32 s76, s76
; %bb.446:                              ;   in Loop: Header=BB12_135 Depth=3
	v_and_b32_e32 v1, 0xffff, v0
	v_or_b32_e32 v4, 0x10000, v0
	s_delay_alu instid0(VALU_DEP_2) | instskip(NEXT) | instid1(VALU_DEP_2)
	v_cmp_eq_u32_e32 vcc_lo, 0, v1
	v_cndmask_b32_e32 v72, v4, v0, vcc_lo
; %bb.447:                              ;   in Loop: Header=BB12_135 Depth=3
	s_or_b32 exec_lo, exec_lo, s76
	v_and_b32_e32 v0, 0xffff0000, v102
	s_mov_b32 s76, exec_lo
                                        ; implicit-def: $vgpr102
	s_delay_alu instid0(VALU_DEP_1) | instskip(NEXT) | instid1(VALU_DEP_1)
	v_mul_f32_e32 v0, v124, v0
	v_and_b32_e32 v1, 0x7f800000, v0
	s_delay_alu instid0(VALU_DEP_1)
	v_cmpx_ne_u32_e32 0x7f800000, v1
	s_xor_b32 s76, exec_lo, s76
; %bb.448:                              ;   in Loop: Header=BB12_135 Depth=3
	v_bfe_u32 v1, v0, 16, 1
	s_delay_alu instid0(VALU_DEP_1)
	v_add3_u32 v102, v0, v1, 0x7fff
                                        ; implicit-def: $vgpr0
; %bb.449:                              ;   in Loop: Header=BB12_135 Depth=3
	s_and_not1_saveexec_b32 s76, s76
; %bb.450:                              ;   in Loop: Header=BB12_135 Depth=3
	v_and_b32_e32 v1, 0xffff, v0
	v_or_b32_e32 v4, 0x10000, v0
	s_delay_alu instid0(VALU_DEP_2) | instskip(NEXT) | instid1(VALU_DEP_2)
	v_cmp_eq_u32_e32 vcc_lo, 0, v1
	v_cndmask_b32_e32 v102, v4, v0, vcc_lo
; %bb.451:                              ;   in Loop: Header=BB12_135 Depth=3
	s_or_b32 exec_lo, exec_lo, s76
	v_lshlrev_b32_e32 v0, 16, v103
	s_mov_b32 s76, exec_lo
                                        ; implicit-def: $vgpr73
	s_delay_alu instid0(VALU_DEP_1) | instskip(NEXT) | instid1(VALU_DEP_1)
	v_mul_f32_e32 v0, v124, v0
	v_and_b32_e32 v1, 0x7f800000, v0
	s_delay_alu instid0(VALU_DEP_1)
	v_cmpx_ne_u32_e32 0x7f800000, v1
	s_xor_b32 s76, exec_lo, s76
; %bb.452:                              ;   in Loop: Header=BB12_135 Depth=3
	v_bfe_u32 v1, v0, 16, 1
	s_delay_alu instid0(VALU_DEP_1)
	v_add3_u32 v73, v0, v1, 0x7fff
                                        ; implicit-def: $vgpr0
; %bb.453:                              ;   in Loop: Header=BB12_135 Depth=3
	s_and_not1_saveexec_b32 s76, s76
; %bb.454:                              ;   in Loop: Header=BB12_135 Depth=3
	v_and_b32_e32 v1, 0xffff, v0
	v_or_b32_e32 v4, 0x10000, v0
	s_delay_alu instid0(VALU_DEP_2) | instskip(NEXT) | instid1(VALU_DEP_2)
	v_cmp_eq_u32_e32 vcc_lo, 0, v1
	v_cndmask_b32_e32 v73, v4, v0, vcc_lo
; %bb.455:                              ;   in Loop: Header=BB12_135 Depth=3
	s_or_b32 exec_lo, exec_lo, s76
	v_and_b32_e32 v0, 0xffff0000, v103
	s_mov_b32 s76, exec_lo
                                        ; implicit-def: $vgpr103
	s_delay_alu instid0(VALU_DEP_1) | instskip(NEXT) | instid1(VALU_DEP_1)
	v_mul_f32_e32 v0, v124, v0
	v_and_b32_e32 v1, 0x7f800000, v0
	s_delay_alu instid0(VALU_DEP_1)
	v_cmpx_ne_u32_e32 0x7f800000, v1
	s_xor_b32 s76, exec_lo, s76
; %bb.456:                              ;   in Loop: Header=BB12_135 Depth=3
	v_bfe_u32 v1, v0, 16, 1
	s_delay_alu instid0(VALU_DEP_1)
	v_add3_u32 v103, v0, v1, 0x7fff
                                        ; implicit-def: $vgpr0
; %bb.457:                              ;   in Loop: Header=BB12_135 Depth=3
	s_and_not1_saveexec_b32 s76, s76
; %bb.458:                              ;   in Loop: Header=BB12_135 Depth=3
	v_and_b32_e32 v1, 0xffff, v0
	v_or_b32_e32 v4, 0x10000, v0
	s_delay_alu instid0(VALU_DEP_2) | instskip(NEXT) | instid1(VALU_DEP_2)
	v_cmp_eq_u32_e32 vcc_lo, 0, v1
	v_cndmask_b32_e32 v103, v4, v0, vcc_lo
; %bb.459:                              ;   in Loop: Header=BB12_135 Depth=3
	s_or_b32 exec_lo, exec_lo, s76
	v_lshlrev_b32_e32 v0, 16, v84
	s_mov_b32 s76, exec_lo
                                        ; implicit-def: $vgpr5
	s_delay_alu instid0(VALU_DEP_1) | instskip(NEXT) | instid1(VALU_DEP_1)
	v_mul_f32_e32 v0, v124, v0
	v_and_b32_e32 v1, 0x7f800000, v0
	s_delay_alu instid0(VALU_DEP_1)
	v_cmpx_ne_u32_e32 0x7f800000, v1
	s_xor_b32 s76, exec_lo, s76
; %bb.460:                              ;   in Loop: Header=BB12_135 Depth=3
	v_bfe_u32 v1, v0, 16, 1
	s_delay_alu instid0(VALU_DEP_1)
	v_add3_u32 v5, v0, v1, 0x7fff
                                        ; implicit-def: $vgpr0
; %bb.461:                              ;   in Loop: Header=BB12_135 Depth=3
	s_and_not1_saveexec_b32 s76, s76
; %bb.462:                              ;   in Loop: Header=BB12_135 Depth=3
	v_and_b32_e32 v1, 0xffff, v0
	v_or_b32_e32 v4, 0x10000, v0
	s_delay_alu instid0(VALU_DEP_2) | instskip(NEXT) | instid1(VALU_DEP_2)
	v_cmp_eq_u32_e32 vcc_lo, 0, v1
	v_cndmask_b32_e32 v5, v4, v0, vcc_lo
; %bb.463:                              ;   in Loop: Header=BB12_135 Depth=3
	s_or_b32 exec_lo, exec_lo, s76
	v_and_b32_e32 v0, 0xffff0000, v84
	s_mov_b32 s76, exec_lo
                                        ; implicit-def: $vgpr84
	s_delay_alu instid0(VALU_DEP_1) | instskip(NEXT) | instid1(VALU_DEP_1)
	v_mul_f32_e32 v0, v124, v0
	v_and_b32_e32 v1, 0x7f800000, v0
	s_delay_alu instid0(VALU_DEP_1)
	v_cmpx_ne_u32_e32 0x7f800000, v1
	s_xor_b32 s76, exec_lo, s76
; %bb.464:                              ;   in Loop: Header=BB12_135 Depth=3
	v_bfe_u32 v1, v0, 16, 1
	s_delay_alu instid0(VALU_DEP_1)
	v_add3_u32 v84, v0, v1, 0x7fff
                                        ; implicit-def: $vgpr0
; %bb.465:                              ;   in Loop: Header=BB12_135 Depth=3
	s_and_not1_saveexec_b32 s76, s76
; %bb.466:                              ;   in Loop: Header=BB12_135 Depth=3
	v_and_b32_e32 v1, 0xffff, v0
	v_or_b32_e32 v4, 0x10000, v0
	s_delay_alu instid0(VALU_DEP_2) | instskip(NEXT) | instid1(VALU_DEP_2)
	v_cmp_eq_u32_e32 vcc_lo, 0, v1
	v_cndmask_b32_e32 v84, v4, v0, vcc_lo
; %bb.467:                              ;   in Loop: Header=BB12_135 Depth=3
	s_or_b32 exec_lo, exec_lo, s76
	v_lshlrev_b32_e32 v0, 16, v85
	s_mov_b32 s76, exec_lo
                                        ; implicit-def: $vgpr91
	s_delay_alu instid0(VALU_DEP_1) | instskip(NEXT) | instid1(VALU_DEP_1)
	v_mul_f32_e32 v0, v124, v0
	v_and_b32_e32 v1, 0x7f800000, v0
	s_delay_alu instid0(VALU_DEP_1)
	v_cmpx_ne_u32_e32 0x7f800000, v1
	s_xor_b32 s76, exec_lo, s76
; %bb.468:                              ;   in Loop: Header=BB12_135 Depth=3
	v_bfe_u32 v1, v0, 16, 1
	s_delay_alu instid0(VALU_DEP_1)
	v_add3_u32 v91, v0, v1, 0x7fff
                                        ; implicit-def: $vgpr0
; %bb.469:                              ;   in Loop: Header=BB12_135 Depth=3
	s_and_not1_saveexec_b32 s76, s76
; %bb.470:                              ;   in Loop: Header=BB12_135 Depth=3
	v_and_b32_e32 v1, 0xffff, v0
	v_or_b32_e32 v4, 0x10000, v0
	s_delay_alu instid0(VALU_DEP_2) | instskip(NEXT) | instid1(VALU_DEP_2)
	v_cmp_eq_u32_e32 vcc_lo, 0, v1
	v_cndmask_b32_e32 v91, v4, v0, vcc_lo
; %bb.471:                              ;   in Loop: Header=BB12_135 Depth=3
	s_or_b32 exec_lo, exec_lo, s76
	v_and_b32_e32 v0, 0xffff0000, v85
	s_mov_b32 s76, exec_lo
                                        ; implicit-def: $vgpr85
	s_delay_alu instid0(VALU_DEP_1) | instskip(NEXT) | instid1(VALU_DEP_1)
	v_mul_f32_e32 v0, v124, v0
	v_and_b32_e32 v1, 0x7f800000, v0
	s_delay_alu instid0(VALU_DEP_1)
	v_cmpx_ne_u32_e32 0x7f800000, v1
	s_xor_b32 s76, exec_lo, s76
; %bb.472:                              ;   in Loop: Header=BB12_135 Depth=3
	v_bfe_u32 v1, v0, 16, 1
	s_delay_alu instid0(VALU_DEP_1)
	v_add3_u32 v85, v0, v1, 0x7fff
                                        ; implicit-def: $vgpr0
; %bb.473:                              ;   in Loop: Header=BB12_135 Depth=3
	s_and_not1_saveexec_b32 s76, s76
; %bb.474:                              ;   in Loop: Header=BB12_135 Depth=3
	v_and_b32_e32 v1, 0xffff, v0
	v_or_b32_e32 v4, 0x10000, v0
	s_delay_alu instid0(VALU_DEP_2) | instskip(NEXT) | instid1(VALU_DEP_2)
	v_cmp_eq_u32_e32 vcc_lo, 0, v1
	v_cndmask_b32_e32 v85, v4, v0, vcc_lo
; %bb.475:                              ;   in Loop: Header=BB12_135 Depth=3
	s_or_b32 exec_lo, exec_lo, s76
	v_lshlrev_b32_e32 v0, 16, v86
	s_mov_b32 s76, exec_lo
                                        ; implicit-def: $vgpr42
	s_delay_alu instid0(VALU_DEP_1) | instskip(NEXT) | instid1(VALU_DEP_1)
	v_mul_f32_e32 v0, v124, v0
	v_and_b32_e32 v1, 0x7f800000, v0
	s_delay_alu instid0(VALU_DEP_1)
	v_cmpx_ne_u32_e32 0x7f800000, v1
	s_xor_b32 s76, exec_lo, s76
; %bb.476:                              ;   in Loop: Header=BB12_135 Depth=3
	v_bfe_u32 v1, v0, 16, 1
	s_delay_alu instid0(VALU_DEP_1)
	v_add3_u32 v42, v0, v1, 0x7fff
                                        ; implicit-def: $vgpr0
; %bb.477:                              ;   in Loop: Header=BB12_135 Depth=3
	s_and_not1_saveexec_b32 s76, s76
; %bb.478:                              ;   in Loop: Header=BB12_135 Depth=3
	v_and_b32_e32 v1, 0xffff, v0
	v_or_b32_e32 v4, 0x10000, v0
	s_delay_alu instid0(VALU_DEP_2) | instskip(NEXT) | instid1(VALU_DEP_2)
	v_cmp_eq_u32_e32 vcc_lo, 0, v1
	v_cndmask_b32_e32 v42, v4, v0, vcc_lo
; %bb.479:                              ;   in Loop: Header=BB12_135 Depth=3
	s_or_b32 exec_lo, exec_lo, s76
	v_and_b32_e32 v0, 0xffff0000, v86
	s_mov_b32 s76, exec_lo
                                        ; implicit-def: $vgpr86
	s_delay_alu instid0(VALU_DEP_1) | instskip(NEXT) | instid1(VALU_DEP_1)
	v_mul_f32_e32 v0, v124, v0
	v_and_b32_e32 v1, 0x7f800000, v0
	s_delay_alu instid0(VALU_DEP_1)
	v_cmpx_ne_u32_e32 0x7f800000, v1
	s_xor_b32 s76, exec_lo, s76
; %bb.480:                              ;   in Loop: Header=BB12_135 Depth=3
	v_bfe_u32 v1, v0, 16, 1
	s_delay_alu instid0(VALU_DEP_1)
	v_add3_u32 v86, v0, v1, 0x7fff
                                        ; implicit-def: $vgpr0
; %bb.481:                              ;   in Loop: Header=BB12_135 Depth=3
	s_and_not1_saveexec_b32 s76, s76
; %bb.482:                              ;   in Loop: Header=BB12_135 Depth=3
	v_and_b32_e32 v1, 0xffff, v0
	v_or_b32_e32 v4, 0x10000, v0
	s_delay_alu instid0(VALU_DEP_2) | instskip(NEXT) | instid1(VALU_DEP_2)
	v_cmp_eq_u32_e32 vcc_lo, 0, v1
	v_cndmask_b32_e32 v86, v4, v0, vcc_lo
; %bb.483:                              ;   in Loop: Header=BB12_135 Depth=3
	s_or_b32 exec_lo, exec_lo, s76
	v_lshlrev_b32_e32 v0, 16, v87
	s_delay_alu instid0(VALU_DEP_1) | instskip(NEXT) | instid1(VALU_DEP_1)
	v_mul_f32_e32 v0, v124, v0
	v_and_b32_e32 v1, 0x7f800000, v0
	s_delay_alu instid0(VALU_DEP_1) | instskip(SKIP_1) | instid1(SALU_CYCLE_1)
	v_cmp_ne_u32_e32 vcc_lo, 0x7f800000, v1
                                        ; implicit-def: $vgpr1
	s_and_saveexec_b32 s76, vcc_lo
	s_xor_b32 s76, exec_lo, s76
; %bb.484:                              ;   in Loop: Header=BB12_135 Depth=3
	v_bfe_u32 v1, v0, 16, 1
	s_delay_alu instid0(VALU_DEP_1)
	v_add3_u32 v1, v0, v1, 0x7fff
                                        ; implicit-def: $vgpr0
; %bb.485:                              ;   in Loop: Header=BB12_135 Depth=3
	s_and_not1_saveexec_b32 s76, s76
; %bb.486:                              ;   in Loop: Header=BB12_135 Depth=3
	v_and_b32_e32 v1, 0xffff, v0
	v_or_b32_e32 v4, 0x10000, v0
	s_delay_alu instid0(VALU_DEP_2) | instskip(NEXT) | instid1(VALU_DEP_2)
	v_cmp_eq_u32_e32 vcc_lo, 0, v1
	v_cndmask_b32_e32 v1, v4, v0, vcc_lo
; %bb.487:                              ;   in Loop: Header=BB12_135 Depth=3
	s_or_b32 exec_lo, exec_lo, s76
	v_and_b32_e32 v0, 0xffff0000, v87
	s_mov_b32 s76, exec_lo
                                        ; implicit-def: $vgpr87
	s_delay_alu instid0(VALU_DEP_1) | instskip(NEXT) | instid1(VALU_DEP_1)
	v_mul_f32_e32 v0, v124, v0
	v_and_b32_e32 v4, 0x7f800000, v0
	s_delay_alu instid0(VALU_DEP_1)
	v_cmpx_ne_u32_e32 0x7f800000, v4
	s_xor_b32 s76, exec_lo, s76
; %bb.488:                              ;   in Loop: Header=BB12_135 Depth=3
	v_bfe_u32 v4, v0, 16, 1
	s_delay_alu instid0(VALU_DEP_1)
	v_add3_u32 v87, v0, v4, 0x7fff
                                        ; implicit-def: $vgpr0
; %bb.489:                              ;   in Loop: Header=BB12_135 Depth=3
	s_and_not1_saveexec_b32 s76, s76
; %bb.490:                              ;   in Loop: Header=BB12_135 Depth=3
	v_and_b32_e32 v4, 0xffff, v0
	v_or_b32_e32 v6, 0x10000, v0
	s_delay_alu instid0(VALU_DEP_2) | instskip(NEXT) | instid1(VALU_DEP_2)
	v_cmp_eq_u32_e32 vcc_lo, 0, v4
	v_cndmask_b32_e32 v87, v6, v0, vcc_lo
; %bb.491:                              ;   in Loop: Header=BB12_135 Depth=3
	s_or_b32 exec_lo, exec_lo, s76
	v_lshlrev_b32_e32 v0, 16, v80
	s_mov_b32 s76, exec_lo
                                        ; implicit-def: $vgpr43
	s_delay_alu instid0(VALU_DEP_1) | instskip(NEXT) | instid1(VALU_DEP_1)
	v_mul_f32_e32 v0, v124, v0
	v_and_b32_e32 v4, 0x7f800000, v0
	s_delay_alu instid0(VALU_DEP_1)
	v_cmpx_ne_u32_e32 0x7f800000, v4
	s_xor_b32 s76, exec_lo, s76
; %bb.492:                              ;   in Loop: Header=BB12_135 Depth=3
	v_bfe_u32 v4, v0, 16, 1
	s_delay_alu instid0(VALU_DEP_1)
	v_add3_u32 v43, v0, v4, 0x7fff
                                        ; implicit-def: $vgpr0
; %bb.493:                              ;   in Loop: Header=BB12_135 Depth=3
	s_and_not1_saveexec_b32 s76, s76
; %bb.494:                              ;   in Loop: Header=BB12_135 Depth=3
	v_and_b32_e32 v4, 0xffff, v0
	v_or_b32_e32 v6, 0x10000, v0
	s_delay_alu instid0(VALU_DEP_2) | instskip(NEXT) | instid1(VALU_DEP_2)
	v_cmp_eq_u32_e32 vcc_lo, 0, v4
	v_cndmask_b32_e32 v43, v6, v0, vcc_lo
; %bb.495:                              ;   in Loop: Header=BB12_135 Depth=3
	s_or_b32 exec_lo, exec_lo, s76
	v_and_b32_e32 v0, 0xffff0000, v80
	s_mov_b32 s76, exec_lo
                                        ; implicit-def: $vgpr80
	s_delay_alu instid0(VALU_DEP_1) | instskip(NEXT) | instid1(VALU_DEP_1)
	v_mul_f32_e32 v0, v124, v0
	v_and_b32_e32 v4, 0x7f800000, v0
	s_delay_alu instid0(VALU_DEP_1)
	v_cmpx_ne_u32_e32 0x7f800000, v4
	s_xor_b32 s76, exec_lo, s76
; %bb.496:                              ;   in Loop: Header=BB12_135 Depth=3
	v_bfe_u32 v4, v0, 16, 1
	s_delay_alu instid0(VALU_DEP_1)
	v_add3_u32 v80, v0, v4, 0x7fff
                                        ; implicit-def: $vgpr0
; %bb.497:                              ;   in Loop: Header=BB12_135 Depth=3
	s_and_not1_saveexec_b32 s76, s76
; %bb.498:                              ;   in Loop: Header=BB12_135 Depth=3
	v_and_b32_e32 v4, 0xffff, v0
	v_or_b32_e32 v6, 0x10000, v0
	s_delay_alu instid0(VALU_DEP_2) | instskip(NEXT) | instid1(VALU_DEP_2)
	v_cmp_eq_u32_e32 vcc_lo, 0, v4
	v_cndmask_b32_e32 v80, v6, v0, vcc_lo
; %bb.499:                              ;   in Loop: Header=BB12_135 Depth=3
	s_or_b32 exec_lo, exec_lo, s76
	v_lshlrev_b32_e32 v0, 16, v81
	s_mov_b32 s76, exec_lo
                                        ; implicit-def: $vgpr74
	s_delay_alu instid0(VALU_DEP_1) | instskip(NEXT) | instid1(VALU_DEP_1)
	v_mul_f32_e32 v0, v124, v0
	v_and_b32_e32 v4, 0x7f800000, v0
	s_delay_alu instid0(VALU_DEP_1)
	v_cmpx_ne_u32_e32 0x7f800000, v4
	s_xor_b32 s76, exec_lo, s76
; %bb.500:                              ;   in Loop: Header=BB12_135 Depth=3
	v_bfe_u32 v4, v0, 16, 1
	s_delay_alu instid0(VALU_DEP_1)
	v_add3_u32 v74, v0, v4, 0x7fff
                                        ; implicit-def: $vgpr0
; %bb.501:                              ;   in Loop: Header=BB12_135 Depth=3
	s_and_not1_saveexec_b32 s76, s76
; %bb.502:                              ;   in Loop: Header=BB12_135 Depth=3
	v_and_b32_e32 v4, 0xffff, v0
	v_or_b32_e32 v6, 0x10000, v0
	s_delay_alu instid0(VALU_DEP_2) | instskip(NEXT) | instid1(VALU_DEP_2)
	v_cmp_eq_u32_e32 vcc_lo, 0, v4
	v_cndmask_b32_e32 v74, v6, v0, vcc_lo
; %bb.503:                              ;   in Loop: Header=BB12_135 Depth=3
	s_or_b32 exec_lo, exec_lo, s76
	v_and_b32_e32 v0, 0xffff0000, v81
	s_mov_b32 s76, exec_lo
                                        ; implicit-def: $vgpr81
	s_delay_alu instid0(VALU_DEP_1) | instskip(NEXT) | instid1(VALU_DEP_1)
	v_mul_f32_e32 v0, v124, v0
	v_and_b32_e32 v4, 0x7f800000, v0
	s_delay_alu instid0(VALU_DEP_1)
	v_cmpx_ne_u32_e32 0x7f800000, v4
	s_xor_b32 s76, exec_lo, s76
; %bb.504:                              ;   in Loop: Header=BB12_135 Depth=3
	v_bfe_u32 v4, v0, 16, 1
	s_delay_alu instid0(VALU_DEP_1)
	v_add3_u32 v81, v0, v4, 0x7fff
                                        ; implicit-def: $vgpr0
; %bb.505:                              ;   in Loop: Header=BB12_135 Depth=3
	s_and_not1_saveexec_b32 s76, s76
; %bb.506:                              ;   in Loop: Header=BB12_135 Depth=3
	v_and_b32_e32 v4, 0xffff, v0
	v_or_b32_e32 v6, 0x10000, v0
	s_delay_alu instid0(VALU_DEP_2) | instskip(NEXT) | instid1(VALU_DEP_2)
	v_cmp_eq_u32_e32 vcc_lo, 0, v4
	v_cndmask_b32_e32 v81, v6, v0, vcc_lo
; %bb.507:                              ;   in Loop: Header=BB12_135 Depth=3
	s_or_b32 exec_lo, exec_lo, s76
	v_lshlrev_b32_e32 v0, 16, v82
	s_mov_b32 s76, exec_lo
                                        ; implicit-def: $vgpr75
	s_delay_alu instid0(VALU_DEP_1) | instskip(NEXT) | instid1(VALU_DEP_1)
	v_mul_f32_e32 v0, v124, v0
	v_and_b32_e32 v4, 0x7f800000, v0
	s_delay_alu instid0(VALU_DEP_1)
	v_cmpx_ne_u32_e32 0x7f800000, v4
	s_xor_b32 s76, exec_lo, s76
; %bb.508:                              ;   in Loop: Header=BB12_135 Depth=3
	v_bfe_u32 v4, v0, 16, 1
	s_delay_alu instid0(VALU_DEP_1)
	v_add3_u32 v75, v0, v4, 0x7fff
                                        ; implicit-def: $vgpr0
; %bb.509:                              ;   in Loop: Header=BB12_135 Depth=3
	s_and_not1_saveexec_b32 s76, s76
; %bb.510:                              ;   in Loop: Header=BB12_135 Depth=3
	v_and_b32_e32 v4, 0xffff, v0
	v_or_b32_e32 v6, 0x10000, v0
	s_delay_alu instid0(VALU_DEP_2) | instskip(NEXT) | instid1(VALU_DEP_2)
	v_cmp_eq_u32_e32 vcc_lo, 0, v4
	v_cndmask_b32_e32 v75, v6, v0, vcc_lo
; %bb.511:                              ;   in Loop: Header=BB12_135 Depth=3
	s_or_b32 exec_lo, exec_lo, s76
	v_and_b32_e32 v0, 0xffff0000, v82
	s_mov_b32 s76, exec_lo
                                        ; implicit-def: $vgpr82
	s_delay_alu instid0(VALU_DEP_1) | instskip(NEXT) | instid1(VALU_DEP_1)
	v_mul_f32_e32 v0, v124, v0
	v_and_b32_e32 v4, 0x7f800000, v0
	s_delay_alu instid0(VALU_DEP_1)
	v_cmpx_ne_u32_e32 0x7f800000, v4
	s_xor_b32 s76, exec_lo, s76
; %bb.512:                              ;   in Loop: Header=BB12_135 Depth=3
	v_bfe_u32 v4, v0, 16, 1
	s_delay_alu instid0(VALU_DEP_1)
	v_add3_u32 v82, v0, v4, 0x7fff
                                        ; implicit-def: $vgpr0
; %bb.513:                              ;   in Loop: Header=BB12_135 Depth=3
	s_and_not1_saveexec_b32 s76, s76
; %bb.514:                              ;   in Loop: Header=BB12_135 Depth=3
	v_and_b32_e32 v4, 0xffff, v0
	v_or_b32_e32 v6, 0x10000, v0
	s_delay_alu instid0(VALU_DEP_2) | instskip(NEXT) | instid1(VALU_DEP_2)
	v_cmp_eq_u32_e32 vcc_lo, 0, v4
	v_cndmask_b32_e32 v82, v6, v0, vcc_lo
; %bb.515:                              ;   in Loop: Header=BB12_135 Depth=3
	s_or_b32 exec_lo, exec_lo, s76
	v_lshlrev_b32_e32 v0, 16, v83
	s_mov_b32 s76, exec_lo
                                        ; implicit-def: $vgpr78
	s_delay_alu instid0(VALU_DEP_1) | instskip(NEXT) | instid1(VALU_DEP_1)
	v_mul_f32_e32 v0, v124, v0
	v_and_b32_e32 v4, 0x7f800000, v0
	s_delay_alu instid0(VALU_DEP_1)
	v_cmpx_ne_u32_e32 0x7f800000, v4
	s_xor_b32 s76, exec_lo, s76
; %bb.516:                              ;   in Loop: Header=BB12_135 Depth=3
	v_bfe_u32 v4, v0, 16, 1
	s_delay_alu instid0(VALU_DEP_1)
	v_add3_u32 v78, v0, v4, 0x7fff
                                        ; implicit-def: $vgpr0
; %bb.517:                              ;   in Loop: Header=BB12_135 Depth=3
	s_and_not1_saveexec_b32 s76, s76
; %bb.518:                              ;   in Loop: Header=BB12_135 Depth=3
	v_and_b32_e32 v4, 0xffff, v0
	v_or_b32_e32 v6, 0x10000, v0
	s_delay_alu instid0(VALU_DEP_2) | instskip(NEXT) | instid1(VALU_DEP_2)
	v_cmp_eq_u32_e32 vcc_lo, 0, v4
	v_cndmask_b32_e32 v78, v6, v0, vcc_lo
; %bb.519:                              ;   in Loop: Header=BB12_135 Depth=3
	s_or_b32 exec_lo, exec_lo, s76
	v_and_b32_e32 v0, 0xffff0000, v83
	s_mov_b32 s76, exec_lo
                                        ; implicit-def: $vgpr83
	s_delay_alu instid0(VALU_DEP_1) | instskip(NEXT) | instid1(VALU_DEP_1)
	v_mul_f32_e32 v0, v124, v0
	v_and_b32_e32 v4, 0x7f800000, v0
	s_delay_alu instid0(VALU_DEP_1)
	v_cmpx_ne_u32_e32 0x7f800000, v4
	s_xor_b32 s76, exec_lo, s76
; %bb.520:                              ;   in Loop: Header=BB12_135 Depth=3
	v_bfe_u32 v4, v0, 16, 1
	s_delay_alu instid0(VALU_DEP_1)
	v_add3_u32 v83, v0, v4, 0x7fff
                                        ; implicit-def: $vgpr0
; %bb.521:                              ;   in Loop: Header=BB12_135 Depth=3
	s_and_not1_saveexec_b32 s76, s76
; %bb.522:                              ;   in Loop: Header=BB12_135 Depth=3
	v_and_b32_e32 v4, 0xffff, v0
	v_or_b32_e32 v6, 0x10000, v0
	s_delay_alu instid0(VALU_DEP_2) | instskip(NEXT) | instid1(VALU_DEP_2)
	v_cmp_eq_u32_e32 vcc_lo, 0, v4
	v_cndmask_b32_e32 v83, v6, v0, vcc_lo
; %bb.523:                              ;   in Loop: Header=BB12_135 Depth=3
	s_or_b32 exec_lo, exec_lo, s76
	v_lshlrev_b32_e32 v0, 16, v64
	s_mov_b32 s76, exec_lo
                                        ; implicit-def: $vgpr79
	s_delay_alu instid0(VALU_DEP_1) | instskip(NEXT) | instid1(VALU_DEP_1)
	v_mul_f32_e32 v0, v124, v0
	v_and_b32_e32 v4, 0x7f800000, v0
	s_delay_alu instid0(VALU_DEP_1)
	v_cmpx_ne_u32_e32 0x7f800000, v4
	s_xor_b32 s76, exec_lo, s76
; %bb.524:                              ;   in Loop: Header=BB12_135 Depth=3
	v_bfe_u32 v4, v0, 16, 1
	s_delay_alu instid0(VALU_DEP_1)
	v_add3_u32 v79, v0, v4, 0x7fff
                                        ; implicit-def: $vgpr0
; %bb.525:                              ;   in Loop: Header=BB12_135 Depth=3
	s_and_not1_saveexec_b32 s76, s76
; %bb.526:                              ;   in Loop: Header=BB12_135 Depth=3
	v_and_b32_e32 v4, 0xffff, v0
	v_or_b32_e32 v6, 0x10000, v0
	s_delay_alu instid0(VALU_DEP_2) | instskip(NEXT) | instid1(VALU_DEP_2)
	v_cmp_eq_u32_e32 vcc_lo, 0, v4
	v_cndmask_b32_e32 v79, v6, v0, vcc_lo
; %bb.527:                              ;   in Loop: Header=BB12_135 Depth=3
	s_or_b32 exec_lo, exec_lo, s76
	v_and_b32_e32 v0, 0xffff0000, v64
	s_delay_alu instid0(VALU_DEP_1) | instskip(NEXT) | instid1(VALU_DEP_1)
	v_mul_f32_e32 v4, v124, v0
	v_and_b32_e32 v0, 0x7f800000, v4
	s_delay_alu instid0(VALU_DEP_1) | instskip(SKIP_1) | instid1(SALU_CYCLE_1)
	v_cmp_ne_u32_e32 vcc_lo, 0x7f800000, v0
                                        ; implicit-def: $vgpr0
	s_and_saveexec_b32 s76, vcc_lo
	s_xor_b32 s76, exec_lo, s76
; %bb.528:                              ;   in Loop: Header=BB12_135 Depth=3
	v_bfe_u32 v0, v4, 16, 1
	s_delay_alu instid0(VALU_DEP_1)
	v_add3_u32 v0, v4, v0, 0x7fff
                                        ; implicit-def: $vgpr4
; %bb.529:                              ;   in Loop: Header=BB12_135 Depth=3
	s_and_not1_saveexec_b32 s76, s76
; %bb.530:                              ;   in Loop: Header=BB12_135 Depth=3
	v_and_b32_e32 v0, 0xffff, v4
	v_or_b32_e32 v6, 0x10000, v4
	s_delay_alu instid0(VALU_DEP_2) | instskip(NEXT) | instid1(VALU_DEP_2)
	v_cmp_eq_u32_e32 vcc_lo, 0, v0
	v_cndmask_b32_e32 v0, v6, v4, vcc_lo
; %bb.531:                              ;   in Loop: Header=BB12_135 Depth=3
	s_or_b32 exec_lo, exec_lo, s76
	v_lshlrev_b32_e32 v4, 16, v65
	s_delay_alu instid0(VALU_DEP_1) | instskip(NEXT) | instid1(VALU_DEP_1)
	v_mul_f32_e32 v4, v124, v4
	v_and_b32_e32 v6, 0x7f800000, v4
	s_delay_alu instid0(VALU_DEP_1) | instskip(SKIP_1) | instid1(SALU_CYCLE_1)
	v_cmp_ne_u32_e32 vcc_lo, 0x7f800000, v6
                                        ; implicit-def: $vgpr6
	s_and_saveexec_b32 s76, vcc_lo
	s_xor_b32 s76, exec_lo, s76
; %bb.532:                              ;   in Loop: Header=BB12_135 Depth=3
	v_bfe_u32 v6, v4, 16, 1
	s_delay_alu instid0(VALU_DEP_1)
	v_add3_u32 v6, v4, v6, 0x7fff
                                        ; implicit-def: $vgpr4
; %bb.533:                              ;   in Loop: Header=BB12_135 Depth=3
	s_and_not1_saveexec_b32 s76, s76
; %bb.534:                              ;   in Loop: Header=BB12_135 Depth=3
	v_and_b32_e32 v6, 0xffff, v4
	v_or_b32_e32 v7, 0x10000, v4
	s_delay_alu instid0(VALU_DEP_2) | instskip(NEXT) | instid1(VALU_DEP_2)
	v_cmp_eq_u32_e32 vcc_lo, 0, v6
	v_cndmask_b32_e32 v6, v7, v4, vcc_lo
; %bb.535:                              ;   in Loop: Header=BB12_135 Depth=3
	s_or_b32 exec_lo, exec_lo, s76
	v_and_b32_e32 v4, 0xffff0000, v65
	s_delay_alu instid0(VALU_DEP_1) | instskip(NEXT) | instid1(VALU_DEP_1)
	v_mul_f32_e32 v4, v124, v4
	v_and_b32_e32 v7, 0x7f800000, v4
	s_delay_alu instid0(VALU_DEP_1) | instskip(SKIP_1) | instid1(SALU_CYCLE_1)
	v_cmp_ne_u32_e32 vcc_lo, 0x7f800000, v7
                                        ; implicit-def: $vgpr7
	s_and_saveexec_b32 s76, vcc_lo
	s_xor_b32 s76, exec_lo, s76
; %bb.536:                              ;   in Loop: Header=BB12_135 Depth=3
	v_bfe_u32 v7, v4, 16, 1
	s_delay_alu instid0(VALU_DEP_1)
	v_add3_u32 v7, v4, v7, 0x7fff
                                        ; implicit-def: $vgpr4
; %bb.537:                              ;   in Loop: Header=BB12_135 Depth=3
	s_and_not1_saveexec_b32 s76, s76
; %bb.538:                              ;   in Loop: Header=BB12_135 Depth=3
	v_and_b32_e32 v7, 0xffff, v4
	v_or_b32_e32 v28, 0x10000, v4
	s_delay_alu instid0(VALU_DEP_2) | instskip(NEXT) | instid1(VALU_DEP_2)
	v_cmp_eq_u32_e32 vcc_lo, 0, v7
	v_cndmask_b32_e32 v7, v28, v4, vcc_lo
; %bb.539:                              ;   in Loop: Header=BB12_135 Depth=3
	s_or_b32 exec_lo, exec_lo, s76
	v_lshlrev_b32_e32 v4, 16, v66
	s_mov_b32 s76, exec_lo
                                        ; implicit-def: $vgpr64
	s_delay_alu instid0(VALU_DEP_1) | instskip(NEXT) | instid1(VALU_DEP_1)
	v_mul_f32_e32 v4, v124, v4
	v_and_b32_e32 v28, 0x7f800000, v4
	s_delay_alu instid0(VALU_DEP_1)
	v_cmpx_ne_u32_e32 0x7f800000, v28
	s_xor_b32 s76, exec_lo, s76
; %bb.540:                              ;   in Loop: Header=BB12_135 Depth=3
	v_bfe_u32 v28, v4, 16, 1
	s_delay_alu instid0(VALU_DEP_1)
	v_add3_u32 v64, v4, v28, 0x7fff
                                        ; implicit-def: $vgpr4
; %bb.541:                              ;   in Loop: Header=BB12_135 Depth=3
	s_and_not1_saveexec_b32 s76, s76
; %bb.542:                              ;   in Loop: Header=BB12_135 Depth=3
	v_and_b32_e32 v28, 0xffff, v4
	v_or_b32_e32 v64, 0x10000, v4
	s_delay_alu instid0(VALU_DEP_2) | instskip(NEXT) | instid1(VALU_DEP_2)
	v_cmp_eq_u32_e32 vcc_lo, 0, v28
	v_cndmask_b32_e32 v64, v64, v4, vcc_lo
; %bb.543:                              ;   in Loop: Header=BB12_135 Depth=3
	s_or_b32 exec_lo, exec_lo, s76
	v_and_b32_e32 v4, 0xffff0000, v66
	s_mov_b32 s76, exec_lo
                                        ; implicit-def: $vgpr65
	s_delay_alu instid0(VALU_DEP_1) | instskip(NEXT) | instid1(VALU_DEP_1)
	v_mul_f32_e32 v4, v124, v4
	v_and_b32_e32 v28, 0x7f800000, v4
	s_delay_alu instid0(VALU_DEP_1)
	v_cmpx_ne_u32_e32 0x7f800000, v28
	s_xor_b32 s76, exec_lo, s76
; %bb.544:                              ;   in Loop: Header=BB12_135 Depth=3
	v_bfe_u32 v28, v4, 16, 1
	s_delay_alu instid0(VALU_DEP_1)
	v_add3_u32 v65, v4, v28, 0x7fff
                                        ; implicit-def: $vgpr4
; %bb.545:                              ;   in Loop: Header=BB12_135 Depth=3
	s_and_not1_saveexec_b32 s76, s76
; %bb.546:                              ;   in Loop: Header=BB12_135 Depth=3
	v_and_b32_e32 v28, 0xffff, v4
	v_or_b32_e32 v65, 0x10000, v4
	s_delay_alu instid0(VALU_DEP_2) | instskip(NEXT) | instid1(VALU_DEP_2)
	v_cmp_eq_u32_e32 vcc_lo, 0, v28
	v_cndmask_b32_e32 v65, v65, v4, vcc_lo
; %bb.547:                              ;   in Loop: Header=BB12_135 Depth=3
	s_or_b32 exec_lo, exec_lo, s76
	v_lshlrev_b32_e32 v4, 16, v67
	s_mov_b32 s76, exec_lo
                                        ; implicit-def: $vgpr66
	s_delay_alu instid0(VALU_DEP_1) | instskip(NEXT) | instid1(VALU_DEP_1)
	v_mul_f32_e32 v4, v124, v4
	v_and_b32_e32 v28, 0x7f800000, v4
	s_delay_alu instid0(VALU_DEP_1)
	v_cmpx_ne_u32_e32 0x7f800000, v28
	s_xor_b32 s76, exec_lo, s76
; %bb.548:                              ;   in Loop: Header=BB12_135 Depth=3
	v_bfe_u32 v28, v4, 16, 1
	s_delay_alu instid0(VALU_DEP_1)
	v_add3_u32 v66, v4, v28, 0x7fff
                                        ; implicit-def: $vgpr4
; %bb.549:                              ;   in Loop: Header=BB12_135 Depth=3
	s_and_not1_saveexec_b32 s76, s76
; %bb.550:                              ;   in Loop: Header=BB12_135 Depth=3
	v_and_b32_e32 v28, 0xffff, v4
	v_or_b32_e32 v66, 0x10000, v4
	s_delay_alu instid0(VALU_DEP_2) | instskip(NEXT) | instid1(VALU_DEP_2)
	v_cmp_eq_u32_e32 vcc_lo, 0, v28
	v_cndmask_b32_e32 v66, v66, v4, vcc_lo
; %bb.551:                              ;   in Loop: Header=BB12_135 Depth=3
	s_or_b32 exec_lo, exec_lo, s76
	v_and_b32_e32 v4, 0xffff0000, v67
	s_mov_b32 s76, exec_lo
                                        ; implicit-def: $vgpr67
	s_delay_alu instid0(VALU_DEP_1) | instskip(NEXT) | instid1(VALU_DEP_1)
	v_mul_f32_e32 v4, v124, v4
	v_and_b32_e32 v28, 0x7f800000, v4
	s_delay_alu instid0(VALU_DEP_1)
	v_cmpx_ne_u32_e32 0x7f800000, v28
	s_xor_b32 s76, exec_lo, s76
; %bb.552:                              ;   in Loop: Header=BB12_135 Depth=3
	v_bfe_u32 v28, v4, 16, 1
	s_delay_alu instid0(VALU_DEP_1)
	v_add3_u32 v67, v4, v28, 0x7fff
                                        ; implicit-def: $vgpr4
; %bb.553:                              ;   in Loop: Header=BB12_135 Depth=3
	s_and_not1_saveexec_b32 s76, s76
; %bb.554:                              ;   in Loop: Header=BB12_135 Depth=3
	v_and_b32_e32 v28, 0xffff, v4
	v_or_b32_e32 v67, 0x10000, v4
	s_delay_alu instid0(VALU_DEP_2) | instskip(NEXT) | instid1(VALU_DEP_2)
	v_cmp_eq_u32_e32 vcc_lo, 0, v28
	v_cndmask_b32_e32 v67, v67, v4, vcc_lo
; %bb.555:                              ;   in Loop: Header=BB12_135 Depth=3
	s_or_b32 exec_lo, exec_lo, s76
	v_lshlrev_b32_e32 v4, 16, v52
	s_mov_b32 s76, exec_lo
                                        ; implicit-def: $vgpr44
	s_delay_alu instid0(VALU_DEP_1) | instskip(NEXT) | instid1(VALU_DEP_1)
	v_mul_f32_e32 v4, v124, v4
	v_and_b32_e32 v28, 0x7f800000, v4
	s_delay_alu instid0(VALU_DEP_1)
	v_cmpx_ne_u32_e32 0x7f800000, v28
	s_xor_b32 s76, exec_lo, s76
; %bb.556:                              ;   in Loop: Header=BB12_135 Depth=3
	v_bfe_u32 v28, v4, 16, 1
	s_delay_alu instid0(VALU_DEP_1)
	v_add3_u32 v44, v4, v28, 0x7fff
                                        ; implicit-def: $vgpr4
; %bb.557:                              ;   in Loop: Header=BB12_135 Depth=3
	s_and_not1_saveexec_b32 s76, s76
; %bb.558:                              ;   in Loop: Header=BB12_135 Depth=3
	v_and_b32_e32 v28, 0xffff, v4
	v_or_b32_e32 v44, 0x10000, v4
	s_delay_alu instid0(VALU_DEP_2) | instskip(NEXT) | instid1(VALU_DEP_2)
	v_cmp_eq_u32_e32 vcc_lo, 0, v28
	v_cndmask_b32_e32 v44, v44, v4, vcc_lo
; %bb.559:                              ;   in Loop: Header=BB12_135 Depth=3
	s_or_b32 exec_lo, exec_lo, s76
	v_and_b32_e32 v4, 0xffff0000, v52
	s_mov_b32 s76, exec_lo
                                        ; implicit-def: $vgpr52
	s_delay_alu instid0(VALU_DEP_1) | instskip(NEXT) | instid1(VALU_DEP_1)
	v_mul_f32_e32 v4, v124, v4
	v_and_b32_e32 v28, 0x7f800000, v4
	s_delay_alu instid0(VALU_DEP_1)
	v_cmpx_ne_u32_e32 0x7f800000, v28
	s_xor_b32 s76, exec_lo, s76
; %bb.560:                              ;   in Loop: Header=BB12_135 Depth=3
	v_bfe_u32 v28, v4, 16, 1
	s_delay_alu instid0(VALU_DEP_1)
	v_add3_u32 v52, v4, v28, 0x7fff
                                        ; implicit-def: $vgpr4
; %bb.561:                              ;   in Loop: Header=BB12_135 Depth=3
	s_and_not1_saveexec_b32 s76, s76
; %bb.562:                              ;   in Loop: Header=BB12_135 Depth=3
	v_and_b32_e32 v28, 0xffff, v4
	v_or_b32_e32 v52, 0x10000, v4
	s_delay_alu instid0(VALU_DEP_2) | instskip(NEXT) | instid1(VALU_DEP_2)
	v_cmp_eq_u32_e32 vcc_lo, 0, v28
	v_cndmask_b32_e32 v52, v52, v4, vcc_lo
; %bb.563:                              ;   in Loop: Header=BB12_135 Depth=3
	s_or_b32 exec_lo, exec_lo, s76
	v_lshlrev_b32_e32 v4, 16, v53
	s_mov_b32 s76, exec_lo
                                        ; implicit-def: $vgpr45
	s_delay_alu instid0(VALU_DEP_1) | instskip(NEXT) | instid1(VALU_DEP_1)
	v_mul_f32_e32 v4, v124, v4
	v_and_b32_e32 v28, 0x7f800000, v4
	s_delay_alu instid0(VALU_DEP_1)
	v_cmpx_ne_u32_e32 0x7f800000, v28
	s_xor_b32 s76, exec_lo, s76
; %bb.564:                              ;   in Loop: Header=BB12_135 Depth=3
	v_bfe_u32 v28, v4, 16, 1
	s_delay_alu instid0(VALU_DEP_1)
	v_add3_u32 v45, v4, v28, 0x7fff
                                        ; implicit-def: $vgpr4
; %bb.565:                              ;   in Loop: Header=BB12_135 Depth=3
	s_and_not1_saveexec_b32 s76, s76
; %bb.566:                              ;   in Loop: Header=BB12_135 Depth=3
	v_and_b32_e32 v28, 0xffff, v4
	v_or_b32_e32 v45, 0x10000, v4
	s_delay_alu instid0(VALU_DEP_2) | instskip(NEXT) | instid1(VALU_DEP_2)
	v_cmp_eq_u32_e32 vcc_lo, 0, v28
	v_cndmask_b32_e32 v45, v45, v4, vcc_lo
; %bb.567:                              ;   in Loop: Header=BB12_135 Depth=3
	s_or_b32 exec_lo, exec_lo, s76
	v_and_b32_e32 v4, 0xffff0000, v53
	s_mov_b32 s76, exec_lo
                                        ; implicit-def: $vgpr53
	s_delay_alu instid0(VALU_DEP_1) | instskip(NEXT) | instid1(VALU_DEP_1)
	v_mul_f32_e32 v4, v124, v4
	v_and_b32_e32 v28, 0x7f800000, v4
	s_delay_alu instid0(VALU_DEP_1)
	v_cmpx_ne_u32_e32 0x7f800000, v28
	s_xor_b32 s76, exec_lo, s76
; %bb.568:                              ;   in Loop: Header=BB12_135 Depth=3
	v_bfe_u32 v28, v4, 16, 1
	s_delay_alu instid0(VALU_DEP_1)
	v_add3_u32 v53, v4, v28, 0x7fff
                                        ; implicit-def: $vgpr4
; %bb.569:                              ;   in Loop: Header=BB12_135 Depth=3
	s_and_not1_saveexec_b32 s76, s76
; %bb.570:                              ;   in Loop: Header=BB12_135 Depth=3
	v_and_b32_e32 v28, 0xffff, v4
	v_or_b32_e32 v53, 0x10000, v4
	s_delay_alu instid0(VALU_DEP_2) | instskip(NEXT) | instid1(VALU_DEP_2)
	v_cmp_eq_u32_e32 vcc_lo, 0, v28
	v_cndmask_b32_e32 v53, v53, v4, vcc_lo
; %bb.571:                              ;   in Loop: Header=BB12_135 Depth=3
	s_or_b32 exec_lo, exec_lo, s76
	v_lshlrev_b32_e32 v4, 16, v54
	s_mov_b32 s76, exec_lo
                                        ; implicit-def: $vgpr46
	s_delay_alu instid0(VALU_DEP_1) | instskip(NEXT) | instid1(VALU_DEP_1)
	v_mul_f32_e32 v4, v124, v4
	v_and_b32_e32 v28, 0x7f800000, v4
	s_delay_alu instid0(VALU_DEP_1)
	v_cmpx_ne_u32_e32 0x7f800000, v28
	s_xor_b32 s76, exec_lo, s76
; %bb.572:                              ;   in Loop: Header=BB12_135 Depth=3
	v_bfe_u32 v28, v4, 16, 1
	s_delay_alu instid0(VALU_DEP_1)
	v_add3_u32 v46, v4, v28, 0x7fff
                                        ; implicit-def: $vgpr4
; %bb.573:                              ;   in Loop: Header=BB12_135 Depth=3
	s_and_not1_saveexec_b32 s76, s76
; %bb.574:                              ;   in Loop: Header=BB12_135 Depth=3
	v_and_b32_e32 v28, 0xffff, v4
	v_or_b32_e32 v46, 0x10000, v4
	s_delay_alu instid0(VALU_DEP_2) | instskip(NEXT) | instid1(VALU_DEP_2)
	v_cmp_eq_u32_e32 vcc_lo, 0, v28
	v_cndmask_b32_e32 v46, v46, v4, vcc_lo
; %bb.575:                              ;   in Loop: Header=BB12_135 Depth=3
	s_or_b32 exec_lo, exec_lo, s76
	v_and_b32_e32 v4, 0xffff0000, v54
	s_mov_b32 s76, exec_lo
                                        ; implicit-def: $vgpr54
	s_delay_alu instid0(VALU_DEP_1) | instskip(NEXT) | instid1(VALU_DEP_1)
	v_mul_f32_e32 v4, v124, v4
	v_and_b32_e32 v28, 0x7f800000, v4
	s_delay_alu instid0(VALU_DEP_1)
	v_cmpx_ne_u32_e32 0x7f800000, v28
	s_xor_b32 s76, exec_lo, s76
; %bb.576:                              ;   in Loop: Header=BB12_135 Depth=3
	v_bfe_u32 v28, v4, 16, 1
	s_delay_alu instid0(VALU_DEP_1)
	v_add3_u32 v54, v4, v28, 0x7fff
                                        ; implicit-def: $vgpr4
; %bb.577:                              ;   in Loop: Header=BB12_135 Depth=3
	s_and_not1_saveexec_b32 s76, s76
; %bb.578:                              ;   in Loop: Header=BB12_135 Depth=3
	v_and_b32_e32 v28, 0xffff, v4
	v_or_b32_e32 v54, 0x10000, v4
	s_delay_alu instid0(VALU_DEP_2) | instskip(NEXT) | instid1(VALU_DEP_2)
	v_cmp_eq_u32_e32 vcc_lo, 0, v28
	v_cndmask_b32_e32 v54, v54, v4, vcc_lo
; %bb.579:                              ;   in Loop: Header=BB12_135 Depth=3
	s_or_b32 exec_lo, exec_lo, s76
	v_lshlrev_b32_e32 v4, 16, v55
	s_mov_b32 s76, exec_lo
                                        ; implicit-def: $vgpr47
	s_delay_alu instid0(VALU_DEP_1) | instskip(NEXT) | instid1(VALU_DEP_1)
	v_mul_f32_e32 v4, v124, v4
	v_and_b32_e32 v28, 0x7f800000, v4
	s_delay_alu instid0(VALU_DEP_1)
	v_cmpx_ne_u32_e32 0x7f800000, v28
	s_xor_b32 s76, exec_lo, s76
; %bb.580:                              ;   in Loop: Header=BB12_135 Depth=3
	v_bfe_u32 v28, v4, 16, 1
	s_delay_alu instid0(VALU_DEP_1)
	v_add3_u32 v47, v4, v28, 0x7fff
                                        ; implicit-def: $vgpr4
; %bb.581:                              ;   in Loop: Header=BB12_135 Depth=3
	s_and_not1_saveexec_b32 s76, s76
; %bb.582:                              ;   in Loop: Header=BB12_135 Depth=3
	v_and_b32_e32 v28, 0xffff, v4
	v_or_b32_e32 v47, 0x10000, v4
	s_delay_alu instid0(VALU_DEP_2) | instskip(NEXT) | instid1(VALU_DEP_2)
	v_cmp_eq_u32_e32 vcc_lo, 0, v28
	v_cndmask_b32_e32 v47, v47, v4, vcc_lo
; %bb.583:                              ;   in Loop: Header=BB12_135 Depth=3
	s_or_b32 exec_lo, exec_lo, s76
	v_and_b32_e32 v4, 0xffff0000, v55
	s_mov_b32 s76, exec_lo
                                        ; implicit-def: $vgpr55
	s_delay_alu instid0(VALU_DEP_1) | instskip(NEXT) | instid1(VALU_DEP_1)
	v_mul_f32_e32 v4, v124, v4
	v_and_b32_e32 v28, 0x7f800000, v4
	s_delay_alu instid0(VALU_DEP_1)
	v_cmpx_ne_u32_e32 0x7f800000, v28
	s_xor_b32 s76, exec_lo, s76
; %bb.584:                              ;   in Loop: Header=BB12_135 Depth=3
	v_bfe_u32 v28, v4, 16, 1
	s_delay_alu instid0(VALU_DEP_1)
	v_add3_u32 v55, v4, v28, 0x7fff
                                        ; implicit-def: $vgpr4
; %bb.585:                              ;   in Loop: Header=BB12_135 Depth=3
	s_and_not1_saveexec_b32 s76, s76
; %bb.586:                              ;   in Loop: Header=BB12_135 Depth=3
	v_and_b32_e32 v28, 0xffff, v4
	v_or_b32_e32 v55, 0x10000, v4
	s_delay_alu instid0(VALU_DEP_2) | instskip(NEXT) | instid1(VALU_DEP_2)
	v_cmp_eq_u32_e32 vcc_lo, 0, v28
	v_cndmask_b32_e32 v55, v55, v4, vcc_lo
; %bb.587:                              ;   in Loop: Header=BB12_135 Depth=3
	s_or_b32 exec_lo, exec_lo, s76
	v_lshlrev_b32_e32 v4, 16, v36
	s_mov_b32 s76, exec_lo
                                        ; implicit-def: $vgpr106
	s_delay_alu instid0(VALU_DEP_1) | instskip(NEXT) | instid1(VALU_DEP_1)
	v_mul_f32_e32 v4, v124, v4
	v_and_b32_e32 v28, 0x7f800000, v4
	s_delay_alu instid0(VALU_DEP_1)
	v_cmpx_ne_u32_e32 0x7f800000, v28
	s_xor_b32 s76, exec_lo, s76
; %bb.588:                              ;   in Loop: Header=BB12_135 Depth=3
	v_bfe_u32 v28, v4, 16, 1
	s_delay_alu instid0(VALU_DEP_1)
	v_add3_u32 v106, v4, v28, 0x7fff
                                        ; implicit-def: $vgpr4
; %bb.589:                              ;   in Loop: Header=BB12_135 Depth=3
	s_and_not1_saveexec_b32 s76, s76
; %bb.590:                              ;   in Loop: Header=BB12_135 Depth=3
	v_and_b32_e32 v28, 0xffff, v4
	v_or_b32_e32 v90, 0x10000, v4
	s_delay_alu instid0(VALU_DEP_2) | instskip(NEXT) | instid1(VALU_DEP_2)
	v_cmp_eq_u32_e32 vcc_lo, 0, v28
	v_cndmask_b32_e32 v106, v90, v4, vcc_lo
; %bb.591:                              ;   in Loop: Header=BB12_135 Depth=3
	s_or_b32 exec_lo, exec_lo, s76
	v_and_b32_e32 v4, 0xffff0000, v36
	s_mov_b32 s76, exec_lo
                                        ; implicit-def: $vgpr36
	s_delay_alu instid0(VALU_DEP_1) | instskip(NEXT) | instid1(VALU_DEP_1)
	v_mul_f32_e32 v4, v124, v4
	v_and_b32_e32 v28, 0x7f800000, v4
	s_delay_alu instid0(VALU_DEP_1)
	v_cmpx_ne_u32_e32 0x7f800000, v28
	s_xor_b32 s76, exec_lo, s76
; %bb.592:                              ;   in Loop: Header=BB12_135 Depth=3
	v_bfe_u32 v28, v4, 16, 1
	s_delay_alu instid0(VALU_DEP_1)
	v_add3_u32 v36, v4, v28, 0x7fff
                                        ; implicit-def: $vgpr4
; %bb.593:                              ;   in Loop: Header=BB12_135 Depth=3
	s_and_not1_saveexec_b32 s76, s76
; %bb.594:                              ;   in Loop: Header=BB12_135 Depth=3
	v_and_b32_e32 v28, 0xffff, v4
	v_or_b32_e32 v36, 0x10000, v4
	s_delay_alu instid0(VALU_DEP_2) | instskip(NEXT) | instid1(VALU_DEP_2)
	v_cmp_eq_u32_e32 vcc_lo, 0, v28
	v_cndmask_b32_e32 v36, v36, v4, vcc_lo
; %bb.595:                              ;   in Loop: Header=BB12_135 Depth=3
	s_or_b32 exec_lo, exec_lo, s76
	v_lshlrev_b32_e32 v4, 16, v37
	s_mov_b32 s76, exec_lo
                                        ; implicit-def: $vgpr107
	s_delay_alu instid0(VALU_DEP_1) | instskip(NEXT) | instid1(VALU_DEP_1)
	v_mul_f32_e32 v4, v124, v4
	v_and_b32_e32 v28, 0x7f800000, v4
	s_delay_alu instid0(VALU_DEP_1)
	v_cmpx_ne_u32_e32 0x7f800000, v28
	s_xor_b32 s76, exec_lo, s76
; %bb.596:                              ;   in Loop: Header=BB12_135 Depth=3
	v_bfe_u32 v28, v4, 16, 1
	s_delay_alu instid0(VALU_DEP_1)
	v_add3_u32 v107, v4, v28, 0x7fff
                                        ; implicit-def: $vgpr4
; %bb.597:                              ;   in Loop: Header=BB12_135 Depth=3
	s_and_not1_saveexec_b32 s76, s76
; %bb.598:                              ;   in Loop: Header=BB12_135 Depth=3
	v_and_b32_e32 v28, 0xffff, v4
	v_or_b32_e32 v90, 0x10000, v4
	s_delay_alu instid0(VALU_DEP_2) | instskip(NEXT) | instid1(VALU_DEP_2)
	v_cmp_eq_u32_e32 vcc_lo, 0, v28
	v_cndmask_b32_e32 v107, v90, v4, vcc_lo
; %bb.599:                              ;   in Loop: Header=BB12_135 Depth=3
	s_or_b32 exec_lo, exec_lo, s76
	v_and_b32_e32 v4, 0xffff0000, v37
	s_mov_b32 s76, exec_lo
                                        ; implicit-def: $vgpr37
	s_delay_alu instid0(VALU_DEP_1) | instskip(NEXT) | instid1(VALU_DEP_1)
	v_mul_f32_e32 v4, v124, v4
	v_and_b32_e32 v28, 0x7f800000, v4
	s_delay_alu instid0(VALU_DEP_1)
	v_cmpx_ne_u32_e32 0x7f800000, v28
	s_xor_b32 s76, exec_lo, s76
; %bb.600:                              ;   in Loop: Header=BB12_135 Depth=3
	v_bfe_u32 v28, v4, 16, 1
	s_delay_alu instid0(VALU_DEP_1)
	v_add3_u32 v37, v4, v28, 0x7fff
                                        ; implicit-def: $vgpr4
; %bb.601:                              ;   in Loop: Header=BB12_135 Depth=3
	s_and_not1_saveexec_b32 s76, s76
; %bb.602:                              ;   in Loop: Header=BB12_135 Depth=3
	v_and_b32_e32 v28, 0xffff, v4
	v_or_b32_e32 v37, 0x10000, v4
	s_delay_alu instid0(VALU_DEP_2) | instskip(NEXT) | instid1(VALU_DEP_2)
	v_cmp_eq_u32_e32 vcc_lo, 0, v28
	v_cndmask_b32_e32 v37, v37, v4, vcc_lo
; %bb.603:                              ;   in Loop: Header=BB12_135 Depth=3
	s_or_b32 exec_lo, exec_lo, s76
	v_lshlrev_b32_e32 v4, 16, v38
	s_mov_b32 s76, exec_lo
                                        ; implicit-def: $vgpr120
	s_delay_alu instid0(VALU_DEP_1) | instskip(NEXT) | instid1(VALU_DEP_1)
	v_mul_f32_e32 v4, v124, v4
	v_and_b32_e32 v28, 0x7f800000, v4
	s_delay_alu instid0(VALU_DEP_1)
	v_cmpx_ne_u32_e32 0x7f800000, v28
	s_xor_b32 s76, exec_lo, s76
; %bb.604:                              ;   in Loop: Header=BB12_135 Depth=3
	v_bfe_u32 v28, v4, 16, 1
	s_delay_alu instid0(VALU_DEP_1)
	v_add3_u32 v120, v4, v28, 0x7fff
                                        ; implicit-def: $vgpr4
; %bb.605:                              ;   in Loop: Header=BB12_135 Depth=3
	s_and_not1_saveexec_b32 s76, s76
; %bb.606:                              ;   in Loop: Header=BB12_135 Depth=3
	v_and_b32_e32 v28, 0xffff, v4
	v_or_b32_e32 v90, 0x10000, v4
	s_delay_alu instid0(VALU_DEP_2) | instskip(NEXT) | instid1(VALU_DEP_2)
	v_cmp_eq_u32_e32 vcc_lo, 0, v28
	v_cndmask_b32_e32 v120, v90, v4, vcc_lo
; %bb.607:                              ;   in Loop: Header=BB12_135 Depth=3
	s_or_b32 exec_lo, exec_lo, s76
	v_and_b32_e32 v4, 0xffff0000, v38
	s_mov_b32 s76, exec_lo
                                        ; implicit-def: $vgpr38
	s_delay_alu instid0(VALU_DEP_1) | instskip(NEXT) | instid1(VALU_DEP_1)
	v_mul_f32_e32 v4, v124, v4
	v_and_b32_e32 v28, 0x7f800000, v4
	s_delay_alu instid0(VALU_DEP_1)
	v_cmpx_ne_u32_e32 0x7f800000, v28
	s_xor_b32 s76, exec_lo, s76
; %bb.608:                              ;   in Loop: Header=BB12_135 Depth=3
	v_bfe_u32 v28, v4, 16, 1
	s_delay_alu instid0(VALU_DEP_1)
	v_add3_u32 v38, v4, v28, 0x7fff
                                        ; implicit-def: $vgpr4
; %bb.609:                              ;   in Loop: Header=BB12_135 Depth=3
	s_and_not1_saveexec_b32 s76, s76
; %bb.610:                              ;   in Loop: Header=BB12_135 Depth=3
	v_and_b32_e32 v28, 0xffff, v4
	v_or_b32_e32 v38, 0x10000, v4
	s_delay_alu instid0(VALU_DEP_2) | instskip(NEXT) | instid1(VALU_DEP_2)
	v_cmp_eq_u32_e32 vcc_lo, 0, v28
	v_cndmask_b32_e32 v38, v38, v4, vcc_lo
; %bb.611:                              ;   in Loop: Header=BB12_135 Depth=3
	s_or_b32 exec_lo, exec_lo, s76
	v_lshlrev_b32_e32 v4, 16, v39
	s_mov_b32 s76, exec_lo
                                        ; implicit-def: $vgpr121
	s_delay_alu instid0(VALU_DEP_1) | instskip(NEXT) | instid1(VALU_DEP_1)
	v_mul_f32_e32 v4, v124, v4
	v_and_b32_e32 v28, 0x7f800000, v4
	s_delay_alu instid0(VALU_DEP_1)
	v_cmpx_ne_u32_e32 0x7f800000, v28
	s_xor_b32 s76, exec_lo, s76
; %bb.612:                              ;   in Loop: Header=BB12_135 Depth=3
	v_bfe_u32 v28, v4, 16, 1
	s_delay_alu instid0(VALU_DEP_1)
	v_add3_u32 v121, v4, v28, 0x7fff
                                        ; implicit-def: $vgpr4
; %bb.613:                              ;   in Loop: Header=BB12_135 Depth=3
	s_and_not1_saveexec_b32 s76, s76
; %bb.614:                              ;   in Loop: Header=BB12_135 Depth=3
	v_and_b32_e32 v28, 0xffff, v4
	v_or_b32_e32 v90, 0x10000, v4
	s_delay_alu instid0(VALU_DEP_2) | instskip(NEXT) | instid1(VALU_DEP_2)
	v_cmp_eq_u32_e32 vcc_lo, 0, v28
	v_cndmask_b32_e32 v121, v90, v4, vcc_lo
; %bb.615:                              ;   in Loop: Header=BB12_135 Depth=3
	s_or_b32 exec_lo, exec_lo, s76
	v_and_b32_e32 v4, 0xffff0000, v39
	s_mov_b32 s76, exec_lo
                                        ; implicit-def: $vgpr39
	s_delay_alu instid0(VALU_DEP_1) | instskip(NEXT) | instid1(VALU_DEP_1)
	v_mul_f32_e32 v4, v124, v4
	v_and_b32_e32 v28, 0x7f800000, v4
	s_delay_alu instid0(VALU_DEP_1)
	v_cmpx_ne_u32_e32 0x7f800000, v28
	s_xor_b32 s76, exec_lo, s76
; %bb.616:                              ;   in Loop: Header=BB12_135 Depth=3
	v_bfe_u32 v28, v4, 16, 1
	s_delay_alu instid0(VALU_DEP_1)
	v_add3_u32 v39, v4, v28, 0x7fff
                                        ; implicit-def: $vgpr4
; %bb.617:                              ;   in Loop: Header=BB12_135 Depth=3
	s_and_not1_saveexec_b32 s76, s76
; %bb.618:                              ;   in Loop: Header=BB12_135 Depth=3
	v_and_b32_e32 v28, 0xffff, v4
	v_or_b32_e32 v39, 0x10000, v4
	s_delay_alu instid0(VALU_DEP_2) | instskip(NEXT) | instid1(VALU_DEP_2)
	v_cmp_eq_u32_e32 vcc_lo, 0, v28
	v_cndmask_b32_e32 v39, v39, v4, vcc_lo
; %bb.619:                              ;   in Loop: Header=BB12_135 Depth=3
	s_or_b32 exec_lo, exec_lo, s76
	v_lshlrev_b32_e32 v4, 16, v32
	s_delay_alu instid0(VALU_DEP_1) | instskip(NEXT) | instid1(VALU_DEP_1)
	v_mul_f32_e32 v28, v124, v4
	v_and_b32_e32 v4, 0x7f800000, v28
	s_delay_alu instid0(VALU_DEP_1) | instskip(SKIP_1) | instid1(SALU_CYCLE_1)
	v_cmp_ne_u32_e32 vcc_lo, 0x7f800000, v4
                                        ; implicit-def: $vgpr4
	s_and_saveexec_b32 s76, vcc_lo
	s_xor_b32 s76, exec_lo, s76
; %bb.620:                              ;   in Loop: Header=BB12_135 Depth=3
	v_bfe_u32 v4, v28, 16, 1
	s_delay_alu instid0(VALU_DEP_1)
	v_add3_u32 v4, v28, v4, 0x7fff
                                        ; implicit-def: $vgpr28
; %bb.621:                              ;   in Loop: Header=BB12_135 Depth=3
	s_and_not1_saveexec_b32 s76, s76
; %bb.622:                              ;   in Loop: Header=BB12_135 Depth=3
	v_and_b32_e32 v4, 0xffff, v28
	v_or_b32_e32 v90, 0x10000, v28
	s_delay_alu instid0(VALU_DEP_2) | instskip(NEXT) | instid1(VALU_DEP_2)
	v_cmp_eq_u32_e32 vcc_lo, 0, v4
	v_cndmask_b32_e32 v4, v90, v28, vcc_lo
; %bb.623:                              ;   in Loop: Header=BB12_135 Depth=3
	s_or_b32 exec_lo, exec_lo, s76
	v_and_b32_e32 v28, 0xffff0000, v32
	s_mov_b32 s76, exec_lo
                                        ; implicit-def: $vgpr122
	s_delay_alu instid0(VALU_DEP_1) | instskip(NEXT) | instid1(VALU_DEP_1)
	v_mul_f32_e32 v28, v124, v28
	v_and_b32_e32 v32, 0x7f800000, v28
	s_delay_alu instid0(VALU_DEP_1)
	v_cmpx_ne_u32_e32 0x7f800000, v32
	s_xor_b32 s76, exec_lo, s76
; %bb.624:                              ;   in Loop: Header=BB12_135 Depth=3
	v_bfe_u32 v32, v28, 16, 1
	s_delay_alu instid0(VALU_DEP_1)
	v_add3_u32 v122, v28, v32, 0x7fff
                                        ; implicit-def: $vgpr28
; %bb.625:                              ;   in Loop: Header=BB12_135 Depth=3
	s_and_not1_saveexec_b32 s76, s76
; %bb.626:                              ;   in Loop: Header=BB12_135 Depth=3
	v_and_b32_e32 v32, 0xffff, v28
	v_or_b32_e32 v90, 0x10000, v28
	s_delay_alu instid0(VALU_DEP_2) | instskip(NEXT) | instid1(VALU_DEP_2)
	v_cmp_eq_u32_e32 vcc_lo, 0, v32
	v_cndmask_b32_e32 v122, v90, v28, vcc_lo
; %bb.627:                              ;   in Loop: Header=BB12_135 Depth=3
	s_or_b32 exec_lo, exec_lo, s76
	v_lshlrev_b32_e32 v28, 16, v33
	s_mov_b32 s76, exec_lo
                                        ; implicit-def: $vgpr123
	s_delay_alu instid0(VALU_DEP_1) | instskip(NEXT) | instid1(VALU_DEP_1)
	v_mul_f32_e32 v28, v124, v28
	v_and_b32_e32 v32, 0x7f800000, v28
	s_delay_alu instid0(VALU_DEP_1)
	v_cmpx_ne_u32_e32 0x7f800000, v32
	s_xor_b32 s76, exec_lo, s76
; %bb.628:                              ;   in Loop: Header=BB12_135 Depth=3
	v_bfe_u32 v32, v28, 16, 1
	s_delay_alu instid0(VALU_DEP_1)
	v_add3_u32 v123, v28, v32, 0x7fff
                                        ; implicit-def: $vgpr28
; %bb.629:                              ;   in Loop: Header=BB12_135 Depth=3
	s_and_not1_saveexec_b32 s76, s76
; %bb.630:                              ;   in Loop: Header=BB12_135 Depth=3
	v_and_b32_e32 v32, 0xffff, v28
	v_or_b32_e32 v90, 0x10000, v28
	s_delay_alu instid0(VALU_DEP_2) | instskip(NEXT) | instid1(VALU_DEP_2)
	v_cmp_eq_u32_e32 vcc_lo, 0, v32
	v_cndmask_b32_e32 v123, v90, v28, vcc_lo
; %bb.631:                              ;   in Loop: Header=BB12_135 Depth=3
	s_or_b32 exec_lo, exec_lo, s76
	v_and_b32_e32 v28, 0xffff0000, v33
	s_mov_b32 s76, exec_lo
                                        ; implicit-def: $vgpr90
	s_delay_alu instid0(VALU_DEP_1) | instskip(NEXT) | instid1(VALU_DEP_1)
	v_mul_f32_e32 v28, v124, v28
	v_and_b32_e32 v32, 0x7f800000, v28
	s_delay_alu instid0(VALU_DEP_1)
	v_cmpx_ne_u32_e32 0x7f800000, v32
	s_xor_b32 s76, exec_lo, s76
; %bb.632:                              ;   in Loop: Header=BB12_135 Depth=3
	v_bfe_u32 v32, v28, 16, 1
	s_delay_alu instid0(VALU_DEP_1)
	v_add3_u32 v90, v28, v32, 0x7fff
                                        ; implicit-def: $vgpr28
; %bb.633:                              ;   in Loop: Header=BB12_135 Depth=3
	s_and_not1_saveexec_b32 s76, s76
; %bb.634:                              ;   in Loop: Header=BB12_135 Depth=3
	v_and_b32_e32 v32, 0xffff, v28
	v_or_b32_e32 v33, 0x10000, v28
	s_delay_alu instid0(VALU_DEP_2) | instskip(NEXT) | instid1(VALU_DEP_2)
	v_cmp_eq_u32_e32 vcc_lo, 0, v32
	v_cndmask_b32_e32 v90, v33, v28, vcc_lo
; %bb.635:                              ;   in Loop: Header=BB12_135 Depth=3
	s_or_b32 exec_lo, exec_lo, s76
	v_lshlrev_b32_e32 v28, 16, v34
	s_delay_alu instid0(VALU_DEP_1) | instskip(NEXT) | instid1(VALU_DEP_1)
	v_mul_f32_e32 v32, v124, v28
	v_and_b32_e32 v28, 0x7f800000, v32
	s_delay_alu instid0(VALU_DEP_1) | instskip(SKIP_1) | instid1(SALU_CYCLE_1)
	v_cmp_ne_u32_e32 vcc_lo, 0x7f800000, v28
                                        ; implicit-def: $vgpr28
	s_and_saveexec_b32 s76, vcc_lo
	s_xor_b32 s76, exec_lo, s76
; %bb.636:                              ;   in Loop: Header=BB12_135 Depth=3
	v_bfe_u32 v28, v32, 16, 1
	s_delay_alu instid0(VALU_DEP_1)
	v_add3_u32 v28, v32, v28, 0x7fff
                                        ; implicit-def: $vgpr32
; %bb.637:                              ;   in Loop: Header=BB12_135 Depth=3
	s_and_not1_saveexec_b32 s76, s76
; %bb.638:                              ;   in Loop: Header=BB12_135 Depth=3
	v_and_b32_e32 v28, 0xffff, v32
	v_or_b32_e32 v33, 0x10000, v32
	s_delay_alu instid0(VALU_DEP_2) | instskip(NEXT) | instid1(VALU_DEP_2)
	v_cmp_eq_u32_e32 vcc_lo, 0, v28
	v_cndmask_b32_e32 v28, v33, v32, vcc_lo
; %bb.639:                              ;   in Loop: Header=BB12_135 Depth=3
	s_or_b32 exec_lo, exec_lo, s76
	v_and_b32_e32 v32, 0xffff0000, v34
	s_mov_b32 s76, exec_lo
                                        ; implicit-def: $vgpr94
	s_delay_alu instid0(VALU_DEP_1) | instskip(NEXT) | instid1(VALU_DEP_1)
	v_mul_f32_e32 v32, v124, v32
	v_and_b32_e32 v33, 0x7f800000, v32
	s_delay_alu instid0(VALU_DEP_1)
	v_cmpx_ne_u32_e32 0x7f800000, v33
	s_xor_b32 s76, exec_lo, s76
; %bb.640:                              ;   in Loop: Header=BB12_135 Depth=3
	v_bfe_u32 v33, v32, 16, 1
	s_delay_alu instid0(VALU_DEP_1)
	v_add3_u32 v94, v32, v33, 0x7fff
                                        ; implicit-def: $vgpr32
; %bb.641:                              ;   in Loop: Header=BB12_135 Depth=3
	s_and_not1_saveexec_b32 s76, s76
; %bb.642:                              ;   in Loop: Header=BB12_135 Depth=3
	v_and_b32_e32 v33, 0xffff, v32
	v_or_b32_e32 v34, 0x10000, v32
	s_delay_alu instid0(VALU_DEP_2) | instskip(NEXT) | instid1(VALU_DEP_2)
	v_cmp_eq_u32_e32 vcc_lo, 0, v33
	v_cndmask_b32_e32 v94, v34, v32, vcc_lo
; %bb.643:                              ;   in Loop: Header=BB12_135 Depth=3
	s_or_b32 exec_lo, exec_lo, s76
	v_lshlrev_b32_e32 v32, 16, v35
	s_mov_b32 s76, exec_lo
                                        ; implicit-def: $vgpr95
	s_delay_alu instid0(VALU_DEP_1) | instskip(NEXT) | instid1(VALU_DEP_1)
	v_mul_f32_e32 v32, v124, v32
	v_and_b32_e32 v33, 0x7f800000, v32
	s_delay_alu instid0(VALU_DEP_1)
	v_cmpx_ne_u32_e32 0x7f800000, v33
	s_xor_b32 s76, exec_lo, s76
; %bb.644:                              ;   in Loop: Header=BB12_135 Depth=3
	v_bfe_u32 v33, v32, 16, 1
	s_delay_alu instid0(VALU_DEP_1)
	v_add3_u32 v95, v32, v33, 0x7fff
                                        ; implicit-def: $vgpr32
; %bb.645:                              ;   in Loop: Header=BB12_135 Depth=3
	s_and_not1_saveexec_b32 s76, s76
; %bb.646:                              ;   in Loop: Header=BB12_135 Depth=3
	v_and_b32_e32 v33, 0xffff, v32
	v_or_b32_e32 v34, 0x10000, v32
	s_delay_alu instid0(VALU_DEP_2) | instskip(NEXT) | instid1(VALU_DEP_2)
	v_cmp_eq_u32_e32 vcc_lo, 0, v33
	v_cndmask_b32_e32 v95, v34, v32, vcc_lo
; %bb.647:                              ;   in Loop: Header=BB12_135 Depth=3
	s_or_b32 exec_lo, exec_lo, s76
	v_and_b32_e32 v32, 0xffff0000, v35
	s_mov_b32 s76, exec_lo
                                        ; implicit-def: $vgpr110
	s_delay_alu instid0(VALU_DEP_1) | instskip(NEXT) | instid1(VALU_DEP_1)
	v_mul_f32_e32 v32, v124, v32
	v_and_b32_e32 v33, 0x7f800000, v32
	s_delay_alu instid0(VALU_DEP_1)
	v_cmpx_ne_u32_e32 0x7f800000, v33
	s_xor_b32 s76, exec_lo, s76
; %bb.648:                              ;   in Loop: Header=BB12_135 Depth=3
	v_bfe_u32 v33, v32, 16, 1
	s_delay_alu instid0(VALU_DEP_1)
	v_add3_u32 v110, v32, v33, 0x7fff
                                        ; implicit-def: $vgpr32
; %bb.649:                              ;   in Loop: Header=BB12_135 Depth=3
	s_and_not1_saveexec_b32 s76, s76
	s_cbranch_execz .LBB12_134
; %bb.650:                              ;   in Loop: Header=BB12_135 Depth=3
	v_and_b32_e32 v33, 0xffff, v32
	v_or_b32_e32 v34, 0x10000, v32
	s_delay_alu instid0(VALU_DEP_2) | instskip(NEXT) | instid1(VALU_DEP_2)
	v_cmp_eq_u32_e32 vcc_lo, 0, v33
	v_cndmask_b32_e32 v110, v34, v32, vcc_lo
	s_branch .LBB12_134
.LBB12_651:                             ;   in Loop: Header=BB12_57 Depth=2
	s_wait_loadcnt 0x1
	scratch_load_b32 v4, off, s33 offset:356 ; 4-byte Folded Reload
	s_wait_loadcnt 0x1
	scratch_load_b32 v13, off, s33 offset:328 ; 4-byte Folded Reload
	s_wait_xcnt 0x0
	s_and_saveexec_b32 s13, s40
	s_cbranch_execnz .LBB12_1024
	s_branch .LBB12_1248
.LBB12_652:                             ;   in Loop: Header=BB12_57 Depth=2
	s_or_b32 exec_lo, exec_lo, s41
	s_clause 0x5
	scratch_load_b32 v100, off, s33 offset:432
	scratch_load_b64 v[102:103], off, s33 offset:340
	scratch_load_b64 v[112:113], off, s33 offset:388
	;; [unrolled: 1-line block ×3, first 2 shown]
	scratch_load_b32 v101, off, s33 offset:396
	scratch_load_b64 v[118:119], off, s33 offset:400
	s_wait_loadcnt 0x4
	s_clause 0x1
	scratch_load_b32 v103, off, s33 offset:408
	scratch_load_b64 v[42:43], off, s33 offset:412
	s_wait_loadcnt 0x5
	scratch_load_b32 v113, off, s33 offset:420 ; 4-byte Folded Reload
	s_and_b32 s41, s74, exec_lo
.LBB12_653:                             ;   in Loop: Header=BB12_57 Depth=2
	s_wait_xcnt 0x0
	s_or_b32 exec_lo, exec_lo, s13
	s_and_saveexec_b32 s13, s41
	s_cbranch_execz .LBB12_911
; %bb.654:                              ;   in Loop: Header=BB12_57 Depth=2
	s_trap 2
	ds_load_b32 v0, v0
	s_mov_b32 s41, exec_lo
                                        ; implicit-def: $vgpr30
	s_wait_dscnt 0x0
	v_lshlrev_b32_e32 v33, 16, v0
	s_delay_alu instid0(VALU_DEP_1) | instskip(NEXT) | instid1(VALU_DEP_1)
	v_dual_lshlrev_b32 v32, 16, v96 :: v_dual_mov_b32 v0, v33
	v_pk_mul_f32 v[34:35], v[0:1], v[32:33]
	s_delay_alu instid0(VALU_DEP_1) | instskip(NEXT) | instid1(VALU_DEP_1)
	v_and_b32_e32 v0, 0x7f800000, v34
	v_cmpx_ne_u32_e32 0x7f800000, v0
	s_xor_b32 s41, exec_lo, s41
; %bb.655:                              ;   in Loop: Header=BB12_57 Depth=2
	v_bfe_u32 v0, v34, 16, 1
	s_delay_alu instid0(VALU_DEP_1)
	v_add3_u32 v30, v34, v0, 0x7fff
                                        ; implicit-def: $vgpr34_vgpr35
; %bb.656:                              ;   in Loop: Header=BB12_57 Depth=2
	s_and_not1_saveexec_b32 s41, s41
; %bb.657:                              ;   in Loop: Header=BB12_57 Depth=2
	v_and_b32_e32 v0, 0xffff, v34
	v_or_b32_e32 v1, 0x10000, v34
	s_delay_alu instid0(VALU_DEP_2) | instskip(NEXT) | instid1(VALU_DEP_2)
	v_cmp_eq_u32_e32 vcc_lo, 0, v0
	v_cndmask_b32_e32 v30, v1, v34, vcc_lo
; %bb.658:                              ;   in Loop: Header=BB12_57 Depth=2
	s_or_b32 exec_lo, exec_lo, s41
	v_and_b32_e32 v0, 0xffff0000, v96
	s_mov_b32 s41, exec_lo
                                        ; implicit-def: $vgpr31
	s_delay_alu instid0(VALU_DEP_1) | instskip(NEXT) | instid1(VALU_DEP_1)
	v_mul_f32_e32 v0, v33, v0
	v_and_b32_e32 v1, 0x7f800000, v0
	s_delay_alu instid0(VALU_DEP_1)
	v_cmpx_ne_u32_e32 0x7f800000, v1
	s_xor_b32 s41, exec_lo, s41
; %bb.659:                              ;   in Loop: Header=BB12_57 Depth=2
	v_bfe_u32 v1, v0, 16, 1
	s_delay_alu instid0(VALU_DEP_1)
	v_add3_u32 v31, v0, v1, 0x7fff
                                        ; implicit-def: $vgpr0
; %bb.660:                              ;   in Loop: Header=BB12_57 Depth=2
	s_and_not1_saveexec_b32 s41, s41
; %bb.661:                              ;   in Loop: Header=BB12_57 Depth=2
	v_and_b32_e32 v1, 0xffff, v0
	v_or_b32_e32 v2, 0x10000, v0
	s_delay_alu instid0(VALU_DEP_2) | instskip(NEXT) | instid1(VALU_DEP_2)
	v_cmp_eq_u32_e32 vcc_lo, 0, v1
	v_cndmask_b32_e32 v31, v2, v0, vcc_lo
; %bb.662:                              ;   in Loop: Header=BB12_57 Depth=2
	s_or_b32 exec_lo, exec_lo, s41
	v_lshlrev_b32_e32 v0, 16, v97
	s_mov_b32 s41, exec_lo
                                        ; implicit-def: $vgpr32
	s_delay_alu instid0(VALU_DEP_1) | instskip(NEXT) | instid1(VALU_DEP_1)
	v_mul_f32_e32 v0, v33, v0
	v_and_b32_e32 v1, 0x7f800000, v0
	s_delay_alu instid0(VALU_DEP_1)
	v_cmpx_ne_u32_e32 0x7f800000, v1
	s_xor_b32 s41, exec_lo, s41
; %bb.663:                              ;   in Loop: Header=BB12_57 Depth=2
	v_bfe_u32 v1, v0, 16, 1
	s_delay_alu instid0(VALU_DEP_1)
	v_add3_u32 v32, v0, v1, 0x7fff
                                        ; implicit-def: $vgpr0
; %bb.664:                              ;   in Loop: Header=BB12_57 Depth=2
	s_and_not1_saveexec_b32 s41, s41
; %bb.665:                              ;   in Loop: Header=BB12_57 Depth=2
	v_and_b32_e32 v1, 0xffff, v0
	v_or_b32_e32 v2, 0x10000, v0
	s_delay_alu instid0(VALU_DEP_2) | instskip(NEXT) | instid1(VALU_DEP_2)
	v_cmp_eq_u32_e32 vcc_lo, 0, v1
	v_cndmask_b32_e32 v32, v2, v0, vcc_lo
; %bb.666:                              ;   in Loop: Header=BB12_57 Depth=2
	s_or_b32 exec_lo, exec_lo, s41
	v_and_b32_e32 v0, 0xffff0000, v97
	s_mov_b32 s41, exec_lo
                                        ; implicit-def: $vgpr34
	s_delay_alu instid0(VALU_DEP_1) | instskip(NEXT) | instid1(VALU_DEP_1)
	v_mul_f32_e32 v0, v33, v0
	v_and_b32_e32 v1, 0x7f800000, v0
	s_delay_alu instid0(VALU_DEP_1)
	v_cmpx_ne_u32_e32 0x7f800000, v1
	s_xor_b32 s41, exec_lo, s41
; %bb.667:                              ;   in Loop: Header=BB12_57 Depth=2
	v_bfe_u32 v1, v0, 16, 1
	s_delay_alu instid0(VALU_DEP_1)
	v_add3_u32 v34, v0, v1, 0x7fff
                                        ; implicit-def: $vgpr0
; %bb.668:                              ;   in Loop: Header=BB12_57 Depth=2
	s_and_not1_saveexec_b32 s41, s41
; %bb.669:                              ;   in Loop: Header=BB12_57 Depth=2
	v_and_b32_e32 v1, 0xffff, v0
	v_or_b32_e32 v2, 0x10000, v0
	s_delay_alu instid0(VALU_DEP_2) | instskip(NEXT) | instid1(VALU_DEP_2)
	v_cmp_eq_u32_e32 vcc_lo, 0, v1
	v_cndmask_b32_e32 v34, v2, v0, vcc_lo
; %bb.670:                              ;   in Loop: Header=BB12_57 Depth=2
	s_or_b32 exec_lo, exec_lo, s41
	v_lshlrev_b32_e32 v0, 16, v98
	s_mov_b32 s41, exec_lo
                                        ; implicit-def: $vgpr35
	s_delay_alu instid0(VALU_DEP_1) | instskip(NEXT) | instid1(VALU_DEP_1)
	v_mul_f32_e32 v0, v33, v0
	v_and_b32_e32 v1, 0x7f800000, v0
	s_delay_alu instid0(VALU_DEP_1)
	v_cmpx_ne_u32_e32 0x7f800000, v1
	s_xor_b32 s41, exec_lo, s41
; %bb.671:                              ;   in Loop: Header=BB12_57 Depth=2
	v_bfe_u32 v1, v0, 16, 1
	s_delay_alu instid0(VALU_DEP_1)
	v_add3_u32 v35, v0, v1, 0x7fff
                                        ; implicit-def: $vgpr0
; %bb.672:                              ;   in Loop: Header=BB12_57 Depth=2
	s_and_not1_saveexec_b32 s41, s41
; %bb.673:                              ;   in Loop: Header=BB12_57 Depth=2
	v_and_b32_e32 v1, 0xffff, v0
	v_or_b32_e32 v2, 0x10000, v0
	s_delay_alu instid0(VALU_DEP_2) | instskip(NEXT) | instid1(VALU_DEP_2)
	v_cmp_eq_u32_e32 vcc_lo, 0, v1
	v_cndmask_b32_e32 v35, v2, v0, vcc_lo
; %bb.674:                              ;   in Loop: Header=BB12_57 Depth=2
	s_or_b32 exec_lo, exec_lo, s41
	v_and_b32_e32 v0, 0xffff0000, v98
	s_mov_b32 s41, exec_lo
                                        ; implicit-def: $vgpr36
	s_delay_alu instid0(VALU_DEP_1) | instskip(NEXT) | instid1(VALU_DEP_1)
	v_mul_f32_e32 v0, v33, v0
	v_and_b32_e32 v1, 0x7f800000, v0
	s_delay_alu instid0(VALU_DEP_1)
	v_cmpx_ne_u32_e32 0x7f800000, v1
	s_xor_b32 s41, exec_lo, s41
; %bb.675:                              ;   in Loop: Header=BB12_57 Depth=2
	v_bfe_u32 v1, v0, 16, 1
	s_delay_alu instid0(VALU_DEP_1)
	v_add3_u32 v36, v0, v1, 0x7fff
                                        ; implicit-def: $vgpr0
; %bb.676:                              ;   in Loop: Header=BB12_57 Depth=2
	s_and_not1_saveexec_b32 s41, s41
; %bb.677:                              ;   in Loop: Header=BB12_57 Depth=2
	v_and_b32_e32 v1, 0xffff, v0
	v_or_b32_e32 v2, 0x10000, v0
	s_delay_alu instid0(VALU_DEP_2) | instskip(NEXT) | instid1(VALU_DEP_2)
	v_cmp_eq_u32_e32 vcc_lo, 0, v1
	v_cndmask_b32_e32 v36, v2, v0, vcc_lo
; %bb.678:                              ;   in Loop: Header=BB12_57 Depth=2
	s_or_b32 exec_lo, exec_lo, s41
	v_lshlrev_b32_e32 v0, 16, v99
	s_mov_b32 s41, exec_lo
                                        ; implicit-def: $vgpr37
	s_delay_alu instid0(VALU_DEP_1) | instskip(NEXT) | instid1(VALU_DEP_1)
	v_mul_f32_e32 v0, v33, v0
	v_and_b32_e32 v1, 0x7f800000, v0
	s_delay_alu instid0(VALU_DEP_1)
	v_cmpx_ne_u32_e32 0x7f800000, v1
	s_xor_b32 s41, exec_lo, s41
; %bb.679:                              ;   in Loop: Header=BB12_57 Depth=2
	v_bfe_u32 v1, v0, 16, 1
	s_delay_alu instid0(VALU_DEP_1)
	v_add3_u32 v37, v0, v1, 0x7fff
                                        ; implicit-def: $vgpr0
; %bb.680:                              ;   in Loop: Header=BB12_57 Depth=2
	s_and_not1_saveexec_b32 s41, s41
; %bb.681:                              ;   in Loop: Header=BB12_57 Depth=2
	v_and_b32_e32 v1, 0xffff, v0
	v_or_b32_e32 v2, 0x10000, v0
	s_delay_alu instid0(VALU_DEP_2) | instskip(NEXT) | instid1(VALU_DEP_2)
	v_cmp_eq_u32_e32 vcc_lo, 0, v1
	v_cndmask_b32_e32 v37, v2, v0, vcc_lo
; %bb.682:                              ;   in Loop: Header=BB12_57 Depth=2
	s_or_b32 exec_lo, exec_lo, s41
	v_and_b32_e32 v0, 0xffff0000, v99
	s_mov_b32 s41, exec_lo
                                        ; implicit-def: $vgpr38
	s_delay_alu instid0(VALU_DEP_1) | instskip(NEXT) | instid1(VALU_DEP_1)
	v_mul_f32_e32 v0, v33, v0
	v_and_b32_e32 v1, 0x7f800000, v0
	s_delay_alu instid0(VALU_DEP_1)
	v_cmpx_ne_u32_e32 0x7f800000, v1
	s_xor_b32 s41, exec_lo, s41
; %bb.683:                              ;   in Loop: Header=BB12_57 Depth=2
	v_bfe_u32 v1, v0, 16, 1
	s_delay_alu instid0(VALU_DEP_1)
	v_add3_u32 v38, v0, v1, 0x7fff
                                        ; implicit-def: $vgpr0
; %bb.684:                              ;   in Loop: Header=BB12_57 Depth=2
	s_and_not1_saveexec_b32 s41, s41
; %bb.685:                              ;   in Loop: Header=BB12_57 Depth=2
	v_and_b32_e32 v1, 0xffff, v0
	v_or_b32_e32 v2, 0x10000, v0
	s_delay_alu instid0(VALU_DEP_2) | instskip(NEXT) | instid1(VALU_DEP_2)
	v_cmp_eq_u32_e32 vcc_lo, 0, v1
	v_cndmask_b32_e32 v38, v2, v0, vcc_lo
; %bb.686:                              ;   in Loop: Header=BB12_57 Depth=2
	s_or_b32 exec_lo, exec_lo, s41
	v_lshlrev_b32_e32 v0, 16, v68
	s_mov_b32 s41, exec_lo
                                        ; implicit-def: $vgpr29
	s_delay_alu instid0(VALU_DEP_1) | instskip(NEXT) | instid1(VALU_DEP_1)
	v_mul_f32_e32 v0, v33, v0
	v_and_b32_e32 v1, 0x7f800000, v0
	s_delay_alu instid0(VALU_DEP_1)
	v_cmpx_ne_u32_e32 0x7f800000, v1
	s_xor_b32 s41, exec_lo, s41
; %bb.687:                              ;   in Loop: Header=BB12_57 Depth=2
	v_bfe_u32 v1, v0, 16, 1
	s_delay_alu instid0(VALU_DEP_1)
	v_add3_u32 v29, v0, v1, 0x7fff
                                        ; implicit-def: $vgpr0
; %bb.688:                              ;   in Loop: Header=BB12_57 Depth=2
	s_and_not1_saveexec_b32 s41, s41
; %bb.689:                              ;   in Loop: Header=BB12_57 Depth=2
	v_and_b32_e32 v1, 0xffff, v0
	v_or_b32_e32 v2, 0x10000, v0
	s_delay_alu instid0(VALU_DEP_2) | instskip(NEXT) | instid1(VALU_DEP_2)
	v_cmp_eq_u32_e32 vcc_lo, 0, v1
	v_cndmask_b32_e32 v29, v2, v0, vcc_lo
; %bb.690:                              ;   in Loop: Header=BB12_57 Depth=2
	s_or_b32 exec_lo, exec_lo, s41
	v_and_b32_e32 v0, 0xffff0000, v68
	s_mov_b32 s41, exec_lo
                                        ; implicit-def: $vgpr39
	s_delay_alu instid0(VALU_DEP_1) | instskip(NEXT) | instid1(VALU_DEP_1)
	v_mul_f32_e32 v0, v33, v0
	v_and_b32_e32 v1, 0x7f800000, v0
	s_delay_alu instid0(VALU_DEP_1)
	v_cmpx_ne_u32_e32 0x7f800000, v1
	s_xor_b32 s41, exec_lo, s41
; %bb.691:                              ;   in Loop: Header=BB12_57 Depth=2
	v_bfe_u32 v1, v0, 16, 1
	s_delay_alu instid0(VALU_DEP_1)
	v_add3_u32 v39, v0, v1, 0x7fff
                                        ; implicit-def: $vgpr0
; %bb.692:                              ;   in Loop: Header=BB12_57 Depth=2
	s_and_not1_saveexec_b32 s41, s41
; %bb.693:                              ;   in Loop: Header=BB12_57 Depth=2
	v_and_b32_e32 v1, 0xffff, v0
	v_or_b32_e32 v2, 0x10000, v0
	s_delay_alu instid0(VALU_DEP_2) | instskip(NEXT) | instid1(VALU_DEP_2)
	v_cmp_eq_u32_e32 vcc_lo, 0, v1
	v_cndmask_b32_e32 v39, v2, v0, vcc_lo
; %bb.694:                              ;   in Loop: Header=BB12_57 Depth=2
	s_or_b32 exec_lo, exec_lo, s41
	v_lshlrev_b32_e32 v0, 16, v69
	s_mov_b32 s41, exec_lo
                                        ; implicit-def: $vgpr2
	s_delay_alu instid0(VALU_DEP_1) | instskip(NEXT) | instid1(VALU_DEP_1)
	v_mul_f32_e32 v0, v33, v0
	v_and_b32_e32 v1, 0x7f800000, v0
	s_delay_alu instid0(VALU_DEP_1)
	v_cmpx_ne_u32_e32 0x7f800000, v1
	s_xor_b32 s41, exec_lo, s41
; %bb.695:                              ;   in Loop: Header=BB12_57 Depth=2
	v_bfe_u32 v1, v0, 16, 1
	s_delay_alu instid0(VALU_DEP_1)
	v_add3_u32 v2, v0, v1, 0x7fff
                                        ; implicit-def: $vgpr0
; %bb.696:                              ;   in Loop: Header=BB12_57 Depth=2
	s_and_not1_saveexec_b32 s41, s41
; %bb.697:                              ;   in Loop: Header=BB12_57 Depth=2
	v_and_b32_e32 v1, 0xffff, v0
	v_or_b32_e32 v2, 0x10000, v0
	s_delay_alu instid0(VALU_DEP_2) | instskip(NEXT) | instid1(VALU_DEP_2)
	v_cmp_eq_u32_e32 vcc_lo, 0, v1
	v_cndmask_b32_e32 v2, v2, v0, vcc_lo
; %bb.698:                              ;   in Loop: Header=BB12_57 Depth=2
	s_or_b32 exec_lo, exec_lo, s41
	v_and_b32_e32 v0, 0xffff0000, v69
	s_mov_b32 s41, exec_lo
                                        ; implicit-def: $vgpr52
	s_delay_alu instid0(VALU_DEP_1) | instskip(NEXT) | instid1(VALU_DEP_1)
	v_mul_f32_e32 v0, v33, v0
	v_and_b32_e32 v1, 0x7f800000, v0
	s_delay_alu instid0(VALU_DEP_1)
	v_cmpx_ne_u32_e32 0x7f800000, v1
	s_xor_b32 s41, exec_lo, s41
; %bb.699:                              ;   in Loop: Header=BB12_57 Depth=2
	v_bfe_u32 v1, v0, 16, 1
	s_delay_alu instid0(VALU_DEP_1)
	v_add3_u32 v52, v0, v1, 0x7fff
                                        ; implicit-def: $vgpr0
; %bb.700:                              ;   in Loop: Header=BB12_57 Depth=2
	s_and_not1_saveexec_b32 s41, s41
; %bb.701:                              ;   in Loop: Header=BB12_57 Depth=2
	v_and_b32_e32 v1, 0xffff, v0
	v_or_b32_e32 v4, 0x10000, v0
	s_delay_alu instid0(VALU_DEP_2) | instskip(NEXT) | instid1(VALU_DEP_2)
	v_cmp_eq_u32_e32 vcc_lo, 0, v1
	v_cndmask_b32_e32 v52, v4, v0, vcc_lo
; %bb.702:                              ;   in Loop: Header=BB12_57 Depth=2
	s_or_b32 exec_lo, exec_lo, s41
	v_lshlrev_b32_e32 v0, 16, v70
	s_mov_b32 s41, exec_lo
                                        ; implicit-def: $vgpr53
	s_delay_alu instid0(VALU_DEP_1) | instskip(NEXT) | instid1(VALU_DEP_1)
	v_mul_f32_e32 v0, v33, v0
	v_and_b32_e32 v1, 0x7f800000, v0
	s_delay_alu instid0(VALU_DEP_1)
	v_cmpx_ne_u32_e32 0x7f800000, v1
	s_xor_b32 s41, exec_lo, s41
; %bb.703:                              ;   in Loop: Header=BB12_57 Depth=2
	v_bfe_u32 v1, v0, 16, 1
	s_delay_alu instid0(VALU_DEP_1)
	v_add3_u32 v53, v0, v1, 0x7fff
                                        ; implicit-def: $vgpr0
; %bb.704:                              ;   in Loop: Header=BB12_57 Depth=2
	s_and_not1_saveexec_b32 s41, s41
; %bb.705:                              ;   in Loop: Header=BB12_57 Depth=2
	v_and_b32_e32 v1, 0xffff, v0
	v_or_b32_e32 v4, 0x10000, v0
	s_delay_alu instid0(VALU_DEP_2) | instskip(NEXT) | instid1(VALU_DEP_2)
	v_cmp_eq_u32_e32 vcc_lo, 0, v1
	v_cndmask_b32_e32 v53, v4, v0, vcc_lo
; %bb.706:                              ;   in Loop: Header=BB12_57 Depth=2
	s_or_b32 exec_lo, exec_lo, s41
	v_and_b32_e32 v0, 0xffff0000, v70
	s_mov_b32 s41, exec_lo
                                        ; implicit-def: $vgpr54
	s_delay_alu instid0(VALU_DEP_1) | instskip(NEXT) | instid1(VALU_DEP_1)
	v_mul_f32_e32 v0, v33, v0
	v_and_b32_e32 v1, 0x7f800000, v0
	s_delay_alu instid0(VALU_DEP_1)
	v_cmpx_ne_u32_e32 0x7f800000, v1
	s_xor_b32 s41, exec_lo, s41
; %bb.707:                              ;   in Loop: Header=BB12_57 Depth=2
	v_bfe_u32 v1, v0, 16, 1
	s_delay_alu instid0(VALU_DEP_1)
	v_add3_u32 v54, v0, v1, 0x7fff
                                        ; implicit-def: $vgpr0
; %bb.708:                              ;   in Loop: Header=BB12_57 Depth=2
	s_and_not1_saveexec_b32 s41, s41
; %bb.709:                              ;   in Loop: Header=BB12_57 Depth=2
	v_and_b32_e32 v1, 0xffff, v0
	v_or_b32_e32 v4, 0x10000, v0
	s_delay_alu instid0(VALU_DEP_2) | instskip(NEXT) | instid1(VALU_DEP_2)
	v_cmp_eq_u32_e32 vcc_lo, 0, v1
	v_cndmask_b32_e32 v54, v4, v0, vcc_lo
; %bb.710:                              ;   in Loop: Header=BB12_57 Depth=2
	s_or_b32 exec_lo, exec_lo, s41
	v_lshlrev_b32_e32 v0, 16, v71
	s_mov_b32 s41, exec_lo
                                        ; implicit-def: $vgpr55
	s_delay_alu instid0(VALU_DEP_1) | instskip(NEXT) | instid1(VALU_DEP_1)
	v_mul_f32_e32 v0, v33, v0
	v_and_b32_e32 v1, 0x7f800000, v0
	s_delay_alu instid0(VALU_DEP_1)
	v_cmpx_ne_u32_e32 0x7f800000, v1
	s_xor_b32 s41, exec_lo, s41
; %bb.711:                              ;   in Loop: Header=BB12_57 Depth=2
	v_bfe_u32 v1, v0, 16, 1
	s_delay_alu instid0(VALU_DEP_1)
	v_add3_u32 v55, v0, v1, 0x7fff
                                        ; implicit-def: $vgpr0
; %bb.712:                              ;   in Loop: Header=BB12_57 Depth=2
	s_and_not1_saveexec_b32 s41, s41
; %bb.713:                              ;   in Loop: Header=BB12_57 Depth=2
	v_and_b32_e32 v1, 0xffff, v0
	v_or_b32_e32 v4, 0x10000, v0
	s_delay_alu instid0(VALU_DEP_2) | instskip(NEXT) | instid1(VALU_DEP_2)
	v_cmp_eq_u32_e32 vcc_lo, 0, v1
	v_cndmask_b32_e32 v55, v4, v0, vcc_lo
; %bb.714:                              ;   in Loop: Header=BB12_57 Depth=2
	s_or_b32 exec_lo, exec_lo, s41
	v_and_b32_e32 v0, 0xffff0000, v71
	s_mov_b32 s41, exec_lo
                                        ; implicit-def: $vgpr64
	s_delay_alu instid0(VALU_DEP_1) | instskip(NEXT) | instid1(VALU_DEP_1)
	v_mul_f32_e32 v0, v33, v0
	v_and_b32_e32 v1, 0x7f800000, v0
	s_delay_alu instid0(VALU_DEP_1)
	v_cmpx_ne_u32_e32 0x7f800000, v1
	s_xor_b32 s41, exec_lo, s41
; %bb.715:                              ;   in Loop: Header=BB12_57 Depth=2
	v_bfe_u32 v1, v0, 16, 1
	s_delay_alu instid0(VALU_DEP_1)
	v_add3_u32 v64, v0, v1, 0x7fff
                                        ; implicit-def: $vgpr0
; %bb.716:                              ;   in Loop: Header=BB12_57 Depth=2
	s_and_not1_saveexec_b32 s41, s41
; %bb.717:                              ;   in Loop: Header=BB12_57 Depth=2
	v_and_b32_e32 v1, 0xffff, v0
	v_or_b32_e32 v4, 0x10000, v0
	s_delay_alu instid0(VALU_DEP_2) | instskip(NEXT) | instid1(VALU_DEP_2)
	v_cmp_eq_u32_e32 vcc_lo, 0, v1
	v_cndmask_b32_e32 v64, v4, v0, vcc_lo
; %bb.718:                              ;   in Loop: Header=BB12_57 Depth=2
	s_or_b32 exec_lo, exec_lo, s41
	v_lshlrev_b32_e32 v0, 16, v48
	s_mov_b32 s41, exec_lo
                                        ; implicit-def: $vgpr5
	s_delay_alu instid0(VALU_DEP_1) | instskip(NEXT) | instid1(VALU_DEP_1)
	v_mul_f32_e32 v0, v33, v0
	v_and_b32_e32 v1, 0x7f800000, v0
	s_delay_alu instid0(VALU_DEP_1)
	v_cmpx_ne_u32_e32 0x7f800000, v1
	s_xor_b32 s41, exec_lo, s41
; %bb.719:                              ;   in Loop: Header=BB12_57 Depth=2
	v_bfe_u32 v1, v0, 16, 1
	s_delay_alu instid0(VALU_DEP_1)
	v_add3_u32 v5, v0, v1, 0x7fff
                                        ; implicit-def: $vgpr0
; %bb.720:                              ;   in Loop: Header=BB12_57 Depth=2
	s_and_not1_saveexec_b32 s41, s41
; %bb.721:                              ;   in Loop: Header=BB12_57 Depth=2
	v_and_b32_e32 v1, 0xffff, v0
	v_or_b32_e32 v4, 0x10000, v0
	s_delay_alu instid0(VALU_DEP_2) | instskip(NEXT) | instid1(VALU_DEP_2)
	v_cmp_eq_u32_e32 vcc_lo, 0, v1
	v_cndmask_b32_e32 v5, v4, v0, vcc_lo
; %bb.722:                              ;   in Loop: Header=BB12_57 Depth=2
	s_or_b32 exec_lo, exec_lo, s41
	v_and_b32_e32 v0, 0xffff0000, v48
	s_mov_b32 s41, exec_lo
                                        ; implicit-def: $vgpr48
	s_delay_alu instid0(VALU_DEP_1) | instskip(NEXT) | instid1(VALU_DEP_1)
	v_mul_f32_e32 v0, v33, v0
	v_and_b32_e32 v1, 0x7f800000, v0
	s_delay_alu instid0(VALU_DEP_1)
	v_cmpx_ne_u32_e32 0x7f800000, v1
	s_xor_b32 s41, exec_lo, s41
; %bb.723:                              ;   in Loop: Header=BB12_57 Depth=2
	v_bfe_u32 v1, v0, 16, 1
	s_delay_alu instid0(VALU_DEP_1)
	v_add3_u32 v48, v0, v1, 0x7fff
                                        ; implicit-def: $vgpr0
; %bb.724:                              ;   in Loop: Header=BB12_57 Depth=2
	s_and_not1_saveexec_b32 s41, s41
; %bb.725:                              ;   in Loop: Header=BB12_57 Depth=2
	v_and_b32_e32 v1, 0xffff, v0
	v_or_b32_e32 v4, 0x10000, v0
	s_delay_alu instid0(VALU_DEP_2) | instskip(NEXT) | instid1(VALU_DEP_2)
	v_cmp_eq_u32_e32 vcc_lo, 0, v1
	v_cndmask_b32_e32 v48, v4, v0, vcc_lo
; %bb.726:                              ;   in Loop: Header=BB12_57 Depth=2
	s_or_b32 exec_lo, exec_lo, s41
	v_lshlrev_b32_e32 v0, 16, v49
	s_mov_b32 s41, exec_lo
                                        ; implicit-def: $vgpr65
	s_delay_alu instid0(VALU_DEP_1) | instskip(NEXT) | instid1(VALU_DEP_1)
	v_mul_f32_e32 v0, v33, v0
	v_and_b32_e32 v1, 0x7f800000, v0
	s_delay_alu instid0(VALU_DEP_1)
	v_cmpx_ne_u32_e32 0x7f800000, v1
	s_xor_b32 s41, exec_lo, s41
; %bb.727:                              ;   in Loop: Header=BB12_57 Depth=2
	v_bfe_u32 v1, v0, 16, 1
	s_delay_alu instid0(VALU_DEP_1)
	v_add3_u32 v65, v0, v1, 0x7fff
                                        ; implicit-def: $vgpr0
; %bb.728:                              ;   in Loop: Header=BB12_57 Depth=2
	s_and_not1_saveexec_b32 s41, s41
; %bb.729:                              ;   in Loop: Header=BB12_57 Depth=2
	v_and_b32_e32 v1, 0xffff, v0
	v_or_b32_e32 v4, 0x10000, v0
	s_delay_alu instid0(VALU_DEP_2) | instskip(NEXT) | instid1(VALU_DEP_2)
	v_cmp_eq_u32_e32 vcc_lo, 0, v1
	v_cndmask_b32_e32 v65, v4, v0, vcc_lo
; %bb.730:                              ;   in Loop: Header=BB12_57 Depth=2
	s_or_b32 exec_lo, exec_lo, s41
	v_and_b32_e32 v0, 0xffff0000, v49
	s_mov_b32 s41, exec_lo
                                        ; implicit-def: $vgpr49
	s_delay_alu instid0(VALU_DEP_1) | instskip(NEXT) | instid1(VALU_DEP_1)
	v_mul_f32_e32 v0, v33, v0
	v_and_b32_e32 v1, 0x7f800000, v0
	s_delay_alu instid0(VALU_DEP_1)
	v_cmpx_ne_u32_e32 0x7f800000, v1
	s_xor_b32 s41, exec_lo, s41
; %bb.731:                              ;   in Loop: Header=BB12_57 Depth=2
	v_bfe_u32 v1, v0, 16, 1
	s_delay_alu instid0(VALU_DEP_1)
	v_add3_u32 v49, v0, v1, 0x7fff
                                        ; implicit-def: $vgpr0
; %bb.732:                              ;   in Loop: Header=BB12_57 Depth=2
	s_and_not1_saveexec_b32 s41, s41
; %bb.733:                              ;   in Loop: Header=BB12_57 Depth=2
	v_and_b32_e32 v1, 0xffff, v0
	v_or_b32_e32 v4, 0x10000, v0
	s_delay_alu instid0(VALU_DEP_2) | instskip(NEXT) | instid1(VALU_DEP_2)
	v_cmp_eq_u32_e32 vcc_lo, 0, v1
	v_cndmask_b32_e32 v49, v4, v0, vcc_lo
; %bb.734:                              ;   in Loop: Header=BB12_57 Depth=2
	s_or_b32 exec_lo, exec_lo, s41
	v_lshlrev_b32_e32 v0, 16, v50
	s_mov_b32 s41, exec_lo
                                        ; implicit-def: $vgpr66
	s_delay_alu instid0(VALU_DEP_1) | instskip(NEXT) | instid1(VALU_DEP_1)
	v_mul_f32_e32 v0, v33, v0
	v_and_b32_e32 v1, 0x7f800000, v0
	s_delay_alu instid0(VALU_DEP_1)
	v_cmpx_ne_u32_e32 0x7f800000, v1
	s_xor_b32 s41, exec_lo, s41
; %bb.735:                              ;   in Loop: Header=BB12_57 Depth=2
	v_bfe_u32 v1, v0, 16, 1
	s_delay_alu instid0(VALU_DEP_1)
	v_add3_u32 v66, v0, v1, 0x7fff
                                        ; implicit-def: $vgpr0
; %bb.736:                              ;   in Loop: Header=BB12_57 Depth=2
	s_and_not1_saveexec_b32 s41, s41
; %bb.737:                              ;   in Loop: Header=BB12_57 Depth=2
	v_and_b32_e32 v1, 0xffff, v0
	v_or_b32_e32 v4, 0x10000, v0
	s_delay_alu instid0(VALU_DEP_2) | instskip(NEXT) | instid1(VALU_DEP_2)
	v_cmp_eq_u32_e32 vcc_lo, 0, v1
	v_cndmask_b32_e32 v66, v4, v0, vcc_lo
; %bb.738:                              ;   in Loop: Header=BB12_57 Depth=2
	s_or_b32 exec_lo, exec_lo, s41
	v_and_b32_e32 v0, 0xffff0000, v50
	s_mov_b32 s41, exec_lo
                                        ; implicit-def: $vgpr50
	s_delay_alu instid0(VALU_DEP_1) | instskip(NEXT) | instid1(VALU_DEP_1)
	v_mul_f32_e32 v0, v33, v0
	v_and_b32_e32 v1, 0x7f800000, v0
	s_delay_alu instid0(VALU_DEP_1)
	v_cmpx_ne_u32_e32 0x7f800000, v1
	s_xor_b32 s41, exec_lo, s41
; %bb.739:                              ;   in Loop: Header=BB12_57 Depth=2
	v_bfe_u32 v1, v0, 16, 1
	s_delay_alu instid0(VALU_DEP_1)
	v_add3_u32 v50, v0, v1, 0x7fff
                                        ; implicit-def: $vgpr0
; %bb.740:                              ;   in Loop: Header=BB12_57 Depth=2
	s_and_not1_saveexec_b32 s41, s41
; %bb.741:                              ;   in Loop: Header=BB12_57 Depth=2
	v_and_b32_e32 v1, 0xffff, v0
	v_or_b32_e32 v4, 0x10000, v0
	s_delay_alu instid0(VALU_DEP_2) | instskip(NEXT) | instid1(VALU_DEP_2)
	v_cmp_eq_u32_e32 vcc_lo, 0, v1
	v_cndmask_b32_e32 v50, v4, v0, vcc_lo
; %bb.742:                              ;   in Loop: Header=BB12_57 Depth=2
	s_or_b32 exec_lo, exec_lo, s41
	v_lshlrev_b32_e32 v0, 16, v51
	s_delay_alu instid0(VALU_DEP_1) | instskip(NEXT) | instid1(VALU_DEP_1)
	v_mul_f32_e32 v0, v33, v0
	v_and_b32_e32 v1, 0x7f800000, v0
	s_delay_alu instid0(VALU_DEP_1) | instskip(SKIP_1) | instid1(SALU_CYCLE_1)
	v_cmp_ne_u32_e32 vcc_lo, 0x7f800000, v1
                                        ; implicit-def: $vgpr1
	s_and_saveexec_b32 s41, vcc_lo
	s_xor_b32 s41, exec_lo, s41
; %bb.743:                              ;   in Loop: Header=BB12_57 Depth=2
	v_bfe_u32 v1, v0, 16, 1
	s_delay_alu instid0(VALU_DEP_1)
	v_add3_u32 v1, v0, v1, 0x7fff
                                        ; implicit-def: $vgpr0
; %bb.744:                              ;   in Loop: Header=BB12_57 Depth=2
	s_and_not1_saveexec_b32 s41, s41
; %bb.745:                              ;   in Loop: Header=BB12_57 Depth=2
	v_and_b32_e32 v1, 0xffff, v0
	v_or_b32_e32 v4, 0x10000, v0
	s_delay_alu instid0(VALU_DEP_2) | instskip(NEXT) | instid1(VALU_DEP_2)
	v_cmp_eq_u32_e32 vcc_lo, 0, v1
	v_cndmask_b32_e32 v1, v4, v0, vcc_lo
; %bb.746:                              ;   in Loop: Header=BB12_57 Depth=2
	s_or_b32 exec_lo, exec_lo, s41
	v_and_b32_e32 v0, 0xffff0000, v51
	s_mov_b32 s41, exec_lo
                                        ; implicit-def: $vgpr51
	s_delay_alu instid0(VALU_DEP_1) | instskip(NEXT) | instid1(VALU_DEP_1)
	v_mul_f32_e32 v0, v33, v0
	v_and_b32_e32 v4, 0x7f800000, v0
	s_delay_alu instid0(VALU_DEP_1)
	v_cmpx_ne_u32_e32 0x7f800000, v4
	s_xor_b32 s41, exec_lo, s41
; %bb.747:                              ;   in Loop: Header=BB12_57 Depth=2
	v_bfe_u32 v4, v0, 16, 1
	s_delay_alu instid0(VALU_DEP_1)
	v_add3_u32 v51, v0, v4, 0x7fff
                                        ; implicit-def: $vgpr0
; %bb.748:                              ;   in Loop: Header=BB12_57 Depth=2
	s_and_not1_saveexec_b32 s41, s41
; %bb.749:                              ;   in Loop: Header=BB12_57 Depth=2
	v_and_b32_e32 v4, 0xffff, v0
	v_or_b32_e32 v6, 0x10000, v0
	s_delay_alu instid0(VALU_DEP_2) | instskip(NEXT) | instid1(VALU_DEP_2)
	v_cmp_eq_u32_e32 vcc_lo, 0, v4
	v_cndmask_b32_e32 v51, v6, v0, vcc_lo
; %bb.750:                              ;   in Loop: Header=BB12_57 Depth=2
	s_or_b32 exec_lo, exec_lo, s41
	v_lshlrev_b32_e32 v0, 16, v24
	s_mov_b32 s41, exec_lo
                                        ; implicit-def: $vgpr67
	s_delay_alu instid0(VALU_DEP_1) | instskip(NEXT) | instid1(VALU_DEP_1)
	v_mul_f32_e32 v0, v33, v0
	v_and_b32_e32 v4, 0x7f800000, v0
	s_delay_alu instid0(VALU_DEP_1)
	v_cmpx_ne_u32_e32 0x7f800000, v4
	s_xor_b32 s41, exec_lo, s41
; %bb.751:                              ;   in Loop: Header=BB12_57 Depth=2
	v_bfe_u32 v4, v0, 16, 1
	s_delay_alu instid0(VALU_DEP_1)
	v_add3_u32 v67, v0, v4, 0x7fff
                                        ; implicit-def: $vgpr0
; %bb.752:                              ;   in Loop: Header=BB12_57 Depth=2
	s_and_not1_saveexec_b32 s41, s41
; %bb.753:                              ;   in Loop: Header=BB12_57 Depth=2
	v_and_b32_e32 v4, 0xffff, v0
	v_or_b32_e32 v6, 0x10000, v0
	s_delay_alu instid0(VALU_DEP_2) | instskip(NEXT) | instid1(VALU_DEP_2)
	v_cmp_eq_u32_e32 vcc_lo, 0, v4
	v_cndmask_b32_e32 v67, v6, v0, vcc_lo
; %bb.754:                              ;   in Loop: Header=BB12_57 Depth=2
	s_or_b32 exec_lo, exec_lo, s41
	v_and_b32_e32 v0, 0xffff0000, v24
	s_mov_b32 s41, exec_lo
                                        ; implicit-def: $vgpr24
	s_delay_alu instid0(VALU_DEP_1) | instskip(NEXT) | instid1(VALU_DEP_1)
	v_mul_f32_e32 v0, v33, v0
	v_and_b32_e32 v4, 0x7f800000, v0
	s_delay_alu instid0(VALU_DEP_1)
	v_cmpx_ne_u32_e32 0x7f800000, v4
	s_xor_b32 s41, exec_lo, s41
; %bb.755:                              ;   in Loop: Header=BB12_57 Depth=2
	v_bfe_u32 v4, v0, 16, 1
	s_delay_alu instid0(VALU_DEP_1)
	v_add3_u32 v24, v0, v4, 0x7fff
                                        ; implicit-def: $vgpr0
; %bb.756:                              ;   in Loop: Header=BB12_57 Depth=2
	s_and_not1_saveexec_b32 s41, s41
; %bb.757:                              ;   in Loop: Header=BB12_57 Depth=2
	v_and_b32_e32 v4, 0xffff, v0
	v_or_b32_e32 v6, 0x10000, v0
	s_delay_alu instid0(VALU_DEP_2) | instskip(NEXT) | instid1(VALU_DEP_2)
	v_cmp_eq_u32_e32 vcc_lo, 0, v4
	v_cndmask_b32_e32 v24, v6, v0, vcc_lo
; %bb.758:                              ;   in Loop: Header=BB12_57 Depth=2
	s_or_b32 exec_lo, exec_lo, s41
	v_lshlrev_b32_e32 v0, 16, v25
	s_mov_b32 s41, exec_lo
                                        ; implicit-def: $vgpr68
	s_delay_alu instid0(VALU_DEP_1) | instskip(NEXT) | instid1(VALU_DEP_1)
	v_mul_f32_e32 v0, v33, v0
	v_and_b32_e32 v4, 0x7f800000, v0
	s_delay_alu instid0(VALU_DEP_1)
	v_cmpx_ne_u32_e32 0x7f800000, v4
	s_xor_b32 s41, exec_lo, s41
; %bb.759:                              ;   in Loop: Header=BB12_57 Depth=2
	v_bfe_u32 v4, v0, 16, 1
	s_delay_alu instid0(VALU_DEP_1)
	v_add3_u32 v68, v0, v4, 0x7fff
                                        ; implicit-def: $vgpr0
; %bb.760:                              ;   in Loop: Header=BB12_57 Depth=2
	s_and_not1_saveexec_b32 s41, s41
; %bb.761:                              ;   in Loop: Header=BB12_57 Depth=2
	v_and_b32_e32 v4, 0xffff, v0
	v_or_b32_e32 v6, 0x10000, v0
	s_delay_alu instid0(VALU_DEP_2) | instskip(NEXT) | instid1(VALU_DEP_2)
	v_cmp_eq_u32_e32 vcc_lo, 0, v4
	v_cndmask_b32_e32 v68, v6, v0, vcc_lo
; %bb.762:                              ;   in Loop: Header=BB12_57 Depth=2
	s_or_b32 exec_lo, exec_lo, s41
	v_and_b32_e32 v0, 0xffff0000, v25
	s_mov_b32 s41, exec_lo
                                        ; implicit-def: $vgpr25
	s_delay_alu instid0(VALU_DEP_1) | instskip(NEXT) | instid1(VALU_DEP_1)
	v_mul_f32_e32 v0, v33, v0
	v_and_b32_e32 v4, 0x7f800000, v0
	s_delay_alu instid0(VALU_DEP_1)
	v_cmpx_ne_u32_e32 0x7f800000, v4
	s_xor_b32 s41, exec_lo, s41
; %bb.763:                              ;   in Loop: Header=BB12_57 Depth=2
	v_bfe_u32 v4, v0, 16, 1
	s_delay_alu instid0(VALU_DEP_1)
	v_add3_u32 v25, v0, v4, 0x7fff
                                        ; implicit-def: $vgpr0
; %bb.764:                              ;   in Loop: Header=BB12_57 Depth=2
	s_and_not1_saveexec_b32 s41, s41
; %bb.765:                              ;   in Loop: Header=BB12_57 Depth=2
	v_and_b32_e32 v4, 0xffff, v0
	v_or_b32_e32 v6, 0x10000, v0
	s_delay_alu instid0(VALU_DEP_2) | instskip(NEXT) | instid1(VALU_DEP_2)
	v_cmp_eq_u32_e32 vcc_lo, 0, v4
	v_cndmask_b32_e32 v25, v6, v0, vcc_lo
; %bb.766:                              ;   in Loop: Header=BB12_57 Depth=2
	s_or_b32 exec_lo, exec_lo, s41
	v_lshlrev_b32_e32 v0, 16, v26
	s_mov_b32 s41, exec_lo
                                        ; implicit-def: $vgpr69
	s_delay_alu instid0(VALU_DEP_1) | instskip(NEXT) | instid1(VALU_DEP_1)
	v_mul_f32_e32 v0, v33, v0
	v_and_b32_e32 v4, 0x7f800000, v0
	s_delay_alu instid0(VALU_DEP_1)
	v_cmpx_ne_u32_e32 0x7f800000, v4
	s_xor_b32 s41, exec_lo, s41
; %bb.767:                              ;   in Loop: Header=BB12_57 Depth=2
	v_bfe_u32 v4, v0, 16, 1
	s_delay_alu instid0(VALU_DEP_1)
	v_add3_u32 v69, v0, v4, 0x7fff
                                        ; implicit-def: $vgpr0
; %bb.768:                              ;   in Loop: Header=BB12_57 Depth=2
	s_and_not1_saveexec_b32 s41, s41
; %bb.769:                              ;   in Loop: Header=BB12_57 Depth=2
	v_and_b32_e32 v4, 0xffff, v0
	v_or_b32_e32 v6, 0x10000, v0
	s_delay_alu instid0(VALU_DEP_2) | instskip(NEXT) | instid1(VALU_DEP_2)
	v_cmp_eq_u32_e32 vcc_lo, 0, v4
	v_cndmask_b32_e32 v69, v6, v0, vcc_lo
; %bb.770:                              ;   in Loop: Header=BB12_57 Depth=2
	s_or_b32 exec_lo, exec_lo, s41
	v_and_b32_e32 v0, 0xffff0000, v26
	s_mov_b32 s41, exec_lo
                                        ; implicit-def: $vgpr26
	s_delay_alu instid0(VALU_DEP_1) | instskip(NEXT) | instid1(VALU_DEP_1)
	v_mul_f32_e32 v0, v33, v0
	v_and_b32_e32 v4, 0x7f800000, v0
	s_delay_alu instid0(VALU_DEP_1)
	v_cmpx_ne_u32_e32 0x7f800000, v4
	s_xor_b32 s41, exec_lo, s41
; %bb.771:                              ;   in Loop: Header=BB12_57 Depth=2
	v_bfe_u32 v4, v0, 16, 1
	s_delay_alu instid0(VALU_DEP_1)
	v_add3_u32 v26, v0, v4, 0x7fff
                                        ; implicit-def: $vgpr0
; %bb.772:                              ;   in Loop: Header=BB12_57 Depth=2
	s_and_not1_saveexec_b32 s41, s41
; %bb.773:                              ;   in Loop: Header=BB12_57 Depth=2
	v_and_b32_e32 v4, 0xffff, v0
	v_or_b32_e32 v6, 0x10000, v0
	s_delay_alu instid0(VALU_DEP_2) | instskip(NEXT) | instid1(VALU_DEP_2)
	v_cmp_eq_u32_e32 vcc_lo, 0, v4
	v_cndmask_b32_e32 v26, v6, v0, vcc_lo
; %bb.774:                              ;   in Loop: Header=BB12_57 Depth=2
	s_or_b32 exec_lo, exec_lo, s41
	v_lshlrev_b32_e32 v0, 16, v27
	s_mov_b32 s41, exec_lo
                                        ; implicit-def: $vgpr70
	s_delay_alu instid0(VALU_DEP_1) | instskip(NEXT) | instid1(VALU_DEP_1)
	v_mul_f32_e32 v0, v33, v0
	v_and_b32_e32 v4, 0x7f800000, v0
	s_delay_alu instid0(VALU_DEP_1)
	v_cmpx_ne_u32_e32 0x7f800000, v4
	s_xor_b32 s41, exec_lo, s41
; %bb.775:                              ;   in Loop: Header=BB12_57 Depth=2
	v_bfe_u32 v4, v0, 16, 1
	s_delay_alu instid0(VALU_DEP_1)
	v_add3_u32 v70, v0, v4, 0x7fff
                                        ; implicit-def: $vgpr0
; %bb.776:                              ;   in Loop: Header=BB12_57 Depth=2
	s_and_not1_saveexec_b32 s41, s41
; %bb.777:                              ;   in Loop: Header=BB12_57 Depth=2
	v_and_b32_e32 v4, 0xffff, v0
	v_or_b32_e32 v6, 0x10000, v0
	s_delay_alu instid0(VALU_DEP_2) | instskip(NEXT) | instid1(VALU_DEP_2)
	v_cmp_eq_u32_e32 vcc_lo, 0, v4
	v_cndmask_b32_e32 v70, v6, v0, vcc_lo
; %bb.778:                              ;   in Loop: Header=BB12_57 Depth=2
	s_or_b32 exec_lo, exec_lo, s41
	v_and_b32_e32 v0, 0xffff0000, v27
	s_mov_b32 s41, exec_lo
                                        ; implicit-def: $vgpr27
	s_delay_alu instid0(VALU_DEP_1) | instskip(NEXT) | instid1(VALU_DEP_1)
	v_mul_f32_e32 v0, v33, v0
	v_and_b32_e32 v4, 0x7f800000, v0
	s_delay_alu instid0(VALU_DEP_1)
	v_cmpx_ne_u32_e32 0x7f800000, v4
	s_xor_b32 s41, exec_lo, s41
; %bb.779:                              ;   in Loop: Header=BB12_57 Depth=2
	v_bfe_u32 v4, v0, 16, 1
	s_delay_alu instid0(VALU_DEP_1)
	v_add3_u32 v27, v0, v4, 0x7fff
                                        ; implicit-def: $vgpr0
; %bb.780:                              ;   in Loop: Header=BB12_57 Depth=2
	s_and_not1_saveexec_b32 s41, s41
; %bb.781:                              ;   in Loop: Header=BB12_57 Depth=2
	v_and_b32_e32 v4, 0xffff, v0
	v_or_b32_e32 v6, 0x10000, v0
	s_delay_alu instid0(VALU_DEP_2) | instskip(NEXT) | instid1(VALU_DEP_2)
	v_cmp_eq_u32_e32 vcc_lo, 0, v4
	v_cndmask_b32_e32 v27, v6, v0, vcc_lo
; %bb.782:                              ;   in Loop: Header=BB12_57 Depth=2
	s_or_b32 exec_lo, exec_lo, s41
	v_lshlrev_b32_e32 v0, 16, v20
	s_mov_b32 s41, exec_lo
                                        ; implicit-def: $vgpr71
	s_delay_alu instid0(VALU_DEP_1) | instskip(NEXT) | instid1(VALU_DEP_1)
	v_mul_f32_e32 v0, v33, v0
	v_and_b32_e32 v4, 0x7f800000, v0
	s_delay_alu instid0(VALU_DEP_1)
	v_cmpx_ne_u32_e32 0x7f800000, v4
	s_xor_b32 s41, exec_lo, s41
; %bb.783:                              ;   in Loop: Header=BB12_57 Depth=2
	v_bfe_u32 v4, v0, 16, 1
	s_delay_alu instid0(VALU_DEP_1)
	v_add3_u32 v71, v0, v4, 0x7fff
                                        ; implicit-def: $vgpr0
; %bb.784:                              ;   in Loop: Header=BB12_57 Depth=2
	s_and_not1_saveexec_b32 s41, s41
; %bb.785:                              ;   in Loop: Header=BB12_57 Depth=2
	v_and_b32_e32 v4, 0xffff, v0
	v_or_b32_e32 v6, 0x10000, v0
	s_delay_alu instid0(VALU_DEP_2) | instskip(NEXT) | instid1(VALU_DEP_2)
	v_cmp_eq_u32_e32 vcc_lo, 0, v4
	v_cndmask_b32_e32 v71, v6, v0, vcc_lo
; %bb.786:                              ;   in Loop: Header=BB12_57 Depth=2
	s_or_b32 exec_lo, exec_lo, s41
	v_and_b32_e32 v0, 0xffff0000, v20
	s_delay_alu instid0(VALU_DEP_1) | instskip(NEXT) | instid1(VALU_DEP_1)
	v_mul_f32_e32 v4, v33, v0
	v_and_b32_e32 v0, 0x7f800000, v4
	s_delay_alu instid0(VALU_DEP_1) | instskip(SKIP_1) | instid1(SALU_CYCLE_1)
	v_cmp_ne_u32_e32 vcc_lo, 0x7f800000, v0
                                        ; implicit-def: $vgpr0
	s_and_saveexec_b32 s41, vcc_lo
	s_xor_b32 s41, exec_lo, s41
; %bb.787:                              ;   in Loop: Header=BB12_57 Depth=2
	v_bfe_u32 v0, v4, 16, 1
	s_delay_alu instid0(VALU_DEP_1)
	v_add3_u32 v0, v4, v0, 0x7fff
                                        ; implicit-def: $vgpr4
; %bb.788:                              ;   in Loop: Header=BB12_57 Depth=2
	s_and_not1_saveexec_b32 s41, s41
; %bb.789:                              ;   in Loop: Header=BB12_57 Depth=2
	v_and_b32_e32 v0, 0xffff, v4
	v_or_b32_e32 v6, 0x10000, v4
	s_delay_alu instid0(VALU_DEP_2) | instskip(NEXT) | instid1(VALU_DEP_2)
	v_cmp_eq_u32_e32 vcc_lo, 0, v0
	v_cndmask_b32_e32 v0, v6, v4, vcc_lo
; %bb.790:                              ;   in Loop: Header=BB12_57 Depth=2
	s_or_b32 exec_lo, exec_lo, s41
	v_lshlrev_b32_e32 v4, 16, v21
	s_delay_alu instid0(VALU_DEP_1) | instskip(NEXT) | instid1(VALU_DEP_1)
	v_mul_f32_e32 v4, v33, v4
	v_and_b32_e32 v6, 0x7f800000, v4
	s_delay_alu instid0(VALU_DEP_1) | instskip(SKIP_1) | instid1(SALU_CYCLE_1)
	v_cmp_ne_u32_e32 vcc_lo, 0x7f800000, v6
                                        ; implicit-def: $vgpr6
	s_and_saveexec_b32 s41, vcc_lo
	s_xor_b32 s41, exec_lo, s41
; %bb.791:                              ;   in Loop: Header=BB12_57 Depth=2
	v_bfe_u32 v6, v4, 16, 1
	s_delay_alu instid0(VALU_DEP_1)
	v_add3_u32 v6, v4, v6, 0x7fff
                                        ; implicit-def: $vgpr4
; %bb.792:                              ;   in Loop: Header=BB12_57 Depth=2
	s_and_not1_saveexec_b32 s41, s41
; %bb.793:                              ;   in Loop: Header=BB12_57 Depth=2
	v_and_b32_e32 v6, 0xffff, v4
	v_or_b32_e32 v7, 0x10000, v4
	s_delay_alu instid0(VALU_DEP_2) | instskip(NEXT) | instid1(VALU_DEP_2)
	v_cmp_eq_u32_e32 vcc_lo, 0, v6
	v_cndmask_b32_e32 v6, v7, v4, vcc_lo
; %bb.794:                              ;   in Loop: Header=BB12_57 Depth=2
	s_or_b32 exec_lo, exec_lo, s41
	v_and_b32_e32 v4, 0xffff0000, v21
	s_delay_alu instid0(VALU_DEP_1) | instskip(NEXT) | instid1(VALU_DEP_1)
	v_mul_f32_e32 v4, v33, v4
	v_and_b32_e32 v7, 0x7f800000, v4
	s_delay_alu instid0(VALU_DEP_1) | instskip(SKIP_1) | instid1(SALU_CYCLE_1)
	v_cmp_ne_u32_e32 vcc_lo, 0x7f800000, v7
                                        ; implicit-def: $vgpr7
	s_and_saveexec_b32 s41, vcc_lo
	s_xor_b32 s41, exec_lo, s41
; %bb.795:                              ;   in Loop: Header=BB12_57 Depth=2
	v_bfe_u32 v7, v4, 16, 1
	s_delay_alu instid0(VALU_DEP_1)
	v_add3_u32 v7, v4, v7, 0x7fff
                                        ; implicit-def: $vgpr4
; %bb.796:                              ;   in Loop: Header=BB12_57 Depth=2
	s_and_not1_saveexec_b32 s41, s41
; %bb.797:                              ;   in Loop: Header=BB12_57 Depth=2
	v_and_b32_e32 v7, 0xffff, v4
	v_or_b32_e32 v20, 0x10000, v4
	s_delay_alu instid0(VALU_DEP_2) | instskip(NEXT) | instid1(VALU_DEP_2)
	v_cmp_eq_u32_e32 vcc_lo, 0, v7
	v_cndmask_b32_e32 v7, v20, v4, vcc_lo
; %bb.798:                              ;   in Loop: Header=BB12_57 Depth=2
	s_or_b32 exec_lo, exec_lo, s41
	v_lshlrev_b32_e32 v4, 16, v22
	s_delay_alu instid0(VALU_DEP_1) | instskip(NEXT) | instid1(VALU_DEP_1)
	v_mul_f32_e32 v4, v33, v4
	v_and_b32_e32 v20, 0x7f800000, v4
	s_delay_alu instid0(VALU_DEP_1) | instskip(SKIP_1) | instid1(SALU_CYCLE_1)
	v_cmp_ne_u32_e32 vcc_lo, 0x7f800000, v20
                                        ; implicit-def: $vgpr20
	s_and_saveexec_b32 s41, vcc_lo
	s_xor_b32 s41, exec_lo, s41
; %bb.799:                              ;   in Loop: Header=BB12_57 Depth=2
	v_bfe_u32 v20, v4, 16, 1
	s_delay_alu instid0(VALU_DEP_1)
	v_add3_u32 v20, v4, v20, 0x7fff
                                        ; implicit-def: $vgpr4
; %bb.800:                              ;   in Loop: Header=BB12_57 Depth=2
	s_and_not1_saveexec_b32 s41, s41
; %bb.801:                              ;   in Loop: Header=BB12_57 Depth=2
	v_and_b32_e32 v20, 0xffff, v4
	v_or_b32_e32 v21, 0x10000, v4
	s_delay_alu instid0(VALU_DEP_2) | instskip(NEXT) | instid1(VALU_DEP_2)
	v_cmp_eq_u32_e32 vcc_lo, 0, v20
	v_cndmask_b32_e32 v20, v21, v4, vcc_lo
; %bb.802:                              ;   in Loop: Header=BB12_57 Depth=2
	s_or_b32 exec_lo, exec_lo, s41
	v_and_b32_e32 v4, 0xffff0000, v22
	s_delay_alu instid0(VALU_DEP_1) | instskip(NEXT) | instid1(VALU_DEP_1)
	v_mul_f32_e32 v4, v33, v4
	v_and_b32_e32 v21, 0x7f800000, v4
	s_delay_alu instid0(VALU_DEP_1) | instskip(SKIP_1) | instid1(SALU_CYCLE_1)
	v_cmp_ne_u32_e32 vcc_lo, 0x7f800000, v21
                                        ; implicit-def: $vgpr21
	s_and_saveexec_b32 s41, vcc_lo
	s_xor_b32 s41, exec_lo, s41
; %bb.803:                              ;   in Loop: Header=BB12_57 Depth=2
	v_bfe_u32 v21, v4, 16, 1
	s_delay_alu instid0(VALU_DEP_1)
	v_add3_u32 v21, v4, v21, 0x7fff
                                        ; implicit-def: $vgpr4
; %bb.804:                              ;   in Loop: Header=BB12_57 Depth=2
	s_and_not1_saveexec_b32 s41, s41
; %bb.805:                              ;   in Loop: Header=BB12_57 Depth=2
	v_and_b32_e32 v21, 0xffff, v4
	v_or_b32_e32 v22, 0x10000, v4
	s_delay_alu instid0(VALU_DEP_2) | instskip(NEXT) | instid1(VALU_DEP_2)
	v_cmp_eq_u32_e32 vcc_lo, 0, v21
	v_cndmask_b32_e32 v21, v22, v4, vcc_lo
; %bb.806:                              ;   in Loop: Header=BB12_57 Depth=2
	s_or_b32 exec_lo, exec_lo, s41
	v_lshlrev_b32_e32 v4, 16, v23
	s_delay_alu instid0(VALU_DEP_1) | instskip(NEXT) | instid1(VALU_DEP_1)
	v_mul_f32_e32 v4, v33, v4
	v_and_b32_e32 v22, 0x7f800000, v4
	s_delay_alu instid0(VALU_DEP_1) | instskip(SKIP_1) | instid1(SALU_CYCLE_1)
	v_cmp_ne_u32_e32 vcc_lo, 0x7f800000, v22
                                        ; implicit-def: $vgpr22
	s_and_saveexec_b32 s41, vcc_lo
	s_xor_b32 s41, exec_lo, s41
; %bb.807:                              ;   in Loop: Header=BB12_57 Depth=2
	v_bfe_u32 v22, v4, 16, 1
	s_delay_alu instid0(VALU_DEP_1)
	v_add3_u32 v22, v4, v22, 0x7fff
                                        ; implicit-def: $vgpr4
; %bb.808:                              ;   in Loop: Header=BB12_57 Depth=2
	s_and_not1_saveexec_b32 s41, s41
; %bb.809:                              ;   in Loop: Header=BB12_57 Depth=2
	v_and_b32_e32 v22, 0xffff, v4
	v_or_b32_e32 v28, 0x10000, v4
	s_delay_alu instid0(VALU_DEP_2) | instskip(NEXT) | instid1(VALU_DEP_2)
	v_cmp_eq_u32_e32 vcc_lo, 0, v22
	v_cndmask_b32_e32 v22, v28, v4, vcc_lo
; %bb.810:                              ;   in Loop: Header=BB12_57 Depth=2
	s_or_b32 exec_lo, exec_lo, s41
	v_and_b32_e32 v4, 0xffff0000, v23
	s_delay_alu instid0(VALU_DEP_1) | instskip(NEXT) | instid1(VALU_DEP_1)
	v_mul_f32_e32 v4, v33, v4
	v_and_b32_e32 v23, 0x7f800000, v4
	s_delay_alu instid0(VALU_DEP_1) | instskip(SKIP_1) | instid1(SALU_CYCLE_1)
	v_cmp_ne_u32_e32 vcc_lo, 0x7f800000, v23
                                        ; implicit-def: $vgpr23
	s_and_saveexec_b32 s41, vcc_lo
	s_xor_b32 s41, exec_lo, s41
; %bb.811:                              ;   in Loop: Header=BB12_57 Depth=2
	v_bfe_u32 v23, v4, 16, 1
	s_delay_alu instid0(VALU_DEP_1)
	v_add3_u32 v23, v4, v23, 0x7fff
                                        ; implicit-def: $vgpr4
; %bb.812:                              ;   in Loop: Header=BB12_57 Depth=2
	s_and_not1_saveexec_b32 s41, s41
; %bb.813:                              ;   in Loop: Header=BB12_57 Depth=2
	v_and_b32_e32 v23, 0xffff, v4
	v_or_b32_e32 v28, 0x10000, v4
	s_delay_alu instid0(VALU_DEP_2) | instskip(NEXT) | instid1(VALU_DEP_2)
	v_cmp_eq_u32_e32 vcc_lo, 0, v23
	v_cndmask_b32_e32 v23, v28, v4, vcc_lo
; %bb.814:                              ;   in Loop: Header=BB12_57 Depth=2
	s_or_b32 exec_lo, exec_lo, s41
	v_lshlrev_b32_e32 v4, 16, v16
	s_mov_b32 s41, exec_lo
                                        ; implicit-def: $vgpr80
	s_delay_alu instid0(VALU_DEP_1) | instskip(NEXT) | instid1(VALU_DEP_1)
	v_mul_f32_e32 v4, v33, v4
	v_and_b32_e32 v28, 0x7f800000, v4
	s_delay_alu instid0(VALU_DEP_1)
	v_cmpx_ne_u32_e32 0x7f800000, v28
	s_xor_b32 s41, exec_lo, s41
; %bb.815:                              ;   in Loop: Header=BB12_57 Depth=2
	v_bfe_u32 v28, v4, 16, 1
	s_delay_alu instid0(VALU_DEP_1)
	v_add3_u32 v80, v4, v28, 0x7fff
                                        ; implicit-def: $vgpr4
; %bb.816:                              ;   in Loop: Header=BB12_57 Depth=2
	s_and_not1_saveexec_b32 s41, s41
; %bb.817:                              ;   in Loop: Header=BB12_57 Depth=2
	v_and_b32_e32 v28, 0xffff, v4
	v_or_b32_e32 v80, 0x10000, v4
	s_delay_alu instid0(VALU_DEP_2) | instskip(NEXT) | instid1(VALU_DEP_2)
	v_cmp_eq_u32_e32 vcc_lo, 0, v28
	v_cndmask_b32_e32 v80, v80, v4, vcc_lo
; %bb.818:                              ;   in Loop: Header=BB12_57 Depth=2
	s_or_b32 exec_lo, exec_lo, s41
	v_and_b32_e32 v4, 0xffff0000, v16
	s_delay_alu instid0(VALU_DEP_1) | instskip(NEXT) | instid1(VALU_DEP_1)
	v_mul_f32_e32 v4, v33, v4
	v_and_b32_e32 v16, 0x7f800000, v4
	s_delay_alu instid0(VALU_DEP_1) | instskip(SKIP_1) | instid1(SALU_CYCLE_1)
	v_cmp_ne_u32_e32 vcc_lo, 0x7f800000, v16
                                        ; implicit-def: $vgpr16
	s_and_saveexec_b32 s41, vcc_lo
	s_xor_b32 s41, exec_lo, s41
; %bb.819:                              ;   in Loop: Header=BB12_57 Depth=2
	v_bfe_u32 v16, v4, 16, 1
	s_delay_alu instid0(VALU_DEP_1)
	v_add3_u32 v16, v4, v16, 0x7fff
                                        ; implicit-def: $vgpr4
; %bb.820:                              ;   in Loop: Header=BB12_57 Depth=2
	s_and_not1_saveexec_b32 s41, s41
; %bb.821:                              ;   in Loop: Header=BB12_57 Depth=2
	v_and_b32_e32 v16, 0xffff, v4
	v_or_b32_e32 v28, 0x10000, v4
	s_delay_alu instid0(VALU_DEP_2) | instskip(NEXT) | instid1(VALU_DEP_2)
	v_cmp_eq_u32_e32 vcc_lo, 0, v16
	v_cndmask_b32_e32 v16, v28, v4, vcc_lo
; %bb.822:                              ;   in Loop: Header=BB12_57 Depth=2
	s_or_b32 exec_lo, exec_lo, s41
	v_lshlrev_b32_e32 v4, 16, v17
	s_mov_b32 s41, exec_lo
                                        ; implicit-def: $vgpr81
	s_delay_alu instid0(VALU_DEP_1) | instskip(NEXT) | instid1(VALU_DEP_1)
	v_mul_f32_e32 v4, v33, v4
	v_and_b32_e32 v28, 0x7f800000, v4
	s_delay_alu instid0(VALU_DEP_1)
	v_cmpx_ne_u32_e32 0x7f800000, v28
	s_xor_b32 s41, exec_lo, s41
; %bb.823:                              ;   in Loop: Header=BB12_57 Depth=2
	v_bfe_u32 v28, v4, 16, 1
	s_delay_alu instid0(VALU_DEP_1)
	v_add3_u32 v81, v4, v28, 0x7fff
                                        ; implicit-def: $vgpr4
; %bb.824:                              ;   in Loop: Header=BB12_57 Depth=2
	s_and_not1_saveexec_b32 s41, s41
; %bb.825:                              ;   in Loop: Header=BB12_57 Depth=2
	v_and_b32_e32 v28, 0xffff, v4
	v_or_b32_e32 v81, 0x10000, v4
	s_delay_alu instid0(VALU_DEP_2) | instskip(NEXT) | instid1(VALU_DEP_2)
	v_cmp_eq_u32_e32 vcc_lo, 0, v28
	v_cndmask_b32_e32 v81, v81, v4, vcc_lo
; %bb.826:                              ;   in Loop: Header=BB12_57 Depth=2
	s_or_b32 exec_lo, exec_lo, s41
	v_and_b32_e32 v4, 0xffff0000, v17
	s_delay_alu instid0(VALU_DEP_1) | instskip(NEXT) | instid1(VALU_DEP_1)
	v_mul_f32_e32 v4, v33, v4
	v_and_b32_e32 v17, 0x7f800000, v4
	s_delay_alu instid0(VALU_DEP_1) | instskip(SKIP_1) | instid1(SALU_CYCLE_1)
	v_cmp_ne_u32_e32 vcc_lo, 0x7f800000, v17
                                        ; implicit-def: $vgpr17
	s_and_saveexec_b32 s41, vcc_lo
	s_xor_b32 s41, exec_lo, s41
; %bb.827:                              ;   in Loop: Header=BB12_57 Depth=2
	v_bfe_u32 v17, v4, 16, 1
	s_delay_alu instid0(VALU_DEP_1)
	v_add3_u32 v17, v4, v17, 0x7fff
                                        ; implicit-def: $vgpr4
; %bb.828:                              ;   in Loop: Header=BB12_57 Depth=2
	s_and_not1_saveexec_b32 s41, s41
; %bb.829:                              ;   in Loop: Header=BB12_57 Depth=2
	v_and_b32_e32 v17, 0xffff, v4
	v_or_b32_e32 v28, 0x10000, v4
	s_delay_alu instid0(VALU_DEP_2) | instskip(NEXT) | instid1(VALU_DEP_2)
	v_cmp_eq_u32_e32 vcc_lo, 0, v17
	v_cndmask_b32_e32 v17, v28, v4, vcc_lo
; %bb.830:                              ;   in Loop: Header=BB12_57 Depth=2
	s_or_b32 exec_lo, exec_lo, s41
	v_lshlrev_b32_e32 v4, 16, v18
	s_mov_b32 s41, exec_lo
                                        ; implicit-def: $vgpr82
	s_delay_alu instid0(VALU_DEP_1) | instskip(NEXT) | instid1(VALU_DEP_1)
	v_mul_f32_e32 v4, v33, v4
	v_and_b32_e32 v28, 0x7f800000, v4
	s_delay_alu instid0(VALU_DEP_1)
	v_cmpx_ne_u32_e32 0x7f800000, v28
	s_xor_b32 s41, exec_lo, s41
; %bb.831:                              ;   in Loop: Header=BB12_57 Depth=2
	v_bfe_u32 v28, v4, 16, 1
	s_delay_alu instid0(VALU_DEP_1)
	v_add3_u32 v82, v4, v28, 0x7fff
                                        ; implicit-def: $vgpr4
; %bb.832:                              ;   in Loop: Header=BB12_57 Depth=2
	s_and_not1_saveexec_b32 s41, s41
; %bb.833:                              ;   in Loop: Header=BB12_57 Depth=2
	v_and_b32_e32 v28, 0xffff, v4
	v_or_b32_e32 v82, 0x10000, v4
	s_delay_alu instid0(VALU_DEP_2) | instskip(NEXT) | instid1(VALU_DEP_2)
	v_cmp_eq_u32_e32 vcc_lo, 0, v28
	v_cndmask_b32_e32 v82, v82, v4, vcc_lo
; %bb.834:                              ;   in Loop: Header=BB12_57 Depth=2
	s_or_b32 exec_lo, exec_lo, s41
	v_and_b32_e32 v4, 0xffff0000, v18
	s_delay_alu instid0(VALU_DEP_1) | instskip(NEXT) | instid1(VALU_DEP_1)
	v_mul_f32_e32 v4, v33, v4
	v_and_b32_e32 v18, 0x7f800000, v4
	s_delay_alu instid0(VALU_DEP_1) | instskip(SKIP_1) | instid1(SALU_CYCLE_1)
	v_cmp_ne_u32_e32 vcc_lo, 0x7f800000, v18
                                        ; implicit-def: $vgpr18
	s_and_saveexec_b32 s41, vcc_lo
	s_xor_b32 s41, exec_lo, s41
; %bb.835:                              ;   in Loop: Header=BB12_57 Depth=2
	v_bfe_u32 v18, v4, 16, 1
	s_delay_alu instid0(VALU_DEP_1)
	v_add3_u32 v18, v4, v18, 0x7fff
                                        ; implicit-def: $vgpr4
; %bb.836:                              ;   in Loop: Header=BB12_57 Depth=2
	s_and_not1_saveexec_b32 s41, s41
; %bb.837:                              ;   in Loop: Header=BB12_57 Depth=2
	v_and_b32_e32 v18, 0xffff, v4
	v_or_b32_e32 v28, 0x10000, v4
	s_delay_alu instid0(VALU_DEP_2) | instskip(NEXT) | instid1(VALU_DEP_2)
	v_cmp_eq_u32_e32 vcc_lo, 0, v18
	v_cndmask_b32_e32 v18, v28, v4, vcc_lo
; %bb.838:                              ;   in Loop: Header=BB12_57 Depth=2
	s_or_b32 exec_lo, exec_lo, s41
	v_lshlrev_b32_e32 v4, 16, v19
	s_mov_b32 s41, exec_lo
                                        ; implicit-def: $vgpr83
	s_delay_alu instid0(VALU_DEP_1) | instskip(NEXT) | instid1(VALU_DEP_1)
	v_mul_f32_e32 v4, v33, v4
	v_and_b32_e32 v28, 0x7f800000, v4
	s_delay_alu instid0(VALU_DEP_1)
	v_cmpx_ne_u32_e32 0x7f800000, v28
	s_xor_b32 s41, exec_lo, s41
; %bb.839:                              ;   in Loop: Header=BB12_57 Depth=2
	v_bfe_u32 v28, v4, 16, 1
	s_delay_alu instid0(VALU_DEP_1)
	v_add3_u32 v83, v4, v28, 0x7fff
                                        ; implicit-def: $vgpr4
; %bb.840:                              ;   in Loop: Header=BB12_57 Depth=2
	s_and_not1_saveexec_b32 s41, s41
; %bb.841:                              ;   in Loop: Header=BB12_57 Depth=2
	v_and_b32_e32 v28, 0xffff, v4
	v_or_b32_e32 v83, 0x10000, v4
	s_delay_alu instid0(VALU_DEP_2) | instskip(NEXT) | instid1(VALU_DEP_2)
	v_cmp_eq_u32_e32 vcc_lo, 0, v28
	v_cndmask_b32_e32 v83, v83, v4, vcc_lo
; %bb.842:                              ;   in Loop: Header=BB12_57 Depth=2
	s_or_b32 exec_lo, exec_lo, s41
	v_and_b32_e32 v4, 0xffff0000, v19
	s_delay_alu instid0(VALU_DEP_1) | instskip(NEXT) | instid1(VALU_DEP_1)
	v_mul_f32_e32 v4, v33, v4
	v_and_b32_e32 v19, 0x7f800000, v4
	s_delay_alu instid0(VALU_DEP_1) | instskip(SKIP_1) | instid1(SALU_CYCLE_1)
	v_cmp_ne_u32_e32 vcc_lo, 0x7f800000, v19
                                        ; implicit-def: $vgpr19
	s_and_saveexec_b32 s41, vcc_lo
	s_xor_b32 s41, exec_lo, s41
; %bb.843:                              ;   in Loop: Header=BB12_57 Depth=2
	v_bfe_u32 v19, v4, 16, 1
	s_delay_alu instid0(VALU_DEP_1)
	v_add3_u32 v19, v4, v19, 0x7fff
                                        ; implicit-def: $vgpr4
; %bb.844:                              ;   in Loop: Header=BB12_57 Depth=2
	s_and_not1_saveexec_b32 s41, s41
; %bb.845:                              ;   in Loop: Header=BB12_57 Depth=2
	v_and_b32_e32 v19, 0xffff, v4
	v_or_b32_e32 v28, 0x10000, v4
	s_delay_alu instid0(VALU_DEP_2) | instskip(NEXT) | instid1(VALU_DEP_2)
	v_cmp_eq_u32_e32 vcc_lo, 0, v19
	v_cndmask_b32_e32 v19, v28, v4, vcc_lo
; %bb.846:                              ;   in Loop: Header=BB12_57 Depth=2
	s_or_b32 exec_lo, exec_lo, s41
	v_lshlrev_b32_e32 v4, 16, v12
	s_mov_b32 s41, exec_lo
                                        ; implicit-def: $vgpr84
	s_delay_alu instid0(VALU_DEP_1) | instskip(NEXT) | instid1(VALU_DEP_1)
	v_mul_f32_e32 v4, v33, v4
	v_and_b32_e32 v28, 0x7f800000, v4
	s_delay_alu instid0(VALU_DEP_1)
	v_cmpx_ne_u32_e32 0x7f800000, v28
	s_xor_b32 s41, exec_lo, s41
; %bb.847:                              ;   in Loop: Header=BB12_57 Depth=2
	v_bfe_u32 v28, v4, 16, 1
	s_delay_alu instid0(VALU_DEP_1)
	v_add3_u32 v84, v4, v28, 0x7fff
                                        ; implicit-def: $vgpr4
; %bb.848:                              ;   in Loop: Header=BB12_57 Depth=2
	s_and_not1_saveexec_b32 s41, s41
; %bb.849:                              ;   in Loop: Header=BB12_57 Depth=2
	v_and_b32_e32 v28, 0xffff, v4
	v_or_b32_e32 v84, 0x10000, v4
	s_delay_alu instid0(VALU_DEP_2) | instskip(NEXT) | instid1(VALU_DEP_2)
	v_cmp_eq_u32_e32 vcc_lo, 0, v28
	v_cndmask_b32_e32 v84, v84, v4, vcc_lo
; %bb.850:                              ;   in Loop: Header=BB12_57 Depth=2
	s_or_b32 exec_lo, exec_lo, s41
	v_and_b32_e32 v4, 0xffff0000, v12
	s_delay_alu instid0(VALU_DEP_1) | instskip(NEXT) | instid1(VALU_DEP_1)
	v_mul_f32_e32 v4, v33, v4
	v_and_b32_e32 v12, 0x7f800000, v4
	s_delay_alu instid0(VALU_DEP_1) | instskip(SKIP_1) | instid1(SALU_CYCLE_1)
	v_cmp_ne_u32_e32 vcc_lo, 0x7f800000, v12
                                        ; implicit-def: $vgpr12
	s_and_saveexec_b32 s41, vcc_lo
	s_xor_b32 s41, exec_lo, s41
; %bb.851:                              ;   in Loop: Header=BB12_57 Depth=2
	v_bfe_u32 v12, v4, 16, 1
	s_delay_alu instid0(VALU_DEP_1)
	v_add3_u32 v12, v4, v12, 0x7fff
                                        ; implicit-def: $vgpr4
; %bb.852:                              ;   in Loop: Header=BB12_57 Depth=2
	s_and_not1_saveexec_b32 s41, s41
; %bb.853:                              ;   in Loop: Header=BB12_57 Depth=2
	v_and_b32_e32 v12, 0xffff, v4
	v_or_b32_e32 v28, 0x10000, v4
	s_delay_alu instid0(VALU_DEP_2) | instskip(NEXT) | instid1(VALU_DEP_2)
	v_cmp_eq_u32_e32 vcc_lo, 0, v12
	v_cndmask_b32_e32 v12, v28, v4, vcc_lo
; %bb.854:                              ;   in Loop: Header=BB12_57 Depth=2
	s_or_b32 exec_lo, exec_lo, s41
	v_lshlrev_b32_e32 v4, 16, v13
	s_mov_b32 s41, exec_lo
                                        ; implicit-def: $vgpr85
	s_delay_alu instid0(VALU_DEP_1) | instskip(NEXT) | instid1(VALU_DEP_1)
	v_mul_f32_e32 v4, v33, v4
	v_and_b32_e32 v28, 0x7f800000, v4
	s_delay_alu instid0(VALU_DEP_1)
	v_cmpx_ne_u32_e32 0x7f800000, v28
	s_xor_b32 s41, exec_lo, s41
; %bb.855:                              ;   in Loop: Header=BB12_57 Depth=2
	v_bfe_u32 v28, v4, 16, 1
	s_delay_alu instid0(VALU_DEP_1)
	v_add3_u32 v85, v4, v28, 0x7fff
                                        ; implicit-def: $vgpr4
; %bb.856:                              ;   in Loop: Header=BB12_57 Depth=2
	s_and_not1_saveexec_b32 s41, s41
; %bb.857:                              ;   in Loop: Header=BB12_57 Depth=2
	v_and_b32_e32 v28, 0xffff, v4
	v_or_b32_e32 v85, 0x10000, v4
	s_delay_alu instid0(VALU_DEP_2) | instskip(NEXT) | instid1(VALU_DEP_2)
	v_cmp_eq_u32_e32 vcc_lo, 0, v28
	v_cndmask_b32_e32 v85, v85, v4, vcc_lo
; %bb.858:                              ;   in Loop: Header=BB12_57 Depth=2
	s_or_b32 exec_lo, exec_lo, s41
	v_and_b32_e32 v4, 0xffff0000, v13
	s_delay_alu instid0(VALU_DEP_1) | instskip(NEXT) | instid1(VALU_DEP_1)
	v_mul_f32_e32 v4, v33, v4
	v_and_b32_e32 v13, 0x7f800000, v4
	s_delay_alu instid0(VALU_DEP_1) | instskip(SKIP_1) | instid1(SALU_CYCLE_1)
	v_cmp_ne_u32_e32 vcc_lo, 0x7f800000, v13
                                        ; implicit-def: $vgpr13
	s_and_saveexec_b32 s41, vcc_lo
	s_xor_b32 s41, exec_lo, s41
; %bb.859:                              ;   in Loop: Header=BB12_57 Depth=2
	v_bfe_u32 v13, v4, 16, 1
	s_delay_alu instid0(VALU_DEP_1)
	v_add3_u32 v13, v4, v13, 0x7fff
                                        ; implicit-def: $vgpr4
; %bb.860:                              ;   in Loop: Header=BB12_57 Depth=2
	s_and_not1_saveexec_b32 s41, s41
; %bb.861:                              ;   in Loop: Header=BB12_57 Depth=2
	v_and_b32_e32 v13, 0xffff, v4
	v_or_b32_e32 v28, 0x10000, v4
	s_delay_alu instid0(VALU_DEP_2) | instskip(NEXT) | instid1(VALU_DEP_2)
	v_cmp_eq_u32_e32 vcc_lo, 0, v13
	v_cndmask_b32_e32 v13, v28, v4, vcc_lo
; %bb.862:                              ;   in Loop: Header=BB12_57 Depth=2
	s_or_b32 exec_lo, exec_lo, s41
	v_lshlrev_b32_e32 v4, 16, v14
	s_mov_b32 s41, exec_lo
                                        ; implicit-def: $vgpr86
	s_delay_alu instid0(VALU_DEP_1) | instskip(NEXT) | instid1(VALU_DEP_1)
	v_mul_f32_e32 v4, v33, v4
	v_and_b32_e32 v28, 0x7f800000, v4
	s_delay_alu instid0(VALU_DEP_1)
	v_cmpx_ne_u32_e32 0x7f800000, v28
	s_xor_b32 s41, exec_lo, s41
; %bb.863:                              ;   in Loop: Header=BB12_57 Depth=2
	v_bfe_u32 v28, v4, 16, 1
	s_delay_alu instid0(VALU_DEP_1)
	v_add3_u32 v86, v4, v28, 0x7fff
                                        ; implicit-def: $vgpr4
; %bb.864:                              ;   in Loop: Header=BB12_57 Depth=2
	s_and_not1_saveexec_b32 s41, s41
; %bb.865:                              ;   in Loop: Header=BB12_57 Depth=2
	v_and_b32_e32 v28, 0xffff, v4
	v_or_b32_e32 v86, 0x10000, v4
	s_delay_alu instid0(VALU_DEP_2) | instskip(NEXT) | instid1(VALU_DEP_2)
	v_cmp_eq_u32_e32 vcc_lo, 0, v28
	v_cndmask_b32_e32 v86, v86, v4, vcc_lo
; %bb.866:                              ;   in Loop: Header=BB12_57 Depth=2
	s_or_b32 exec_lo, exec_lo, s41
	v_and_b32_e32 v4, 0xffff0000, v14
	s_delay_alu instid0(VALU_DEP_1) | instskip(NEXT) | instid1(VALU_DEP_1)
	v_mul_f32_e32 v4, v33, v4
	v_and_b32_e32 v14, 0x7f800000, v4
	s_delay_alu instid0(VALU_DEP_1) | instskip(SKIP_1) | instid1(SALU_CYCLE_1)
	v_cmp_ne_u32_e32 vcc_lo, 0x7f800000, v14
                                        ; implicit-def: $vgpr14
	s_and_saveexec_b32 s41, vcc_lo
	s_xor_b32 s41, exec_lo, s41
; %bb.867:                              ;   in Loop: Header=BB12_57 Depth=2
	v_bfe_u32 v14, v4, 16, 1
	s_delay_alu instid0(VALU_DEP_1)
	v_add3_u32 v14, v4, v14, 0x7fff
                                        ; implicit-def: $vgpr4
; %bb.868:                              ;   in Loop: Header=BB12_57 Depth=2
	s_and_not1_saveexec_b32 s41, s41
; %bb.869:                              ;   in Loop: Header=BB12_57 Depth=2
	v_and_b32_e32 v14, 0xffff, v4
	v_or_b32_e32 v28, 0x10000, v4
	s_delay_alu instid0(VALU_DEP_2) | instskip(NEXT) | instid1(VALU_DEP_2)
	v_cmp_eq_u32_e32 vcc_lo, 0, v14
	v_cndmask_b32_e32 v14, v28, v4, vcc_lo
; %bb.870:                              ;   in Loop: Header=BB12_57 Depth=2
	s_or_b32 exec_lo, exec_lo, s41
	v_lshlrev_b32_e32 v4, 16, v15
	s_mov_b32 s41, exec_lo
                                        ; implicit-def: $vgpr87
	s_delay_alu instid0(VALU_DEP_1) | instskip(NEXT) | instid1(VALU_DEP_1)
	v_mul_f32_e32 v4, v33, v4
	v_and_b32_e32 v28, 0x7f800000, v4
	s_delay_alu instid0(VALU_DEP_1)
	v_cmpx_ne_u32_e32 0x7f800000, v28
	s_xor_b32 s41, exec_lo, s41
; %bb.871:                              ;   in Loop: Header=BB12_57 Depth=2
	v_bfe_u32 v28, v4, 16, 1
	s_delay_alu instid0(VALU_DEP_1)
	v_add3_u32 v87, v4, v28, 0x7fff
                                        ; implicit-def: $vgpr4
; %bb.872:                              ;   in Loop: Header=BB12_57 Depth=2
	s_and_not1_saveexec_b32 s41, s41
; %bb.873:                              ;   in Loop: Header=BB12_57 Depth=2
	v_and_b32_e32 v28, 0xffff, v4
	v_or_b32_e32 v87, 0x10000, v4
	s_delay_alu instid0(VALU_DEP_2) | instskip(NEXT) | instid1(VALU_DEP_2)
	v_cmp_eq_u32_e32 vcc_lo, 0, v28
	v_cndmask_b32_e32 v87, v87, v4, vcc_lo
; %bb.874:                              ;   in Loop: Header=BB12_57 Depth=2
	s_or_b32 exec_lo, exec_lo, s41
	v_and_b32_e32 v4, 0xffff0000, v15
	s_delay_alu instid0(VALU_DEP_1) | instskip(NEXT) | instid1(VALU_DEP_1)
	v_mul_f32_e32 v4, v33, v4
	v_and_b32_e32 v15, 0x7f800000, v4
	s_delay_alu instid0(VALU_DEP_1) | instskip(SKIP_1) | instid1(SALU_CYCLE_1)
	v_cmp_ne_u32_e32 vcc_lo, 0x7f800000, v15
                                        ; implicit-def: $vgpr15
	s_and_saveexec_b32 s41, vcc_lo
	s_xor_b32 s41, exec_lo, s41
; %bb.875:                              ;   in Loop: Header=BB12_57 Depth=2
	v_bfe_u32 v15, v4, 16, 1
	s_delay_alu instid0(VALU_DEP_1)
	v_add3_u32 v15, v4, v15, 0x7fff
                                        ; implicit-def: $vgpr4
; %bb.876:                              ;   in Loop: Header=BB12_57 Depth=2
	s_and_not1_saveexec_b32 s41, s41
; %bb.877:                              ;   in Loop: Header=BB12_57 Depth=2
	v_and_b32_e32 v15, 0xffff, v4
	v_or_b32_e32 v28, 0x10000, v4
	s_delay_alu instid0(VALU_DEP_2) | instskip(NEXT) | instid1(VALU_DEP_2)
	v_cmp_eq_u32_e32 vcc_lo, 0, v15
	v_cndmask_b32_e32 v15, v28, v4, vcc_lo
; %bb.878:                              ;   in Loop: Header=BB12_57 Depth=2
	s_or_b32 exec_lo, exec_lo, s41
	v_lshlrev_b32_e32 v4, 16, v8
	s_delay_alu instid0(VALU_DEP_1) | instskip(NEXT) | instid1(VALU_DEP_1)
	v_mul_f32_e32 v28, v33, v4
	v_and_b32_e32 v4, 0x7f800000, v28
	s_delay_alu instid0(VALU_DEP_1) | instskip(SKIP_1) | instid1(SALU_CYCLE_1)
	v_cmp_ne_u32_e32 vcc_lo, 0x7f800000, v4
                                        ; implicit-def: $vgpr4
	s_and_saveexec_b32 s41, vcc_lo
	s_xor_b32 s41, exec_lo, s41
; %bb.879:                              ;   in Loop: Header=BB12_57 Depth=2
	v_bfe_u32 v4, v28, 16, 1
	s_delay_alu instid0(VALU_DEP_1)
	v_add3_u32 v4, v28, v4, 0x7fff
                                        ; implicit-def: $vgpr28
; %bb.880:                              ;   in Loop: Header=BB12_57 Depth=2
	s_and_not1_saveexec_b32 s41, s41
; %bb.881:                              ;   in Loop: Header=BB12_57 Depth=2
	v_and_b32_e32 v4, 0xffff, v28
	v_or_b32_e32 v96, 0x10000, v28
	s_delay_alu instid0(VALU_DEP_2) | instskip(NEXT) | instid1(VALU_DEP_2)
	v_cmp_eq_u32_e32 vcc_lo, 0, v4
	v_cndmask_b32_e32 v4, v96, v28, vcc_lo
; %bb.882:                              ;   in Loop: Header=BB12_57 Depth=2
	s_or_b32 exec_lo, exec_lo, s41
	v_and_b32_e32 v8, 0xffff0000, v8
	s_delay_alu instid0(VALU_DEP_1) | instskip(NEXT) | instid1(VALU_DEP_1)
	v_mul_f32_e32 v28, v33, v8
	v_and_b32_e32 v8, 0x7f800000, v28
	s_delay_alu instid0(VALU_DEP_1) | instskip(SKIP_1) | instid1(SALU_CYCLE_1)
	v_cmp_ne_u32_e32 vcc_lo, 0x7f800000, v8
                                        ; implicit-def: $vgpr8
	s_and_saveexec_b32 s41, vcc_lo
	s_xor_b32 s41, exec_lo, s41
; %bb.883:                              ;   in Loop: Header=BB12_57 Depth=2
	v_bfe_u32 v8, v28, 16, 1
	s_delay_alu instid0(VALU_DEP_1)
	v_add3_u32 v8, v28, v8, 0x7fff
                                        ; implicit-def: $vgpr28
; %bb.884:                              ;   in Loop: Header=BB12_57 Depth=2
	s_and_not1_saveexec_b32 s41, s41
; %bb.885:                              ;   in Loop: Header=BB12_57 Depth=2
	v_and_b32_e32 v8, 0xffff, v28
	v_or_b32_e32 v96, 0x10000, v28
	s_delay_alu instid0(VALU_DEP_2) | instskip(NEXT) | instid1(VALU_DEP_2)
	v_cmp_eq_u32_e32 vcc_lo, 0, v8
	v_cndmask_b32_e32 v8, v96, v28, vcc_lo
; %bb.886:                              ;   in Loop: Header=BB12_57 Depth=2
	s_or_b32 exec_lo, exec_lo, s41
	v_lshlrev_b32_e32 v28, 16, v9
	s_delay_alu instid0(VALU_DEP_1) | instskip(NEXT) | instid1(VALU_DEP_1)
	v_mul_f32_e32 v28, v33, v28
	v_and_b32_e32 v96, 0x7f800000, v28
	s_delay_alu instid0(VALU_DEP_1) | instskip(SKIP_1) | instid1(SALU_CYCLE_1)
	v_cmp_ne_u32_e32 vcc_lo, 0x7f800000, v96
                                        ; implicit-def: $vgpr96
	s_and_saveexec_b32 s41, vcc_lo
	s_xor_b32 s41, exec_lo, s41
; %bb.887:                              ;   in Loop: Header=BB12_57 Depth=2
	v_bfe_u32 v96, v28, 16, 1
	s_delay_alu instid0(VALU_DEP_1)
	v_add3_u32 v96, v28, v96, 0x7fff
                                        ; implicit-def: $vgpr28
; %bb.888:                              ;   in Loop: Header=BB12_57 Depth=2
	s_and_not1_saveexec_b32 s41, s41
; %bb.889:                              ;   in Loop: Header=BB12_57 Depth=2
	v_and_b32_e32 v96, 0xffff, v28
	v_or_b32_e32 v97, 0x10000, v28
	s_delay_alu instid0(VALU_DEP_2) | instskip(NEXT) | instid1(VALU_DEP_2)
	v_cmp_eq_u32_e32 vcc_lo, 0, v96
	v_cndmask_b32_e32 v96, v97, v28, vcc_lo
; %bb.890:                              ;   in Loop: Header=BB12_57 Depth=2
	s_or_b32 exec_lo, exec_lo, s41
	v_and_b32_e32 v9, 0xffff0000, v9
	s_delay_alu instid0(VALU_DEP_1) | instskip(NEXT) | instid1(VALU_DEP_1)
	v_mul_f32_e32 v28, v33, v9
	v_and_b32_e32 v9, 0x7f800000, v28
	s_delay_alu instid0(VALU_DEP_1) | instskip(SKIP_1) | instid1(SALU_CYCLE_1)
	v_cmp_ne_u32_e32 vcc_lo, 0x7f800000, v9
                                        ; implicit-def: $vgpr9
	s_and_saveexec_b32 s41, vcc_lo
	s_xor_b32 s41, exec_lo, s41
; %bb.891:                              ;   in Loop: Header=BB12_57 Depth=2
	v_bfe_u32 v9, v28, 16, 1
	s_delay_alu instid0(VALU_DEP_1)
	v_add3_u32 v9, v28, v9, 0x7fff
                                        ; implicit-def: $vgpr28
; %bb.892:                              ;   in Loop: Header=BB12_57 Depth=2
	s_and_not1_saveexec_b32 s41, s41
; %bb.893:                              ;   in Loop: Header=BB12_57 Depth=2
	v_and_b32_e32 v9, 0xffff, v28
	v_or_b32_e32 v97, 0x10000, v28
	s_delay_alu instid0(VALU_DEP_2) | instskip(NEXT) | instid1(VALU_DEP_2)
	v_cmp_eq_u32_e32 vcc_lo, 0, v9
	v_cndmask_b32_e32 v9, v97, v28, vcc_lo
; %bb.894:                              ;   in Loop: Header=BB12_57 Depth=2
	s_or_b32 exec_lo, exec_lo, s41
	v_lshlrev_b32_e32 v28, 16, v10
	s_delay_alu instid0(VALU_DEP_1) | instskip(NEXT) | instid1(VALU_DEP_1)
	v_mul_f32_e32 v97, v33, v28
	v_and_b32_e32 v28, 0x7f800000, v97
	s_delay_alu instid0(VALU_DEP_1) | instskip(SKIP_1) | instid1(SALU_CYCLE_1)
	v_cmp_ne_u32_e32 vcc_lo, 0x7f800000, v28
                                        ; implicit-def: $vgpr28
	s_and_saveexec_b32 s41, vcc_lo
	s_xor_b32 s41, exec_lo, s41
; %bb.895:                              ;   in Loop: Header=BB12_57 Depth=2
	v_bfe_u32 v28, v97, 16, 1
	s_delay_alu instid0(VALU_DEP_1)
	v_add3_u32 v28, v97, v28, 0x7fff
                                        ; implicit-def: $vgpr97
; %bb.896:                              ;   in Loop: Header=BB12_57 Depth=2
	s_and_not1_saveexec_b32 s41, s41
; %bb.897:                              ;   in Loop: Header=BB12_57 Depth=2
	v_and_b32_e32 v28, 0xffff, v97
	v_or_b32_e32 v98, 0x10000, v97
	s_delay_alu instid0(VALU_DEP_2) | instskip(NEXT) | instid1(VALU_DEP_2)
	v_cmp_eq_u32_e32 vcc_lo, 0, v28
	v_cndmask_b32_e32 v28, v98, v97, vcc_lo
; %bb.898:                              ;   in Loop: Header=BB12_57 Depth=2
	s_or_b32 exec_lo, exec_lo, s41
	v_and_b32_e32 v10, 0xffff0000, v10
	s_delay_alu instid0(VALU_DEP_1) | instskip(NEXT) | instid1(VALU_DEP_1)
	v_mul_f32_e32 v97, v33, v10
	v_and_b32_e32 v10, 0x7f800000, v97
	s_delay_alu instid0(VALU_DEP_1) | instskip(SKIP_1) | instid1(SALU_CYCLE_1)
	v_cmp_ne_u32_e32 vcc_lo, 0x7f800000, v10
                                        ; implicit-def: $vgpr10
	s_and_saveexec_b32 s41, vcc_lo
	s_xor_b32 s41, exec_lo, s41
; %bb.899:                              ;   in Loop: Header=BB12_57 Depth=2
	v_bfe_u32 v10, v97, 16, 1
	s_delay_alu instid0(VALU_DEP_1)
	v_add3_u32 v10, v97, v10, 0x7fff
                                        ; implicit-def: $vgpr97
; %bb.900:                              ;   in Loop: Header=BB12_57 Depth=2
	s_and_not1_saveexec_b32 s41, s41
; %bb.901:                              ;   in Loop: Header=BB12_57 Depth=2
	v_and_b32_e32 v10, 0xffff, v97
	v_or_b32_e32 v98, 0x10000, v97
	s_delay_alu instid0(VALU_DEP_2) | instskip(NEXT) | instid1(VALU_DEP_2)
	v_cmp_eq_u32_e32 vcc_lo, 0, v10
	v_cndmask_b32_e32 v10, v98, v97, vcc_lo
; %bb.902:                              ;   in Loop: Header=BB12_57 Depth=2
	s_or_b32 exec_lo, exec_lo, s41
	v_lshlrev_b32_e32 v97, 16, v11
	s_delay_alu instid0(VALU_DEP_1) | instskip(NEXT) | instid1(VALU_DEP_1)
	v_mul_f32_e32 v98, v33, v97
	v_and_b32_e32 v97, 0x7f800000, v98
	s_delay_alu instid0(VALU_DEP_1) | instskip(SKIP_1) | instid1(SALU_CYCLE_1)
	v_cmp_ne_u32_e32 vcc_lo, 0x7f800000, v97
                                        ; implicit-def: $vgpr97
	s_and_saveexec_b32 s41, vcc_lo
	s_xor_b32 s41, exec_lo, s41
; %bb.903:                              ;   in Loop: Header=BB12_57 Depth=2
	v_bfe_u32 v97, v98, 16, 1
	s_delay_alu instid0(VALU_DEP_1)
	v_add3_u32 v97, v98, v97, 0x7fff
                                        ; implicit-def: $vgpr98
; %bb.904:                              ;   in Loop: Header=BB12_57 Depth=2
	s_and_not1_saveexec_b32 s41, s41
; %bb.905:                              ;   in Loop: Header=BB12_57 Depth=2
	v_and_b32_e32 v97, 0xffff, v98
	v_or_b32_e32 v99, 0x10000, v98
	s_delay_alu instid0(VALU_DEP_2) | instskip(NEXT) | instid1(VALU_DEP_2)
	v_cmp_eq_u32_e32 vcc_lo, 0, v97
	v_cndmask_b32_e32 v97, v99, v98, vcc_lo
; %bb.906:                              ;   in Loop: Header=BB12_57 Depth=2
	s_or_b32 exec_lo, exec_lo, s41
	v_and_b32_e32 v11, 0xffff0000, v11
	s_delay_alu instid0(VALU_DEP_1) | instskip(NEXT) | instid1(VALU_DEP_1)
	v_mul_f32_e32 v33, v33, v11
	v_and_b32_e32 v11, 0x7f800000, v33
	s_delay_alu instid0(VALU_DEP_1) | instskip(SKIP_1) | instid1(SALU_CYCLE_1)
	v_cmp_ne_u32_e32 vcc_lo, 0x7f800000, v11
                                        ; implicit-def: $vgpr11
	s_and_saveexec_b32 s41, vcc_lo
	s_xor_b32 s41, exec_lo, s41
; %bb.907:                              ;   in Loop: Header=BB12_57 Depth=2
	v_bfe_u32 v11, v33, 16, 1
	s_delay_alu instid0(VALU_DEP_1)
	v_add3_u32 v11, v33, v11, 0x7fff
                                        ; implicit-def: $vgpr33
; %bb.908:                              ;   in Loop: Header=BB12_57 Depth=2
	s_and_not1_saveexec_b32 s41, s41
; %bb.909:                              ;   in Loop: Header=BB12_57 Depth=2
	v_and_b32_e32 v11, 0xffff, v33
	v_or_b32_e32 v98, 0x10000, v33
	s_delay_alu instid0(VALU_DEP_2) | instskip(NEXT) | instid1(VALU_DEP_2)
	v_cmp_eq_u32_e32 vcc_lo, 0, v11
	v_cndmask_b32_e32 v11, v98, v33, vcc_lo
; %bb.910:                              ;   in Loop: Header=BB12_57 Depth=2
	s_or_b32 exec_lo, exec_lo, s41
	v_dual_lshrrev_b32 v33, 16, v85 :: v_dual_lshrrev_b32 v84, 16, v84
	v_dual_lshrrev_b32 v6, 16, v6 :: v_dual_lshrrev_b32 v71, 16, v71
	;; [unrolled: 1-line block ×3, first 2 shown]
	s_delay_alu instid0(VALU_DEP_3) | instskip(SKIP_2) | instid1(VALU_DEP_4)
	v_and_or_b32 v13, 0xffff0000, v13, v33
	v_dual_lshrrev_b32 v33, 16, v81 :: v_dual_lshrrev_b32 v80, 16, v80
	v_lshrrev_b32_e32 v81, 16, v82
	v_and_or_b32 v82, 0xffff0000, v21, v20
	v_lshrrev_b32_e32 v1, 16, v1
	s_delay_alu instid0(VALU_DEP_4)
	v_and_or_b32 v17, 0xffff0000, v17, v33
	v_and_or_b32 v16, 0xffff0000, v16, v80
	;; [unrolled: 1-line block ×3, first 2 shown]
	v_dual_lshrrev_b32 v0, 16, v68 :: v_dual_lshrrev_b32 v33, 16, v83
	v_and_or_b32 v18, 0xffff0000, v18, v81
	v_and_or_b32 v81, 0xffff0000, v7, v6
	v_lshrrev_b32_e32 v6, 16, v67
	s_delay_alu instid0(VALU_DEP_4)
	v_and_or_b32 v21, 0xffff0000, v25, v0
	v_dual_lshrrev_b32 v0, 16, v5 :: v_dual_lshrrev_b32 v2, 16, v2
	v_and_or_b32 v19, 0xffff0000, v19, v33
	v_and_or_b32 v83, 0xffff0000, v23, v22
	v_dual_lshrrev_b32 v7, 16, v69 :: v_dual_lshrrev_b32 v23, 16, v70
	v_dual_lshrrev_b32 v33, 16, v65 :: v_dual_lshrrev_b32 v5, 16, v66
	v_and_or_b32 v20, 0xffff0000, v24, v6
	v_lshrrev_b32_e32 v6, 16, v29
	v_and_or_b32 v24, 0xffff0000, v48, v0
	v_lshrrev_b32_e32 v0, 16, v53
	v_and_or_b32 v22, 0xffff0000, v26, v7
	v_and_or_b32 v23, 0xffff0000, v27, v23
	;; [unrolled: 1-line block ×5, first 2 shown]
	v_lshrrev_b32_e32 v2, 16, v32
	v_and_or_b32 v27, 0xffff0000, v51, v1
	v_lshrrev_b32_e32 v1, 16, v55
	v_and_or_b32 v48, 0xffff0000, v39, v6
	v_dual_lshrrev_b32 v5, 16, v30 :: v_dual_lshrrev_b32 v6, 16, v35
	v_and_or_b32 v50, 0xffff0000, v54, v0
	v_dual_lshrrev_b32 v0, 16, v37 :: v_dual_lshrrev_b32 v85, 16, v86
	v_lshrrev_b32_e32 v86, 16, v87
	v_and_or_b32 v51, 0xffff0000, v64, v1
	v_and_or_b32 v33, 0xffff0000, v34, v2
	;; [unrolled: 1-line block ×4, first 2 shown]
	v_dual_lshrrev_b32 v1, 16, v96 :: v_dual_lshrrev_b32 v7, 16, v97
	v_lshrrev_b32_e32 v2, 16, v4
	v_lshrrev_b32_e32 v6, 16, v28
	v_and_or_b32 v35, 0xffff0000, v38, v0
	v_and_or_b32 v12, 0xffff0000, v12, v84
	;; [unrolled: 1-line block ×8, first 2 shown]
	s_clause 0x7
	global_store_b128 v[76:77], v[32:35], off th:TH_STORE_NT
	global_store_b128 v[76:77], v[48:51], off offset:512 th:TH_STORE_NT
	global_store_b128 v[76:77], v[24:27], off offset:1024 th:TH_STORE_NT
	;; [unrolled: 1-line block ×7, first 2 shown]
.LBB12_911:                             ;   in Loop: Header=BB12_57 Depth=2
	s_wait_xcnt 0x0
	s_or_b32 exec_lo, exec_lo, s13
	s_wait_loadcnt 0x0
	v_lshlrev_b32_e32 v1, 12, v113
	s_mov_b32 s41, exec_lo
                                        ; implicit-def: $vgpr12
                                        ; implicit-def: $vgpr4
                                        ; implicit-def: $vgpr13
	s_delay_alu instid0(VALU_DEP_1)
	v_cmpx_ne_u32_e64 v103, v1
	s_cbranch_execz .LBB12_1023
; %bb.912:                              ;   in Loop: Header=BB12_57 Depth=2
	scratch_load_b32 v2, off, s33 offset:328 ; 4-byte Folded Reload
	v_lshlrev_b32_e32 v0, 5, v125
	s_mov_b32 s75, 0
	s_mov_b32 s74, exec_lo
	v_sub_nc_u32_e32 v4, v103, v1
	s_delay_alu instid0(VALU_DEP_1) | instskip(SKIP_2) | instid1(VALU_DEP_1)
	v_ashrrev_i32_e32 v6, 31, v4
	s_wait_loadcnt 0x0
	v_sub_nc_u32_e32 v0, v2, v0
	v_ashrrev_i32_e32 v2, 31, v0
	s_delay_alu instid0(VALU_DEP_1) | instskip(NEXT) | instid1(VALU_DEP_1)
	v_lshrrev_b32_e32 v2, 27, v2
	v_add_nc_u32_e32 v2, v0, v2
	s_delay_alu instid0(VALU_DEP_1) | instskip(NEXT) | instid1(VALU_DEP_1)
	v_and_b32_e32 v5, 0xffffffe0, v2
	v_dual_sub_nc_u32 v0, v0, v5 :: v_dual_lshrrev_b32 v5, 23, v6
	s_delay_alu instid0(VALU_DEP_1) | instskip(NEXT) | instid1(VALU_DEP_2)
	v_dual_ashrrev_i32 v6, 5, v2 :: v_dual_lshlrev_b32 v2, 4, v0
	v_add_nc_u32_e32 v7, v4, v5
	s_delay_alu instid0(VALU_DEP_2) | instskip(NEXT) | instid1(VALU_DEP_2)
	v_lshl_add_u32 v8, v6, 9, v2
	v_and_b32_e32 v2, 0xfffffe00, v7
	s_delay_alu instid0(VALU_DEP_2) | instskip(NEXT) | instid1(VALU_DEP_2)
	v_dual_ashrrev_i32 v7, 9, v7 :: v_dual_add_nc_u32 v10, v8, v1
	v_sub_nc_u32_e32 v5, v4, v2
	s_delay_alu instid0(VALU_DEP_2) | instskip(NEXT) | instid1(VALU_DEP_2)
	v_ashrrev_i32_e32 v11, 31, v10
	v_cmp_lt_i32_e32 vcc_lo, 15, v5
	s_delay_alu instid0(VALU_DEP_2) | instskip(SKIP_1) | instid1(VALU_DEP_1)
	v_add_nc_u64_e32 v[16:17], v[10:11], v[118:119]
	v_add_co_ci_u32_e64 v9, null, 0, v7, vcc_lo
	v_dual_sub_nc_u32 v7, v4, v8 :: v_dual_sub_nc_u32 v6, v9, v6
                                        ; implicit-def: $vgpr8_vgpr9
	s_wait_xcnt 0x0
	s_delay_alu instid0(VALU_DEP_1)
	v_cmpx_lt_i32_e32 15, v7
	s_cbranch_execz .LBB12_986
; %bb.913:                              ;   in Loop: Header=BB12_57 Depth=2
	s_trap 2
	ds_load_b32 v4, v0
	v_add_nc_u64_e32 v[18:19], v[10:11], v[42:43]
	s_mov_b32 s77, 0
                                        ; implicit-def: $sgpr76
                                        ; implicit-def: $vgpr8_vgpr9
	s_wait_dscnt 0x0
	v_lshlrev_b32_e32 v20, 16, v4
	s_branch .LBB12_915
.LBB12_914:                             ;   in Loop: Header=BB12_915 Depth=3
	s_wait_xcnt 0x0
	s_or_b32 exec_lo, exec_lo, s13
	v_cmp_gt_i32_e64 s13, 16, v7
	s_or_b32 s75, s13, s75
	s_and_not1_b32 s13, s76, exec_lo
	s_and_b32 s76, s77, exec_lo
	s_delay_alu instid0(SALU_CYCLE_1)
	s_or_b32 s76, s13, s76
	s_and_not1_b32 exec_lo, exec_lo, s75
	s_cbranch_execz .LBB12_985
.LBB12_915:                             ;   Parent Loop BB12_47 Depth=1
                                        ;     Parent Loop BB12_57 Depth=2
                                        ; =>    This Inner Loop Header: Depth=3
	global_load_b128 v[12:15], v[18:19], off th:TH_LOAD_NT
	s_wait_xcnt 0x0
	s_and_saveexec_b32 s78, s77
	s_cbranch_execz .LBB12_949
; %bb.916:                              ;   in Loop: Header=BB12_915 Depth=3
	s_wait_loadcnt 0x1
	v_lshlrev_b32_e32 v4, 16, v8
	s_delay_alu instid0(VALU_DEP_1) | instskip(NEXT) | instid1(VALU_DEP_1)
	v_mul_f32_e32 v21, v20, v4
	v_and_b32_e32 v4, 0x7f800000, v21
	s_delay_alu instid0(VALU_DEP_1) | instskip(SKIP_1) | instid1(SALU_CYCLE_1)
	v_cmp_ne_u32_e64 s13, 0x7f800000, v4
                                        ; implicit-def: $vgpr4
	s_and_saveexec_b32 s77, s13
	s_xor_b32 s13, exec_lo, s77
; %bb.917:                              ;   in Loop: Header=BB12_915 Depth=3
	v_bfe_u32 v4, v21, 16, 1
	s_delay_alu instid0(VALU_DEP_1)
	v_add3_u32 v4, v21, v4, 0x7fff
                                        ; implicit-def: $vgpr21
; %bb.918:                              ;   in Loop: Header=BB12_915 Depth=3
	s_and_not1_saveexec_b32 s77, s13
; %bb.919:                              ;   in Loop: Header=BB12_915 Depth=3
	v_and_b32_e32 v4, 0xffff, v21
	v_or_b32_e32 v22, 0x10000, v21
	s_delay_alu instid0(VALU_DEP_2) | instskip(NEXT) | instid1(VALU_DEP_1)
	v_cmp_eq_u32_e64 s13, 0, v4
	v_cndmask_b32_e64 v4, v22, v21, s13
; %bb.920:                              ;   in Loop: Header=BB12_915 Depth=3
	s_or_b32 exec_lo, exec_lo, s77
	v_and_b32_e32 v8, 0xffff0000, v8
	s_delay_alu instid0(VALU_DEP_1) | instskip(NEXT) | instid1(VALU_DEP_1)
	v_mul_f32_e32 v21, v20, v8
	v_and_b32_e32 v8, 0x7f800000, v21
	s_delay_alu instid0(VALU_DEP_1) | instskip(SKIP_1) | instid1(SALU_CYCLE_1)
	v_cmp_ne_u32_e64 s13, 0x7f800000, v8
                                        ; implicit-def: $vgpr8
	s_and_saveexec_b32 s77, s13
	s_xor_b32 s13, exec_lo, s77
; %bb.921:                              ;   in Loop: Header=BB12_915 Depth=3
	v_bfe_u32 v8, v21, 16, 1
	s_delay_alu instid0(VALU_DEP_1)
	v_add3_u32 v8, v21, v8, 0x7fff
                                        ; implicit-def: $vgpr21
; %bb.922:                              ;   in Loop: Header=BB12_915 Depth=3
	s_and_not1_saveexec_b32 s77, s13
; %bb.923:                              ;   in Loop: Header=BB12_915 Depth=3
	v_and_b32_e32 v8, 0xffff, v21
	v_or_b32_e32 v22, 0x10000, v21
	s_delay_alu instid0(VALU_DEP_2) | instskip(NEXT) | instid1(VALU_DEP_1)
	v_cmp_eq_u32_e64 s13, 0, v8
	v_cndmask_b32_e64 v8, v22, v21, s13
; %bb.924:                              ;   in Loop: Header=BB12_915 Depth=3
	s_or_b32 exec_lo, exec_lo, s77
	v_lshlrev_b32_e32 v21, 16, v9
	s_delay_alu instid0(VALU_DEP_1) | instskip(NEXT) | instid1(VALU_DEP_1)
	v_mul_f32_e32 v22, v20, v21
	v_and_b32_e32 v21, 0x7f800000, v22
	s_delay_alu instid0(VALU_DEP_1) | instskip(SKIP_1) | instid1(SALU_CYCLE_1)
	v_cmp_ne_u32_e64 s13, 0x7f800000, v21
                                        ; implicit-def: $vgpr21
	s_and_saveexec_b32 s77, s13
	s_xor_b32 s13, exec_lo, s77
; %bb.925:                              ;   in Loop: Header=BB12_915 Depth=3
	v_bfe_u32 v21, v22, 16, 1
	s_delay_alu instid0(VALU_DEP_1)
	v_add3_u32 v21, v22, v21, 0x7fff
                                        ; implicit-def: $vgpr22
; %bb.926:                              ;   in Loop: Header=BB12_915 Depth=3
	s_and_not1_saveexec_b32 s77, s13
; %bb.927:                              ;   in Loop: Header=BB12_915 Depth=3
	v_and_b32_e32 v21, 0xffff, v22
	v_or_b32_e32 v23, 0x10000, v22
	s_delay_alu instid0(VALU_DEP_2) | instskip(NEXT) | instid1(VALU_DEP_1)
	v_cmp_eq_u32_e64 s13, 0, v21
	v_cndmask_b32_e64 v21, v23, v22, s13
; %bb.928:                              ;   in Loop: Header=BB12_915 Depth=3
	s_or_b32 exec_lo, exec_lo, s77
	v_and_b32_e32 v9, 0xffff0000, v9
	s_delay_alu instid0(VALU_DEP_1) | instskip(NEXT) | instid1(VALU_DEP_1)
	v_mul_f32_e32 v22, v20, v9
	v_and_b32_e32 v9, 0x7f800000, v22
	s_delay_alu instid0(VALU_DEP_1) | instskip(SKIP_1) | instid1(SALU_CYCLE_1)
	v_cmp_ne_u32_e64 s13, 0x7f800000, v9
                                        ; implicit-def: $vgpr9
	s_and_saveexec_b32 s77, s13
	s_xor_b32 s13, exec_lo, s77
; %bb.929:                              ;   in Loop: Header=BB12_915 Depth=3
	v_bfe_u32 v9, v22, 16, 1
	s_delay_alu instid0(VALU_DEP_1)
	v_add3_u32 v9, v22, v9, 0x7fff
                                        ; implicit-def: $vgpr22
; %bb.930:                              ;   in Loop: Header=BB12_915 Depth=3
	s_and_not1_saveexec_b32 s77, s13
; %bb.931:                              ;   in Loop: Header=BB12_915 Depth=3
	v_and_b32_e32 v9, 0xffff, v22
	v_or_b32_e32 v23, 0x10000, v22
	s_delay_alu instid0(VALU_DEP_2) | instskip(NEXT) | instid1(VALU_DEP_1)
	v_cmp_eq_u32_e64 s13, 0, v9
	v_cndmask_b32_e64 v9, v23, v22, s13
; %bb.932:                              ;   in Loop: Header=BB12_915 Depth=3
	s_or_b32 exec_lo, exec_lo, s77
	v_lshlrev_b32_e32 v22, 16, v10
	s_delay_alu instid0(VALU_DEP_1) | instskip(NEXT) | instid1(VALU_DEP_1)
	v_mul_f32_e32 v23, v20, v22
	v_and_b32_e32 v22, 0x7f800000, v23
	s_delay_alu instid0(VALU_DEP_1) | instskip(SKIP_1) | instid1(SALU_CYCLE_1)
	v_cmp_ne_u32_e64 s13, 0x7f800000, v22
                                        ; implicit-def: $vgpr22
	s_and_saveexec_b32 s77, s13
	s_xor_b32 s13, exec_lo, s77
; %bb.933:                              ;   in Loop: Header=BB12_915 Depth=3
	v_bfe_u32 v22, v23, 16, 1
	s_delay_alu instid0(VALU_DEP_1)
	v_add3_u32 v22, v23, v22, 0x7fff
                                        ; implicit-def: $vgpr23
; %bb.934:                              ;   in Loop: Header=BB12_915 Depth=3
	s_and_not1_saveexec_b32 s77, s13
; %bb.935:                              ;   in Loop: Header=BB12_915 Depth=3
	v_and_b32_e32 v22, 0xffff, v23
	v_or_b32_e32 v24, 0x10000, v23
	s_delay_alu instid0(VALU_DEP_2) | instskip(NEXT) | instid1(VALU_DEP_1)
	v_cmp_eq_u32_e64 s13, 0, v22
	v_cndmask_b32_e64 v22, v24, v23, s13
; %bb.936:                              ;   in Loop: Header=BB12_915 Depth=3
	s_or_b32 exec_lo, exec_lo, s77
	v_and_b32_e32 v10, 0xffff0000, v10
	s_delay_alu instid0(VALU_DEP_1) | instskip(NEXT) | instid1(VALU_DEP_1)
	v_mul_f32_e32 v23, v20, v10
	v_and_b32_e32 v10, 0x7f800000, v23
	s_delay_alu instid0(VALU_DEP_1) | instskip(SKIP_1) | instid1(SALU_CYCLE_1)
	v_cmp_ne_u32_e64 s13, 0x7f800000, v10
                                        ; implicit-def: $vgpr10
	s_and_saveexec_b32 s77, s13
	s_xor_b32 s13, exec_lo, s77
; %bb.937:                              ;   in Loop: Header=BB12_915 Depth=3
	v_bfe_u32 v10, v23, 16, 1
	s_delay_alu instid0(VALU_DEP_1)
	v_add3_u32 v10, v23, v10, 0x7fff
                                        ; implicit-def: $vgpr23
; %bb.938:                              ;   in Loop: Header=BB12_915 Depth=3
	s_and_not1_saveexec_b32 s77, s13
; %bb.939:                              ;   in Loop: Header=BB12_915 Depth=3
	v_and_b32_e32 v10, 0xffff, v23
	v_or_b32_e32 v24, 0x10000, v23
	s_delay_alu instid0(VALU_DEP_2) | instskip(NEXT) | instid1(VALU_DEP_1)
	v_cmp_eq_u32_e64 s13, 0, v10
	v_cndmask_b32_e64 v10, v24, v23, s13
; %bb.940:                              ;   in Loop: Header=BB12_915 Depth=3
	s_or_b32 exec_lo, exec_lo, s77
	v_lshlrev_b32_e32 v23, 16, v11
	s_delay_alu instid0(VALU_DEP_1) | instskip(NEXT) | instid1(VALU_DEP_1)
	v_mul_f32_e32 v24, v20, v23
	v_and_b32_e32 v23, 0x7f800000, v24
	s_delay_alu instid0(VALU_DEP_1) | instskip(SKIP_1) | instid1(SALU_CYCLE_1)
	v_cmp_ne_u32_e64 s13, 0x7f800000, v23
                                        ; implicit-def: $vgpr23
	s_and_saveexec_b32 s77, s13
	s_xor_b32 s13, exec_lo, s77
; %bb.941:                              ;   in Loop: Header=BB12_915 Depth=3
	v_bfe_u32 v23, v24, 16, 1
	s_delay_alu instid0(VALU_DEP_1)
	v_add3_u32 v23, v24, v23, 0x7fff
                                        ; implicit-def: $vgpr24
; %bb.942:                              ;   in Loop: Header=BB12_915 Depth=3
	s_and_not1_saveexec_b32 s77, s13
; %bb.943:                              ;   in Loop: Header=BB12_915 Depth=3
	v_and_b32_e32 v23, 0xffff, v24
	v_or_b32_e32 v25, 0x10000, v24
	s_delay_alu instid0(VALU_DEP_2) | instskip(NEXT) | instid1(VALU_DEP_1)
	v_cmp_eq_u32_e64 s13, 0, v23
	v_cndmask_b32_e64 v23, v25, v24, s13
; %bb.944:                              ;   in Loop: Header=BB12_915 Depth=3
	s_or_b32 exec_lo, exec_lo, s77
	v_and_b32_e32 v11, 0xffff0000, v11
	s_delay_alu instid0(VALU_DEP_1) | instskip(NEXT) | instid1(VALU_DEP_1)
	v_mul_f32_e32 v24, v20, v11
	v_and_b32_e32 v11, 0x7f800000, v24
	s_delay_alu instid0(VALU_DEP_1) | instskip(SKIP_1) | instid1(SALU_CYCLE_1)
	v_cmp_ne_u32_e64 s13, 0x7f800000, v11
                                        ; implicit-def: $vgpr11
	s_and_saveexec_b32 s77, s13
	s_xor_b32 s13, exec_lo, s77
; %bb.945:                              ;   in Loop: Header=BB12_915 Depth=3
	v_bfe_u32 v11, v24, 16, 1
	s_delay_alu instid0(VALU_DEP_1)
	v_add3_u32 v11, v24, v11, 0x7fff
                                        ; implicit-def: $vgpr24
; %bb.946:                              ;   in Loop: Header=BB12_915 Depth=3
	s_and_not1_saveexec_b32 s77, s13
; %bb.947:                              ;   in Loop: Header=BB12_915 Depth=3
	v_and_b32_e32 v11, 0xffff, v24
	v_or_b32_e32 v25, 0x10000, v24
	s_delay_alu instid0(VALU_DEP_2) | instskip(NEXT) | instid1(VALU_DEP_1)
	v_cmp_eq_u32_e64 s13, 0, v11
	v_cndmask_b32_e64 v11, v25, v24, s13
; %bb.948:                              ;   in Loop: Header=BB12_915 Depth=3
	s_or_b32 exec_lo, exec_lo, s77
	v_dual_lshrrev_b32 v22, 16, v22 :: v_dual_lshrrev_b32 v23, 16, v23
	v_dual_lshrrev_b32 v21, 16, v21 :: v_dual_lshrrev_b32 v4, 16, v4
	s_delay_alu instid0(VALU_DEP_2) | instskip(NEXT) | instid1(VALU_DEP_3)
	v_and_or_b32 v10, 0xffff0000, v10, v22
	v_and_or_b32 v11, 0xffff0000, v11, v23
	scratch_load_b64 v[22:23], off, s33 offset:264 ; 8-byte Folded Reload
	v_and_or_b32 v9, 0xffff0000, v9, v21
	v_and_or_b32 v8, 0xffff0000, v8, v4
	global_store_b128 v[16:17], v[8:11], off th:TH_STORE_NT
	s_wait_loadcnt 0x0
	s_wait_xcnt 0x0
	v_add_nc_u64_e32 v[16:17], v[16:17], v[22:23]
.LBB12_949:                             ;   in Loop: Header=BB12_915 Depth=3
	s_or_b32 exec_lo, exec_lo, s78
	scratch_load_b64 v[22:23], off, s33 offset:264 ; 8-byte Folded Reload
	v_lshlrev_b32_e32 v4, 9, v60
	s_delay_alu instid0(VALU_DEP_1) | instskip(NEXT) | instid1(VALU_DEP_1)
	v_sub_nc_u32_e32 v7, v7, v4
	v_cmp_lt_i32_e64 s77, 15, v7
	s_wait_loadcnt 0x0
	v_add_nc_u64_e32 v[18:19], v[18:19], v[22:23]
	s_wait_xcnt 0x0
	s_and_saveexec_b32 s13, s77
	s_cbranch_execz .LBB12_951
; %bb.950:                              ;   in Loop: Header=BB12_915 Depth=3
	global_load_b128 v[8:11], v[18:19], off th:TH_LOAD_NT
	s_wait_xcnt 0x0
	v_add_nc_u64_e32 v[18:19], 0x200, v[18:19]
.LBB12_951:                             ;   in Loop: Header=BB12_915 Depth=3
	s_or_b32 exec_lo, exec_lo, s13
	v_lshlrev_b32_e32 v4, 16, v12
	s_delay_alu instid0(VALU_DEP_1) | instskip(NEXT) | instid1(VALU_DEP_1)
	v_mul_f32_e32 v21, v20, v4
	v_and_b32_e32 v4, 0x7f800000, v21
	s_delay_alu instid0(VALU_DEP_1) | instskip(SKIP_1) | instid1(SALU_CYCLE_1)
	v_cmp_ne_u32_e64 s13, 0x7f800000, v4
                                        ; implicit-def: $vgpr4
	s_and_saveexec_b32 s78, s13
	s_xor_b32 s13, exec_lo, s78
; %bb.952:                              ;   in Loop: Header=BB12_915 Depth=3
	v_bfe_u32 v4, v21, 16, 1
	s_delay_alu instid0(VALU_DEP_1)
	v_add3_u32 v4, v21, v4, 0x7fff
                                        ; implicit-def: $vgpr21
; %bb.953:                              ;   in Loop: Header=BB12_915 Depth=3
	s_and_not1_saveexec_b32 s78, s13
; %bb.954:                              ;   in Loop: Header=BB12_915 Depth=3
	v_and_b32_e32 v4, 0xffff, v21
	v_or_b32_e32 v22, 0x10000, v21
	s_delay_alu instid0(VALU_DEP_2) | instskip(NEXT) | instid1(VALU_DEP_1)
	v_cmp_eq_u32_e64 s13, 0, v4
	v_cndmask_b32_e64 v4, v22, v21, s13
; %bb.955:                              ;   in Loop: Header=BB12_915 Depth=3
	s_or_b32 exec_lo, exec_lo, s78
	v_and_b32_e32 v12, 0xffff0000, v12
	s_delay_alu instid0(VALU_DEP_1) | instskip(NEXT) | instid1(VALU_DEP_1)
	v_mul_f32_e32 v21, v20, v12
	v_and_b32_e32 v12, 0x7f800000, v21
	s_delay_alu instid0(VALU_DEP_1) | instskip(SKIP_1) | instid1(SALU_CYCLE_1)
	v_cmp_ne_u32_e64 s13, 0x7f800000, v12
                                        ; implicit-def: $vgpr12
	s_and_saveexec_b32 s78, s13
	s_xor_b32 s13, exec_lo, s78
; %bb.956:                              ;   in Loop: Header=BB12_915 Depth=3
	v_bfe_u32 v12, v21, 16, 1
	s_delay_alu instid0(VALU_DEP_1)
	v_add3_u32 v12, v21, v12, 0x7fff
                                        ; implicit-def: $vgpr21
; %bb.957:                              ;   in Loop: Header=BB12_915 Depth=3
	s_and_not1_saveexec_b32 s78, s13
; %bb.958:                              ;   in Loop: Header=BB12_915 Depth=3
	v_and_b32_e32 v12, 0xffff, v21
	v_or_b32_e32 v22, 0x10000, v21
	s_delay_alu instid0(VALU_DEP_2) | instskip(NEXT) | instid1(VALU_DEP_1)
	v_cmp_eq_u32_e64 s13, 0, v12
	v_cndmask_b32_e64 v12, v22, v21, s13
; %bb.959:                              ;   in Loop: Header=BB12_915 Depth=3
	s_or_b32 exec_lo, exec_lo, s78
	v_lshlrev_b32_e32 v21, 16, v13
	s_delay_alu instid0(VALU_DEP_1) | instskip(NEXT) | instid1(VALU_DEP_1)
	v_mul_f32_e32 v22, v20, v21
	v_and_b32_e32 v21, 0x7f800000, v22
	s_delay_alu instid0(VALU_DEP_1) | instskip(SKIP_1) | instid1(SALU_CYCLE_1)
	v_cmp_ne_u32_e64 s13, 0x7f800000, v21
                                        ; implicit-def: $vgpr21
	s_and_saveexec_b32 s78, s13
	s_xor_b32 s13, exec_lo, s78
; %bb.960:                              ;   in Loop: Header=BB12_915 Depth=3
	v_bfe_u32 v21, v22, 16, 1
	s_delay_alu instid0(VALU_DEP_1)
	v_add3_u32 v21, v22, v21, 0x7fff
                                        ; implicit-def: $vgpr22
; %bb.961:                              ;   in Loop: Header=BB12_915 Depth=3
	s_and_not1_saveexec_b32 s78, s13
; %bb.962:                              ;   in Loop: Header=BB12_915 Depth=3
	v_and_b32_e32 v21, 0xffff, v22
	v_or_b32_e32 v23, 0x10000, v22
	s_delay_alu instid0(VALU_DEP_2) | instskip(NEXT) | instid1(VALU_DEP_1)
	v_cmp_eq_u32_e64 s13, 0, v21
	v_cndmask_b32_e64 v21, v23, v22, s13
; %bb.963:                              ;   in Loop: Header=BB12_915 Depth=3
	s_or_b32 exec_lo, exec_lo, s78
	v_and_b32_e32 v13, 0xffff0000, v13
	s_delay_alu instid0(VALU_DEP_1) | instskip(NEXT) | instid1(VALU_DEP_1)
	v_mul_f32_e32 v22, v20, v13
	v_and_b32_e32 v13, 0x7f800000, v22
	s_delay_alu instid0(VALU_DEP_1) | instskip(SKIP_1) | instid1(SALU_CYCLE_1)
	v_cmp_ne_u32_e64 s13, 0x7f800000, v13
                                        ; implicit-def: $vgpr13
	s_and_saveexec_b32 s78, s13
	s_xor_b32 s13, exec_lo, s78
; %bb.964:                              ;   in Loop: Header=BB12_915 Depth=3
	v_bfe_u32 v13, v22, 16, 1
	s_delay_alu instid0(VALU_DEP_1)
	v_add3_u32 v13, v22, v13, 0x7fff
                                        ; implicit-def: $vgpr22
; %bb.965:                              ;   in Loop: Header=BB12_915 Depth=3
	s_and_not1_saveexec_b32 s78, s13
; %bb.966:                              ;   in Loop: Header=BB12_915 Depth=3
	v_and_b32_e32 v13, 0xffff, v22
	v_or_b32_e32 v23, 0x10000, v22
	s_delay_alu instid0(VALU_DEP_2) | instskip(NEXT) | instid1(VALU_DEP_1)
	v_cmp_eq_u32_e64 s13, 0, v13
	v_cndmask_b32_e64 v13, v23, v22, s13
; %bb.967:                              ;   in Loop: Header=BB12_915 Depth=3
	s_or_b32 exec_lo, exec_lo, s78
	v_lshlrev_b32_e32 v22, 16, v14
	s_delay_alu instid0(VALU_DEP_1) | instskip(NEXT) | instid1(VALU_DEP_1)
	v_mul_f32_e32 v23, v20, v22
	v_and_b32_e32 v22, 0x7f800000, v23
	s_delay_alu instid0(VALU_DEP_1) | instskip(SKIP_1) | instid1(SALU_CYCLE_1)
	v_cmp_ne_u32_e64 s13, 0x7f800000, v22
                                        ; implicit-def: $vgpr22
	s_and_saveexec_b32 s78, s13
	s_xor_b32 s13, exec_lo, s78
; %bb.968:                              ;   in Loop: Header=BB12_915 Depth=3
	v_bfe_u32 v22, v23, 16, 1
	s_delay_alu instid0(VALU_DEP_1)
	v_add3_u32 v22, v23, v22, 0x7fff
                                        ; implicit-def: $vgpr23
; %bb.969:                              ;   in Loop: Header=BB12_915 Depth=3
	s_and_not1_saveexec_b32 s78, s13
; %bb.970:                              ;   in Loop: Header=BB12_915 Depth=3
	v_and_b32_e32 v22, 0xffff, v23
	v_or_b32_e32 v24, 0x10000, v23
	s_delay_alu instid0(VALU_DEP_2) | instskip(NEXT) | instid1(VALU_DEP_1)
	v_cmp_eq_u32_e64 s13, 0, v22
	v_cndmask_b32_e64 v22, v24, v23, s13
; %bb.971:                              ;   in Loop: Header=BB12_915 Depth=3
	s_or_b32 exec_lo, exec_lo, s78
	v_and_b32_e32 v14, 0xffff0000, v14
	s_delay_alu instid0(VALU_DEP_1) | instskip(NEXT) | instid1(VALU_DEP_1)
	v_mul_f32_e32 v23, v20, v14
	v_and_b32_e32 v14, 0x7f800000, v23
	s_delay_alu instid0(VALU_DEP_1) | instskip(SKIP_1) | instid1(SALU_CYCLE_1)
	v_cmp_ne_u32_e64 s13, 0x7f800000, v14
                                        ; implicit-def: $vgpr14
	s_and_saveexec_b32 s78, s13
	s_xor_b32 s13, exec_lo, s78
; %bb.972:                              ;   in Loop: Header=BB12_915 Depth=3
	v_bfe_u32 v14, v23, 16, 1
	s_delay_alu instid0(VALU_DEP_1)
	v_add3_u32 v14, v23, v14, 0x7fff
                                        ; implicit-def: $vgpr23
; %bb.973:                              ;   in Loop: Header=BB12_915 Depth=3
	s_and_not1_saveexec_b32 s78, s13
; %bb.974:                              ;   in Loop: Header=BB12_915 Depth=3
	v_and_b32_e32 v14, 0xffff, v23
	v_or_b32_e32 v24, 0x10000, v23
	s_delay_alu instid0(VALU_DEP_2) | instskip(NEXT) | instid1(VALU_DEP_1)
	v_cmp_eq_u32_e64 s13, 0, v14
	v_cndmask_b32_e64 v14, v24, v23, s13
; %bb.975:                              ;   in Loop: Header=BB12_915 Depth=3
	s_or_b32 exec_lo, exec_lo, s78
	v_lshlrev_b32_e32 v23, 16, v15
	s_delay_alu instid0(VALU_DEP_1) | instskip(NEXT) | instid1(VALU_DEP_1)
	v_mul_f32_e32 v24, v20, v23
	v_and_b32_e32 v23, 0x7f800000, v24
	s_delay_alu instid0(VALU_DEP_1) | instskip(SKIP_1) | instid1(SALU_CYCLE_1)
	v_cmp_ne_u32_e64 s13, 0x7f800000, v23
                                        ; implicit-def: $vgpr23
	s_and_saveexec_b32 s78, s13
	s_xor_b32 s13, exec_lo, s78
; %bb.976:                              ;   in Loop: Header=BB12_915 Depth=3
	v_bfe_u32 v23, v24, 16, 1
	s_delay_alu instid0(VALU_DEP_1)
	v_add3_u32 v23, v24, v23, 0x7fff
                                        ; implicit-def: $vgpr24
; %bb.977:                              ;   in Loop: Header=BB12_915 Depth=3
	s_and_not1_saveexec_b32 s78, s13
; %bb.978:                              ;   in Loop: Header=BB12_915 Depth=3
	v_and_b32_e32 v23, 0xffff, v24
	v_or_b32_e32 v25, 0x10000, v24
	s_delay_alu instid0(VALU_DEP_2) | instskip(NEXT) | instid1(VALU_DEP_1)
	v_cmp_eq_u32_e64 s13, 0, v23
	v_cndmask_b32_e64 v23, v25, v24, s13
; %bb.979:                              ;   in Loop: Header=BB12_915 Depth=3
	s_or_b32 exec_lo, exec_lo, s78
	v_and_b32_e32 v15, 0xffff0000, v15
	s_delay_alu instid0(VALU_DEP_1) | instskip(NEXT) | instid1(VALU_DEP_1)
	v_mul_f32_e32 v24, v20, v15
	v_and_b32_e32 v15, 0x7f800000, v24
	s_delay_alu instid0(VALU_DEP_1) | instskip(SKIP_1) | instid1(SALU_CYCLE_1)
	v_cmp_ne_u32_e64 s13, 0x7f800000, v15
                                        ; implicit-def: $vgpr15
	s_and_saveexec_b32 s78, s13
	s_xor_b32 s13, exec_lo, s78
; %bb.980:                              ;   in Loop: Header=BB12_915 Depth=3
	v_bfe_u32 v15, v24, 16, 1
	s_delay_alu instid0(VALU_DEP_1)
	v_add3_u32 v15, v24, v15, 0x7fff
                                        ; implicit-def: $vgpr24
; %bb.981:                              ;   in Loop: Header=BB12_915 Depth=3
	s_and_not1_saveexec_b32 s78, s13
; %bb.982:                              ;   in Loop: Header=BB12_915 Depth=3
	v_and_b32_e32 v15, 0xffff, v24
	v_or_b32_e32 v25, 0x10000, v24
	s_delay_alu instid0(VALU_DEP_2) | instskip(NEXT) | instid1(VALU_DEP_1)
	v_cmp_eq_u32_e64 s13, 0, v15
	v_cndmask_b32_e64 v15, v25, v24, s13
; %bb.983:                              ;   in Loop: Header=BB12_915 Depth=3
	s_or_b32 exec_lo, exec_lo, s78
	v_dual_lshrrev_b32 v21, 16, v21 :: v_dual_lshrrev_b32 v4, 16, v4
	v_dual_lshrrev_b32 v22, 16, v22 :: v_dual_lshrrev_b32 v23, 16, v23
	v_sub_nc_u32_e32 v6, v6, v60
	s_delay_alu instid0(VALU_DEP_3) | instskip(NEXT) | instid1(VALU_DEP_4)
	v_and_or_b32 v13, 0xffff0000, v13, v21
	v_and_or_b32 v12, 0xffff0000, v12, v4
	s_delay_alu instid0(VALU_DEP_4)
	v_and_or_b32 v14, 0xffff0000, v14, v22
	v_and_or_b32 v15, 0xffff0000, v15, v23
	global_store_b128 v[16:17], v[12:15], off th:TH_STORE_NT
	s_wait_xcnt 0x0
	v_add_nc_u64_e32 v[16:17], 0x200, v[16:17]
	s_and_saveexec_b32 s13, s77
	s_cbranch_execz .LBB12_914
; %bb.984:                              ;   in Loop: Header=BB12_915 Depth=3
	scratch_load_b64 v[12:13], off, s33 offset:256 ; 8-byte Folded Reload
	v_dual_sub_nc_u32 v6, v6, v60 :: v_dual_lshlrev_b32 v4, 9, v60
	s_delay_alu instid0(VALU_DEP_1)
	v_sub_nc_u32_e32 v7, v7, v4
	s_wait_loadcnt 0x0
	v_add_nc_u64_e32 v[18:19], v[18:19], v[12:13]
	v_add_nc_u64_e32 v[16:17], v[16:17], v[12:13]
	s_branch .LBB12_914
.LBB12_985:                             ;   in Loop: Header=BB12_57 Depth=2
	s_or_b32 exec_lo, exec_lo, s75
	s_delay_alu instid0(SALU_CYCLE_1)
	s_and_b32 s75, s76, exec_lo
.LBB12_986:                             ;   in Loop: Header=BB12_57 Depth=2
	s_or_b32 exec_lo, exec_lo, s74
	s_and_saveexec_b32 s74, s75
	s_cbranch_execz .LBB12_1020
; %bb.987:                              ;   in Loop: Header=BB12_57 Depth=2
	s_trap 2
	ds_load_b32 v4, v0
	s_wait_dscnt 0x0
	v_lshlrev_b32_e32 v13, 16, v4
	s_wait_loadcnt 0x0
	s_delay_alu instid0(VALU_DEP_1) | instskip(NEXT) | instid1(VALU_DEP_1)
	v_dual_lshlrev_b32 v12, 16, v8 :: v_dual_mov_b32 v4, v13
	v_pk_mul_f32 v[14:15], v[4:5], v[12:13]
	s_delay_alu instid0(VALU_DEP_1) | instskip(NEXT) | instid1(VALU_DEP_1)
	v_and_b32_e32 v4, 0x7f800000, v14
	v_cmp_ne_u32_e64 s13, 0x7f800000, v4
                                        ; implicit-def: $vgpr4
	s_and_saveexec_b32 s75, s13
	s_delay_alu instid0(SALU_CYCLE_1)
	s_xor_b32 s13, exec_lo, s75
; %bb.988:                              ;   in Loop: Header=BB12_57 Depth=2
	v_bfe_u32 v4, v14, 16, 1
	s_delay_alu instid0(VALU_DEP_1)
	v_add3_u32 v4, v14, v4, 0x7fff
                                        ; implicit-def: $vgpr14_vgpr15
; %bb.989:                              ;   in Loop: Header=BB12_57 Depth=2
	s_and_not1_saveexec_b32 s75, s13
; %bb.990:                              ;   in Loop: Header=BB12_57 Depth=2
	v_and_b32_e32 v4, 0xffff, v14
	v_or_b32_e32 v7, 0x10000, v14
	s_delay_alu instid0(VALU_DEP_2) | instskip(NEXT) | instid1(VALU_DEP_1)
	v_cmp_eq_u32_e64 s13, 0, v4
	v_cndmask_b32_e64 v4, v7, v14, s13
; %bb.991:                              ;   in Loop: Header=BB12_57 Depth=2
	s_or_b32 exec_lo, exec_lo, s75
	v_and_b32_e32 v7, 0xffff0000, v8
	s_delay_alu instid0(VALU_DEP_1) | instskip(NEXT) | instid1(VALU_DEP_1)
	v_mul_f32_e32 v8, v13, v7
	v_and_b32_e32 v7, 0x7f800000, v8
	s_delay_alu instid0(VALU_DEP_1) | instskip(SKIP_1) | instid1(SALU_CYCLE_1)
	v_cmp_ne_u32_e64 s13, 0x7f800000, v7
                                        ; implicit-def: $vgpr7
	s_and_saveexec_b32 s75, s13
	s_xor_b32 s13, exec_lo, s75
; %bb.992:                              ;   in Loop: Header=BB12_57 Depth=2
	v_bfe_u32 v7, v8, 16, 1
	s_delay_alu instid0(VALU_DEP_1)
	v_add3_u32 v7, v8, v7, 0x7fff
                                        ; implicit-def: $vgpr8
; %bb.993:                              ;   in Loop: Header=BB12_57 Depth=2
	s_and_not1_saveexec_b32 s75, s13
; %bb.994:                              ;   in Loop: Header=BB12_57 Depth=2
	v_and_b32_e32 v7, 0xffff, v8
	v_or_b32_e32 v12, 0x10000, v8
	s_delay_alu instid0(VALU_DEP_2) | instskip(NEXT) | instid1(VALU_DEP_1)
	v_cmp_eq_u32_e64 s13, 0, v7
	v_cndmask_b32_e64 v7, v12, v8, s13
; %bb.995:                              ;   in Loop: Header=BB12_57 Depth=2
	s_or_b32 exec_lo, exec_lo, s75
	v_lshlrev_b32_e32 v8, 16, v9
	s_delay_alu instid0(VALU_DEP_1) | instskip(NEXT) | instid1(VALU_DEP_1)
	v_mul_f32_e32 v12, v13, v8
	v_and_b32_e32 v8, 0x7f800000, v12
	s_delay_alu instid0(VALU_DEP_1) | instskip(SKIP_1) | instid1(SALU_CYCLE_1)
	v_cmp_ne_u32_e64 s13, 0x7f800000, v8
                                        ; implicit-def: $vgpr8
	s_and_saveexec_b32 s75, s13
	s_xor_b32 s13, exec_lo, s75
; %bb.996:                              ;   in Loop: Header=BB12_57 Depth=2
	v_bfe_u32 v8, v12, 16, 1
	s_delay_alu instid0(VALU_DEP_1)
	v_add3_u32 v8, v12, v8, 0x7fff
                                        ; implicit-def: $vgpr12
; %bb.997:                              ;   in Loop: Header=BB12_57 Depth=2
	s_and_not1_saveexec_b32 s75, s13
; %bb.998:                              ;   in Loop: Header=BB12_57 Depth=2
	v_and_b32_e32 v8, 0xffff, v12
	v_or_b32_e32 v14, 0x10000, v12
	s_delay_alu instid0(VALU_DEP_2) | instskip(NEXT) | instid1(VALU_DEP_1)
	v_cmp_eq_u32_e64 s13, 0, v8
	v_cndmask_b32_e64 v8, v14, v12, s13
; %bb.999:                              ;   in Loop: Header=BB12_57 Depth=2
	s_or_b32 exec_lo, exec_lo, s75
	v_and_b32_e32 v9, 0xffff0000, v9
	s_delay_alu instid0(VALU_DEP_1) | instskip(NEXT) | instid1(VALU_DEP_1)
	v_mul_f32_e32 v12, v13, v9
	v_and_b32_e32 v9, 0x7f800000, v12
	s_delay_alu instid0(VALU_DEP_1) | instskip(SKIP_1) | instid1(SALU_CYCLE_1)
	v_cmp_ne_u32_e64 s13, 0x7f800000, v9
                                        ; implicit-def: $vgpr9
	s_and_saveexec_b32 s75, s13
	s_xor_b32 s13, exec_lo, s75
; %bb.1000:                             ;   in Loop: Header=BB12_57 Depth=2
	v_bfe_u32 v9, v12, 16, 1
	s_delay_alu instid0(VALU_DEP_1)
	v_add3_u32 v9, v12, v9, 0x7fff
                                        ; implicit-def: $vgpr12
; %bb.1001:                             ;   in Loop: Header=BB12_57 Depth=2
	s_and_not1_saveexec_b32 s75, s13
; %bb.1002:                             ;   in Loop: Header=BB12_57 Depth=2
	v_and_b32_e32 v9, 0xffff, v12
	v_or_b32_e32 v14, 0x10000, v12
	s_delay_alu instid0(VALU_DEP_2) | instskip(NEXT) | instid1(VALU_DEP_1)
	v_cmp_eq_u32_e64 s13, 0, v9
	v_cndmask_b32_e64 v9, v14, v12, s13
; %bb.1003:                             ;   in Loop: Header=BB12_57 Depth=2
	s_or_b32 exec_lo, exec_lo, s75
	v_lshlrev_b32_e32 v12, 16, v10
	s_delay_alu instid0(VALU_DEP_1) | instskip(NEXT) | instid1(VALU_DEP_1)
	v_mul_f32_e32 v14, v13, v12
	v_and_b32_e32 v12, 0x7f800000, v14
	s_delay_alu instid0(VALU_DEP_1) | instskip(SKIP_1) | instid1(SALU_CYCLE_1)
	v_cmp_ne_u32_e64 s13, 0x7f800000, v12
                                        ; implicit-def: $vgpr12
	s_and_saveexec_b32 s75, s13
	s_xor_b32 s13, exec_lo, s75
; %bb.1004:                             ;   in Loop: Header=BB12_57 Depth=2
	v_bfe_u32 v12, v14, 16, 1
	s_delay_alu instid0(VALU_DEP_1)
	v_add3_u32 v12, v14, v12, 0x7fff
                                        ; implicit-def: $vgpr14
; %bb.1005:                             ;   in Loop: Header=BB12_57 Depth=2
	s_and_not1_saveexec_b32 s75, s13
; %bb.1006:                             ;   in Loop: Header=BB12_57 Depth=2
	v_and_b32_e32 v12, 0xffff, v14
	v_or_b32_e32 v15, 0x10000, v14
	s_delay_alu instid0(VALU_DEP_2) | instskip(NEXT) | instid1(VALU_DEP_1)
	v_cmp_eq_u32_e64 s13, 0, v12
	v_cndmask_b32_e64 v12, v15, v14, s13
; %bb.1007:                             ;   in Loop: Header=BB12_57 Depth=2
	s_or_b32 exec_lo, exec_lo, s75
	v_and_b32_e32 v10, 0xffff0000, v10
	s_delay_alu instid0(VALU_DEP_1) | instskip(NEXT) | instid1(VALU_DEP_1)
	v_mul_f32_e32 v14, v13, v10
	v_and_b32_e32 v10, 0x7f800000, v14
	s_delay_alu instid0(VALU_DEP_1) | instskip(SKIP_1) | instid1(SALU_CYCLE_1)
	v_cmp_ne_u32_e64 s13, 0x7f800000, v10
                                        ; implicit-def: $vgpr10
	s_and_saveexec_b32 s75, s13
	s_xor_b32 s13, exec_lo, s75
; %bb.1008:                             ;   in Loop: Header=BB12_57 Depth=2
	v_bfe_u32 v10, v14, 16, 1
	s_delay_alu instid0(VALU_DEP_1)
	v_add3_u32 v10, v14, v10, 0x7fff
                                        ; implicit-def: $vgpr14
; %bb.1009:                             ;   in Loop: Header=BB12_57 Depth=2
	s_and_not1_saveexec_b32 s75, s13
; %bb.1010:                             ;   in Loop: Header=BB12_57 Depth=2
	v_and_b32_e32 v10, 0xffff, v14
	v_or_b32_e32 v15, 0x10000, v14
	s_delay_alu instid0(VALU_DEP_2) | instskip(NEXT) | instid1(VALU_DEP_1)
	v_cmp_eq_u32_e64 s13, 0, v10
	v_cndmask_b32_e64 v10, v15, v14, s13
; %bb.1011:                             ;   in Loop: Header=BB12_57 Depth=2
	s_or_b32 exec_lo, exec_lo, s75
	v_lshlrev_b32_e32 v14, 16, v11
	s_delay_alu instid0(VALU_DEP_1) | instskip(NEXT) | instid1(VALU_DEP_1)
	v_mul_f32_e32 v15, v13, v14
	v_and_b32_e32 v14, 0x7f800000, v15
	s_delay_alu instid0(VALU_DEP_1) | instskip(SKIP_1) | instid1(SALU_CYCLE_1)
	v_cmp_ne_u32_e64 s13, 0x7f800000, v14
                                        ; implicit-def: $vgpr14
	s_and_saveexec_b32 s75, s13
	s_xor_b32 s13, exec_lo, s75
; %bb.1012:                             ;   in Loop: Header=BB12_57 Depth=2
	v_bfe_u32 v14, v15, 16, 1
	s_delay_alu instid0(VALU_DEP_1)
	v_add3_u32 v14, v15, v14, 0x7fff
                                        ; implicit-def: $vgpr15
; %bb.1013:                             ;   in Loop: Header=BB12_57 Depth=2
	s_and_not1_saveexec_b32 s75, s13
; %bb.1014:                             ;   in Loop: Header=BB12_57 Depth=2
	v_and_b32_e32 v14, 0xffff, v15
	v_or_b32_e32 v18, 0x10000, v15
	s_delay_alu instid0(VALU_DEP_2) | instskip(NEXT) | instid1(VALU_DEP_1)
	v_cmp_eq_u32_e64 s13, 0, v14
	v_cndmask_b32_e64 v14, v18, v15, s13
; %bb.1015:                             ;   in Loop: Header=BB12_57 Depth=2
	s_or_b32 exec_lo, exec_lo, s75
	v_and_b32_e32 v11, 0xffff0000, v11
	s_delay_alu instid0(VALU_DEP_1) | instskip(NEXT) | instid1(VALU_DEP_1)
	v_mul_f32_e32 v13, v13, v11
	v_and_b32_e32 v11, 0x7f800000, v13
	s_delay_alu instid0(VALU_DEP_1) | instskip(SKIP_1) | instid1(SALU_CYCLE_1)
	v_cmp_ne_u32_e64 s13, 0x7f800000, v11
                                        ; implicit-def: $vgpr11
	s_and_saveexec_b32 s75, s13
	s_xor_b32 s13, exec_lo, s75
; %bb.1016:                             ;   in Loop: Header=BB12_57 Depth=2
	v_bfe_u32 v11, v13, 16, 1
	s_delay_alu instid0(VALU_DEP_1)
	v_add3_u32 v11, v13, v11, 0x7fff
                                        ; implicit-def: $vgpr13
; %bb.1017:                             ;   in Loop: Header=BB12_57 Depth=2
	s_and_not1_saveexec_b32 s75, s13
; %bb.1018:                             ;   in Loop: Header=BB12_57 Depth=2
	v_and_b32_e32 v11, 0xffff, v13
	v_or_b32_e32 v15, 0x10000, v13
	s_delay_alu instid0(VALU_DEP_2) | instskip(NEXT) | instid1(VALU_DEP_1)
	v_cmp_eq_u32_e64 s13, 0, v11
	v_cndmask_b32_e64 v11, v15, v13, s13
; %bb.1019:                             ;   in Loop: Header=BB12_57 Depth=2
	s_or_b32 exec_lo, exec_lo, s75
	v_dual_lshrrev_b32 v8, 16, v8 :: v_dual_lshrrev_b32 v13, 16, v14
	v_lshrrev_b32_e32 v4, 16, v4
	v_lshrrev_b32_e32 v12, 16, v12
	s_delay_alu instid0(VALU_DEP_3) | instskip(NEXT) | instid1(VALU_DEP_4)
	v_and_or_b32 v9, 0xffff0000, v9, v8
	v_and_or_b32 v11, 0xffff0000, v11, v13
	s_delay_alu instid0(VALU_DEP_4) | instskip(NEXT) | instid1(VALU_DEP_4)
	v_and_or_b32 v8, 0xffff0000, v7, v4
	v_and_or_b32 v10, 0xffff0000, v10, v12
	global_store_b128 v[16:17], v[8:11], off th:TH_STORE_NT
.LBB12_1020:                            ;   in Loop: Header=BB12_57 Depth=2
	s_wait_xcnt 0x0
	s_or_b32 exec_lo, exec_lo, s74
	v_and_b32_e32 v7, 14, v103
	s_mov_b32 s75, s40
	s_mov_b32 s74, exec_lo
                                        ; implicit-def: $vgpr12
                                        ; implicit-def: $vgpr4
                                        ; implicit-def: $vgpr13
	s_delay_alu instid0(VALU_DEP_1) | instskip(NEXT) | instid1(VALU_DEP_1)
	v_cndmask_b32_e32 v103, v5, v7, vcc_lo
	v_cmpx_ne_u32_e32 0, v103
	s_cbranch_execz .LBB12_1022
; %bb.1021:                             ;   in Loop: Header=BB12_57 Depth=2
	v_cmp_lt_i32_e64 s13, 0, v6
	s_or_b32 s75, s40, exec_lo
	v_dual_sub_nc_u32 v5, v5, v7 :: v_dual_cndmask_b32 v4, 0, v60, s13
	s_delay_alu instid0(VALU_DEP_1) | instskip(NEXT) | instid1(VALU_DEP_1)
	v_dual_cndmask_b32 v5, 0, v5 :: v_dual_sub_nc_u32 v4, v4, v6
	v_add3_u32 v12, v2, v1, v5
	s_delay_alu instid0(VALU_DEP_2) | instskip(NEXT) | instid1(VALU_DEP_1)
	v_lshl_add_u32 v4, v4, 5, v0
	v_ashrrev_i32_e32 v0, 31, v4
	s_delay_alu instid0(VALU_DEP_1) | instskip(NEXT) | instid1(VALU_DEP_1)
	v_lshrrev_b32_e32 v0, 27, v0
	v_add_nc_u32_e32 v0, v4, v0
	s_delay_alu instid0(VALU_DEP_1) | instskip(NEXT) | instid1(VALU_DEP_1)
	v_and_b32_e32 v0, 0xffffffe0, v0
	v_sub_nc_u32_e32 v13, v4, v0
.LBB12_1022:                            ;   in Loop: Header=BB12_57 Depth=2
	s_or_b32 exec_lo, exec_lo, s74
	s_delay_alu instid0(SALU_CYCLE_1) | instskip(SKIP_1) | instid1(SALU_CYCLE_1)
	s_and_not1_b32 s13, s40, exec_lo
	s_and_b32 s40, s75, exec_lo
	s_or_b32 s40, s13, s40
.LBB12_1023:                            ;   in Loop: Header=BB12_57 Depth=2
	s_or_b32 exec_lo, exec_lo, s41
	s_and_saveexec_b32 s13, s40
	s_cbranch_execz .LBB12_1248
.LBB12_1024:                            ;   in Loop: Header=BB12_57 Depth=2
	s_wait_loadcnt 0x1
	v_dual_ashrrev_i32 v0, 31, v4 :: v_dual_ashrrev_i32 v1, 31, v103
	v_dual_mov_b32 v33, 0 :: v_dual_mov_b32 v31, 0
	s_delay_alu instid0(VALU_DEP_2) | instskip(SKIP_3) | instid1(VALU_DEP_3)
	v_dual_mov_b32 v27, 0 :: v_dual_lshrrev_b32 v0, 27, v0
	s_wait_loadcnt 0x0
	v_dual_lshlrev_b32 v2, 1, v13 :: v_dual_mov_b32 v24, 0
	v_dual_mov_b32 v22, 0 :: v_dual_mov_b32 v20, 0
	v_dual_mov_b32 v18, 0 :: v_dual_add_nc_u32 v0, v4, v0
	v_dual_mov_b32 v35, 0 :: v_dual_lshrrev_b32 v1, 22, v1
	v_dual_mov_b32 v4, 0 :: v_dual_mov_b32 v17, 0
	s_delay_alu instid0(VALU_DEP_3) | instskip(NEXT) | instid1(VALU_DEP_3)
	v_dual_mov_b32 v7, 0 :: v_dual_ashrrev_i32 v0, 5, v0
	v_dual_mov_b32 v28, 0 :: v_dual_add_nc_u32 v1, v103, v1
	v_dual_mov_b32 v29, 0 :: v_dual_mov_b32 v26, 0
	s_delay_alu instid0(VALU_DEP_3) | instskip(SKIP_1) | instid1(VALU_DEP_3)
	v_lshlrev_b32_e32 v5, 10, v0
	s_mov_b32 s41, 0
	v_dual_mov_b32 v1, 0 :: v_dual_ashrrev_i32 v14, 10, v1
	s_mov_b32 s40, exec_lo
	s_delay_alu instid0(VALU_DEP_2) | instskip(NEXT) | instid1(VALU_DEP_2)
	v_add3_u32 v10, v12, v2, v5
	v_dual_sub_nc_u32 v2, v14, v0 :: v_dual_mov_b32 v0, 0
	s_delay_alu instid0(VALU_DEP_2) | instskip(NEXT) | instid1(VALU_DEP_1)
	v_ashrrev_i32_e32 v11, 31, v10
	v_add_nc_u64_e32 v[8:9], v[118:119], v[10:11]
	s_delay_alu instid0(VALU_DEP_3)
	v_cmpx_lt_i32_e32 0, v2
	s_cbranch_execz .LBB12_1160
; %bb.1025:                             ;   in Loop: Header=BB12_57 Depth=2
	s_trap 2
	ds_load_b32 v0, v0
	v_add_nc_u64_e32 v[10:11], v[10:11], v[42:43]
	s_mov_b32 s75, 0
	s_mov_b32 s74, 0
                                        ; implicit-def: $sgpr41
                                        ; implicit-def: $vgpr48
                                        ; implicit-def: $vgpr38
                                        ; implicit-def: $vgpr36
                                        ; implicit-def: $vgpr34
                                        ; implicit-def: $vgpr32
                                        ; implicit-def: $vgpr30
                                        ; implicit-def: $vgpr7
                                        ; implicit-def: $vgpr25
                                        ; implicit-def: $vgpr23
                                        ; implicit-def: $vgpr21
                                        ; implicit-def: $vgpr19
                                        ; implicit-def: $vgpr17
                                        ; implicit-def: $vgpr16
                                        ; implicit-def: $vgpr15
                                        ; implicit-def: $vgpr5
	s_wait_dscnt 0x0
	v_lshlrev_b32_e32 v1, 16, v0
                                        ; implicit-def: $vgpr0
	s_branch .LBB12_1027
.LBB12_1026:                            ;   in Loop: Header=BB12_1027 Depth=3
	s_or_b32 exec_lo, exec_lo, s76
	v_cndmask_b32_e64 v28, 0, v60, s75
	s_clause 0x7
	flat_store_d16_hi_b16 v[8:9], v51 th:TH_STORE_NT
	flat_store_d16_hi_b16 v[8:9], v50 offset:64 th:TH_STORE_NT
	flat_store_d16_hi_b16 v[8:9], v49 offset:128 th:TH_STORE_NT
	;; [unrolled: 1-line block ×7, first 2 shown]
	s_wait_xcnt 0x6
	v_dual_cndmask_b32 v51, 0, v89, s75 :: v_dual_cndmask_b32 v50, 0, v88, s75
	v_cndmask_b32_e64 v52, 0x400, v108, s75
	v_dual_sub_nc_u32 v2, v2, v28 :: v_dual_cndmask_b32 v53, 0, v109, s75
	s_clause 0x7
	flat_store_d16_hi_b16 v[8:9], v29 offset:512 th:TH_STORE_NT
	flat_store_d16_hi_b16 v[8:9], v27 offset:576 th:TH_STORE_NT
	;; [unrolled: 1-line block ×8, first 2 shown]
	v_add_nc_u64_e32 v[10:11], v[10:11], v[50:51]
	v_cmp_gt_i32_e32 vcc_lo, 1, v2
	s_wait_xcnt 0x0
	v_add_nc_u64_e32 v[8:9], v[8:9], v[52:53]
	s_or_b32 s74, vcc_lo, s74
	s_and_not1_b32 s41, s41, exec_lo
	s_and_b32 s76, s75, exec_lo
	s_delay_alu instid0(SALU_CYCLE_1)
	s_or_b32 s41, s41, s76
	s_and_not1_b32 exec_lo, exec_lo, s74
	s_cbranch_execz .LBB12_1159
.LBB12_1027:                            ;   Parent Loop BB12_47 Depth=1
                                        ;     Parent Loop BB12_57 Depth=2
                                        ; =>    This Inner Loop Header: Depth=3
	s_clause 0xf
	flat_load_u16 v51, v[10:11] th:TH_LOAD_NT
	flat_load_u16 v50, v[10:11] offset:64 th:TH_LOAD_NT
	flat_load_u16 v49, v[10:11] offset:128 th:TH_LOAD_NT
	;; [unrolled: 1-line block ×15, first 2 shown]
	s_wait_xcnt 0x0
	s_and_saveexec_b32 s76, s75
	s_cbranch_execz .LBB12_1093
; %bb.1028:                             ;   in Loop: Header=BB12_1027 Depth=3
	v_lshlrev_b32_e32 v4, 16, v48
	s_mov_b32 s75, exec_lo
                                        ; implicit-def: $vgpr48
	s_delay_alu instid0(VALU_DEP_1) | instskip(NEXT) | instid1(VALU_DEP_1)
	v_mul_f32_e32 v4, v1, v4
	v_and_b32_e32 v28, 0x7f800000, v4
	s_delay_alu instid0(VALU_DEP_1)
	v_cmpx_ne_u32_e32 0x7f800000, v28
	s_xor_b32 s75, exec_lo, s75
; %bb.1029:                             ;   in Loop: Header=BB12_1027 Depth=3
	v_bfe_u32 v28, v4, 16, 1
	s_delay_alu instid0(VALU_DEP_1)
	v_add3_u32 v48, v4, v28, 0x7fff
                                        ; implicit-def: $vgpr4
; %bb.1030:                             ;   in Loop: Header=BB12_1027 Depth=3
	s_and_not1_saveexec_b32 s75, s75
; %bb.1031:                             ;   in Loop: Header=BB12_1027 Depth=3
	v_and_b32_e32 v28, 0xffff, v4
	v_or_b32_e32 v48, 0x10000, v4
	s_delay_alu instid0(VALU_DEP_2) | instskip(NEXT) | instid1(VALU_DEP_2)
	v_cmp_eq_u32_e32 vcc_lo, 0, v28
	v_cndmask_b32_e32 v48, v48, v4, vcc_lo
; %bb.1032:                             ;   in Loop: Header=BB12_1027 Depth=3
	s_or_b32 exec_lo, exec_lo, s75
	v_lshlrev_b32_e32 v4, 16, v38
	s_mov_b32 s75, exec_lo
                                        ; implicit-def: $vgpr38
	s_delay_alu instid0(VALU_DEP_1) | instskip(NEXT) | instid1(VALU_DEP_1)
	v_mul_f32_e32 v4, v1, v4
	v_and_b32_e32 v28, 0x7f800000, v4
	s_delay_alu instid0(VALU_DEP_1)
	v_cmpx_ne_u32_e32 0x7f800000, v28
	s_xor_b32 s75, exec_lo, s75
; %bb.1033:                             ;   in Loop: Header=BB12_1027 Depth=3
	v_bfe_u32 v28, v4, 16, 1
	s_delay_alu instid0(VALU_DEP_1)
	v_add3_u32 v38, v4, v28, 0x7fff
                                        ; implicit-def: $vgpr4
; %bb.1034:                             ;   in Loop: Header=BB12_1027 Depth=3
	s_and_not1_saveexec_b32 s75, s75
; %bb.1035:                             ;   in Loop: Header=BB12_1027 Depth=3
	v_and_b32_e32 v28, 0xffff, v4
	v_or_b32_e32 v38, 0x10000, v4
	s_delay_alu instid0(VALU_DEP_2) | instskip(NEXT) | instid1(VALU_DEP_2)
	v_cmp_eq_u32_e32 vcc_lo, 0, v28
	v_cndmask_b32_e32 v38, v38, v4, vcc_lo
; %bb.1036:                             ;   in Loop: Header=BB12_1027 Depth=3
	s_or_b32 exec_lo, exec_lo, s75
	v_lshlrev_b32_e32 v4, 16, v36
	s_mov_b32 s75, exec_lo
                                        ; implicit-def: $vgpr36
	s_delay_alu instid0(VALU_DEP_1) | instskip(NEXT) | instid1(VALU_DEP_1)
	v_mul_f32_e32 v4, v1, v4
	v_and_b32_e32 v28, 0x7f800000, v4
	s_delay_alu instid0(VALU_DEP_1)
	v_cmpx_ne_u32_e32 0x7f800000, v28
	s_xor_b32 s75, exec_lo, s75
; %bb.1037:                             ;   in Loop: Header=BB12_1027 Depth=3
	v_bfe_u32 v28, v4, 16, 1
	s_delay_alu instid0(VALU_DEP_1)
	v_add3_u32 v36, v4, v28, 0x7fff
                                        ; implicit-def: $vgpr4
; %bb.1038:                             ;   in Loop: Header=BB12_1027 Depth=3
	s_and_not1_saveexec_b32 s75, s75
; %bb.1039:                             ;   in Loop: Header=BB12_1027 Depth=3
	v_and_b32_e32 v28, 0xffff, v4
	v_or_b32_e32 v36, 0x10000, v4
	s_delay_alu instid0(VALU_DEP_2) | instskip(NEXT) | instid1(VALU_DEP_2)
	v_cmp_eq_u32_e32 vcc_lo, 0, v28
	v_cndmask_b32_e32 v36, v36, v4, vcc_lo
; %bb.1040:                             ;   in Loop: Header=BB12_1027 Depth=3
	s_or_b32 exec_lo, exec_lo, s75
	v_lshlrev_b32_e32 v4, 16, v34
	s_mov_b32 s75, exec_lo
                                        ; implicit-def: $vgpr34
	s_delay_alu instid0(VALU_DEP_1) | instskip(NEXT) | instid1(VALU_DEP_1)
	v_mul_f32_e32 v4, v1, v4
	v_and_b32_e32 v28, 0x7f800000, v4
	s_delay_alu instid0(VALU_DEP_1)
	v_cmpx_ne_u32_e32 0x7f800000, v28
	s_xor_b32 s75, exec_lo, s75
; %bb.1041:                             ;   in Loop: Header=BB12_1027 Depth=3
	v_bfe_u32 v28, v4, 16, 1
	s_delay_alu instid0(VALU_DEP_1)
	v_add3_u32 v34, v4, v28, 0x7fff
                                        ; implicit-def: $vgpr4
; %bb.1042:                             ;   in Loop: Header=BB12_1027 Depth=3
	s_and_not1_saveexec_b32 s75, s75
; %bb.1043:                             ;   in Loop: Header=BB12_1027 Depth=3
	v_and_b32_e32 v28, 0xffff, v4
	v_or_b32_e32 v34, 0x10000, v4
	s_delay_alu instid0(VALU_DEP_2) | instskip(NEXT) | instid1(VALU_DEP_2)
	v_cmp_eq_u32_e32 vcc_lo, 0, v28
	v_cndmask_b32_e32 v34, v34, v4, vcc_lo
; %bb.1044:                             ;   in Loop: Header=BB12_1027 Depth=3
	s_or_b32 exec_lo, exec_lo, s75
	v_lshlrev_b32_e32 v4, 16, v32
	s_mov_b32 s75, exec_lo
                                        ; implicit-def: $vgpr32
	s_delay_alu instid0(VALU_DEP_1) | instskip(NEXT) | instid1(VALU_DEP_1)
	v_mul_f32_e32 v4, v1, v4
	v_and_b32_e32 v28, 0x7f800000, v4
	s_delay_alu instid0(VALU_DEP_1)
	v_cmpx_ne_u32_e32 0x7f800000, v28
	s_xor_b32 s75, exec_lo, s75
; %bb.1045:                             ;   in Loop: Header=BB12_1027 Depth=3
	v_bfe_u32 v28, v4, 16, 1
	s_delay_alu instid0(VALU_DEP_1)
	v_add3_u32 v32, v4, v28, 0x7fff
                                        ; implicit-def: $vgpr4
; %bb.1046:                             ;   in Loop: Header=BB12_1027 Depth=3
	s_and_not1_saveexec_b32 s75, s75
; %bb.1047:                             ;   in Loop: Header=BB12_1027 Depth=3
	v_and_b32_e32 v28, 0xffff, v4
	v_or_b32_e32 v32, 0x10000, v4
	s_delay_alu instid0(VALU_DEP_2) | instskip(NEXT) | instid1(VALU_DEP_2)
	v_cmp_eq_u32_e32 vcc_lo, 0, v28
	v_cndmask_b32_e32 v32, v32, v4, vcc_lo
; %bb.1048:                             ;   in Loop: Header=BB12_1027 Depth=3
	s_or_b32 exec_lo, exec_lo, s75
	v_lshlrev_b32_e32 v4, 16, v30
	s_mov_b32 s75, exec_lo
                                        ; implicit-def: $vgpr30
	s_delay_alu instid0(VALU_DEP_1) | instskip(NEXT) | instid1(VALU_DEP_1)
	v_mul_f32_e32 v4, v1, v4
	v_and_b32_e32 v28, 0x7f800000, v4
	s_delay_alu instid0(VALU_DEP_1)
	v_cmpx_ne_u32_e32 0x7f800000, v28
	s_xor_b32 s75, exec_lo, s75
; %bb.1049:                             ;   in Loop: Header=BB12_1027 Depth=3
	v_bfe_u32 v28, v4, 16, 1
	s_delay_alu instid0(VALU_DEP_1)
	v_add3_u32 v30, v4, v28, 0x7fff
                                        ; implicit-def: $vgpr4
; %bb.1050:                             ;   in Loop: Header=BB12_1027 Depth=3
	s_and_not1_saveexec_b32 s75, s75
; %bb.1051:                             ;   in Loop: Header=BB12_1027 Depth=3
	v_and_b32_e32 v28, 0xffff, v4
	v_or_b32_e32 v30, 0x10000, v4
	s_delay_alu instid0(VALU_DEP_2) | instskip(NEXT) | instid1(VALU_DEP_2)
	v_cmp_eq_u32_e32 vcc_lo, 0, v28
	v_cndmask_b32_e32 v30, v30, v4, vcc_lo
; %bb.1052:                             ;   in Loop: Header=BB12_1027 Depth=3
	s_or_b32 exec_lo, exec_lo, s75
	v_lshlrev_b32_e32 v4, 16, v7
	s_delay_alu instid0(VALU_DEP_1) | instskip(NEXT) | instid1(VALU_DEP_1)
	v_mul_f32_e32 v4, v1, v4
	v_and_b32_e32 v7, 0x7f800000, v4
	s_delay_alu instid0(VALU_DEP_1) | instskip(SKIP_1) | instid1(SALU_CYCLE_1)
	v_cmp_ne_u32_e32 vcc_lo, 0x7f800000, v7
                                        ; implicit-def: $vgpr7
	s_and_saveexec_b32 s75, vcc_lo
	s_xor_b32 s75, exec_lo, s75
; %bb.1053:                             ;   in Loop: Header=BB12_1027 Depth=3
	v_bfe_u32 v7, v4, 16, 1
	s_delay_alu instid0(VALU_DEP_1)
	v_add3_u32 v7, v4, v7, 0x7fff
                                        ; implicit-def: $vgpr4
; %bb.1054:                             ;   in Loop: Header=BB12_1027 Depth=3
	s_and_not1_saveexec_b32 s75, s75
; %bb.1055:                             ;   in Loop: Header=BB12_1027 Depth=3
	v_and_b32_e32 v7, 0xffff, v4
	v_or_b32_e32 v28, 0x10000, v4
	s_delay_alu instid0(VALU_DEP_2) | instskip(NEXT) | instid1(VALU_DEP_2)
	v_cmp_eq_u32_e32 vcc_lo, 0, v7
	v_cndmask_b32_e32 v7, v28, v4, vcc_lo
; %bb.1056:                             ;   in Loop: Header=BB12_1027 Depth=3
	s_or_b32 exec_lo, exec_lo, s75
	v_lshlrev_b32_e32 v0, 16, v0
	s_delay_alu instid0(VALU_DEP_1) | instskip(NEXT) | instid1(VALU_DEP_1)
	v_mul_f32_e32 v4, v1, v0
	v_and_b32_e32 v0, 0x7f800000, v4
	s_delay_alu instid0(VALU_DEP_1) | instskip(SKIP_1) | instid1(SALU_CYCLE_1)
	v_cmp_ne_u32_e32 vcc_lo, 0x7f800000, v0
                                        ; implicit-def: $vgpr0
	s_and_saveexec_b32 s75, vcc_lo
	s_xor_b32 s75, exec_lo, s75
; %bb.1057:                             ;   in Loop: Header=BB12_1027 Depth=3
	v_bfe_u32 v0, v4, 16, 1
	s_delay_alu instid0(VALU_DEP_1)
	v_add3_u32 v0, v4, v0, 0x7fff
                                        ; implicit-def: $vgpr4
; %bb.1058:                             ;   in Loop: Header=BB12_1027 Depth=3
	s_and_not1_saveexec_b32 s75, s75
; %bb.1059:                             ;   in Loop: Header=BB12_1027 Depth=3
	v_and_b32_e32 v0, 0xffff, v4
	v_or_b32_e32 v28, 0x10000, v4
	s_delay_alu instid0(VALU_DEP_2) | instskip(NEXT) | instid1(VALU_DEP_2)
	v_cmp_eq_u32_e32 vcc_lo, 0, v0
	v_cndmask_b32_e32 v0, v28, v4, vcc_lo
; %bb.1060:                             ;   in Loop: Header=BB12_1027 Depth=3
	s_or_b32 exec_lo, exec_lo, s75
	v_lshlrev_b32_e32 v4, 16, v25
	s_delay_alu instid0(VALU_DEP_1) | instskip(NEXT) | instid1(VALU_DEP_1)
	v_mul_f32_e32 v25, v1, v4
	v_and_b32_e32 v4, 0x7f800000, v25
	s_delay_alu instid0(VALU_DEP_1) | instskip(SKIP_1) | instid1(SALU_CYCLE_1)
	v_cmp_ne_u32_e32 vcc_lo, 0x7f800000, v4
                                        ; implicit-def: $vgpr4
	s_and_saveexec_b32 s75, vcc_lo
	s_xor_b32 s75, exec_lo, s75
; %bb.1061:                             ;   in Loop: Header=BB12_1027 Depth=3
	v_bfe_u32 v4, v25, 16, 1
	s_delay_alu instid0(VALU_DEP_1)
	v_add3_u32 v4, v25, v4, 0x7fff
                                        ; implicit-def: $vgpr25
; %bb.1062:                             ;   in Loop: Header=BB12_1027 Depth=3
	s_and_not1_saveexec_b32 s75, s75
; %bb.1063:                             ;   in Loop: Header=BB12_1027 Depth=3
	v_and_b32_e32 v4, 0xffff, v25
	v_or_b32_e32 v28, 0x10000, v25
	s_delay_alu instid0(VALU_DEP_2) | instskip(NEXT) | instid1(VALU_DEP_2)
	v_cmp_eq_u32_e32 vcc_lo, 0, v4
	v_cndmask_b32_e32 v4, v28, v25, vcc_lo
; %bb.1064:                             ;   in Loop: Header=BB12_1027 Depth=3
	s_or_b32 exec_lo, exec_lo, s75
	v_lshlrev_b32_e32 v23, 16, v23
	s_delay_alu instid0(VALU_DEP_1) | instskip(NEXT) | instid1(VALU_DEP_1)
	v_mul_f32_e32 v25, v1, v23
	v_and_b32_e32 v23, 0x7f800000, v25
	s_delay_alu instid0(VALU_DEP_1) | instskip(SKIP_1) | instid1(SALU_CYCLE_1)
	v_cmp_ne_u32_e32 vcc_lo, 0x7f800000, v23
                                        ; implicit-def: $vgpr23
	s_and_saveexec_b32 s75, vcc_lo
	s_xor_b32 s75, exec_lo, s75
; %bb.1065:                             ;   in Loop: Header=BB12_1027 Depth=3
	v_bfe_u32 v23, v25, 16, 1
	s_delay_alu instid0(VALU_DEP_1)
	v_add3_u32 v23, v25, v23, 0x7fff
                                        ; implicit-def: $vgpr25
; %bb.1066:                             ;   in Loop: Header=BB12_1027 Depth=3
	s_and_not1_saveexec_b32 s75, s75
; %bb.1067:                             ;   in Loop: Header=BB12_1027 Depth=3
	v_and_b32_e32 v23, 0xffff, v25
	v_or_b32_e32 v28, 0x10000, v25
	s_delay_alu instid0(VALU_DEP_2) | instskip(NEXT) | instid1(VALU_DEP_2)
	v_cmp_eq_u32_e32 vcc_lo, 0, v23
	v_cndmask_b32_e32 v23, v28, v25, vcc_lo
; %bb.1068:                             ;   in Loop: Header=BB12_1027 Depth=3
	s_or_b32 exec_lo, exec_lo, s75
	v_lshlrev_b32_e32 v21, 16, v21
	s_delay_alu instid0(VALU_DEP_1) | instskip(NEXT) | instid1(VALU_DEP_1)
	v_mul_f32_e32 v25, v1, v21
	v_and_b32_e32 v21, 0x7f800000, v25
	s_delay_alu instid0(VALU_DEP_1) | instskip(SKIP_1) | instid1(SALU_CYCLE_1)
	v_cmp_ne_u32_e32 vcc_lo, 0x7f800000, v21
                                        ; implicit-def: $vgpr21
	s_and_saveexec_b32 s75, vcc_lo
	s_xor_b32 s75, exec_lo, s75
; %bb.1069:                             ;   in Loop: Header=BB12_1027 Depth=3
	v_bfe_u32 v21, v25, 16, 1
	s_delay_alu instid0(VALU_DEP_1)
	v_add3_u32 v21, v25, v21, 0x7fff
                                        ; implicit-def: $vgpr25
; %bb.1070:                             ;   in Loop: Header=BB12_1027 Depth=3
	s_and_not1_saveexec_b32 s75, s75
; %bb.1071:                             ;   in Loop: Header=BB12_1027 Depth=3
	v_and_b32_e32 v21, 0xffff, v25
	v_or_b32_e32 v28, 0x10000, v25
	s_delay_alu instid0(VALU_DEP_2) | instskip(NEXT) | instid1(VALU_DEP_2)
	v_cmp_eq_u32_e32 vcc_lo, 0, v21
	v_cndmask_b32_e32 v21, v28, v25, vcc_lo
; %bb.1072:                             ;   in Loop: Header=BB12_1027 Depth=3
	s_or_b32 exec_lo, exec_lo, s75
	v_lshlrev_b32_e32 v19, 16, v19
	s_delay_alu instid0(VALU_DEP_1) | instskip(NEXT) | instid1(VALU_DEP_1)
	v_mul_f32_e32 v25, v1, v19
	v_and_b32_e32 v19, 0x7f800000, v25
	s_delay_alu instid0(VALU_DEP_1) | instskip(SKIP_1) | instid1(SALU_CYCLE_1)
	v_cmp_ne_u32_e32 vcc_lo, 0x7f800000, v19
                                        ; implicit-def: $vgpr19
	s_and_saveexec_b32 s75, vcc_lo
	s_xor_b32 s75, exec_lo, s75
; %bb.1073:                             ;   in Loop: Header=BB12_1027 Depth=3
	v_bfe_u32 v19, v25, 16, 1
	s_delay_alu instid0(VALU_DEP_1)
	v_add3_u32 v19, v25, v19, 0x7fff
                                        ; implicit-def: $vgpr25
; %bb.1074:                             ;   in Loop: Header=BB12_1027 Depth=3
	s_and_not1_saveexec_b32 s75, s75
; %bb.1075:                             ;   in Loop: Header=BB12_1027 Depth=3
	v_and_b32_e32 v19, 0xffff, v25
	v_or_b32_e32 v28, 0x10000, v25
	s_delay_alu instid0(VALU_DEP_2) | instskip(NEXT) | instid1(VALU_DEP_2)
	v_cmp_eq_u32_e32 vcc_lo, 0, v19
	v_cndmask_b32_e32 v19, v28, v25, vcc_lo
; %bb.1076:                             ;   in Loop: Header=BB12_1027 Depth=3
	s_or_b32 exec_lo, exec_lo, s75
	v_lshlrev_b32_e32 v17, 16, v17
	s_delay_alu instid0(VALU_DEP_1) | instskip(NEXT) | instid1(VALU_DEP_1)
	v_mul_f32_e32 v25, v1, v17
	v_and_b32_e32 v17, 0x7f800000, v25
	s_delay_alu instid0(VALU_DEP_1) | instskip(SKIP_1) | instid1(SALU_CYCLE_1)
	v_cmp_ne_u32_e32 vcc_lo, 0x7f800000, v17
                                        ; implicit-def: $vgpr17
	s_and_saveexec_b32 s75, vcc_lo
	s_xor_b32 s75, exec_lo, s75
; %bb.1077:                             ;   in Loop: Header=BB12_1027 Depth=3
	v_bfe_u32 v17, v25, 16, 1
	s_delay_alu instid0(VALU_DEP_1)
	v_add3_u32 v17, v25, v17, 0x7fff
                                        ; implicit-def: $vgpr25
; %bb.1078:                             ;   in Loop: Header=BB12_1027 Depth=3
	s_and_not1_saveexec_b32 s75, s75
; %bb.1079:                             ;   in Loop: Header=BB12_1027 Depth=3
	v_and_b32_e32 v17, 0xffff, v25
	v_or_b32_e32 v28, 0x10000, v25
	s_delay_alu instid0(VALU_DEP_2) | instskip(NEXT) | instid1(VALU_DEP_2)
	v_cmp_eq_u32_e32 vcc_lo, 0, v17
	v_cndmask_b32_e32 v17, v28, v25, vcc_lo
; %bb.1080:                             ;   in Loop: Header=BB12_1027 Depth=3
	s_or_b32 exec_lo, exec_lo, s75
	v_lshlrev_b32_e32 v16, 16, v16
	s_delay_alu instid0(VALU_DEP_1) | instskip(NEXT) | instid1(VALU_DEP_1)
	v_mul_f32_e32 v25, v1, v16
	v_and_b32_e32 v16, 0x7f800000, v25
	s_delay_alu instid0(VALU_DEP_1) | instskip(SKIP_1) | instid1(SALU_CYCLE_1)
	v_cmp_ne_u32_e32 vcc_lo, 0x7f800000, v16
                                        ; implicit-def: $vgpr16
	s_and_saveexec_b32 s75, vcc_lo
	s_xor_b32 s75, exec_lo, s75
; %bb.1081:                             ;   in Loop: Header=BB12_1027 Depth=3
	v_bfe_u32 v16, v25, 16, 1
	s_delay_alu instid0(VALU_DEP_1)
	v_add3_u32 v16, v25, v16, 0x7fff
                                        ; implicit-def: $vgpr25
; %bb.1082:                             ;   in Loop: Header=BB12_1027 Depth=3
	s_and_not1_saveexec_b32 s75, s75
; %bb.1083:                             ;   in Loop: Header=BB12_1027 Depth=3
	v_and_b32_e32 v16, 0xffff, v25
	v_or_b32_e32 v28, 0x10000, v25
	s_delay_alu instid0(VALU_DEP_2) | instskip(NEXT) | instid1(VALU_DEP_2)
	v_cmp_eq_u32_e32 vcc_lo, 0, v16
	v_cndmask_b32_e32 v16, v28, v25, vcc_lo
; %bb.1084:                             ;   in Loop: Header=BB12_1027 Depth=3
	s_or_b32 exec_lo, exec_lo, s75
	v_lshlrev_b32_e32 v15, 16, v15
	s_delay_alu instid0(VALU_DEP_1) | instskip(NEXT) | instid1(VALU_DEP_1)
	v_mul_f32_e32 v25, v1, v15
	v_and_b32_e32 v15, 0x7f800000, v25
	s_delay_alu instid0(VALU_DEP_1) | instskip(SKIP_1) | instid1(SALU_CYCLE_1)
	v_cmp_ne_u32_e32 vcc_lo, 0x7f800000, v15
                                        ; implicit-def: $vgpr15
	s_and_saveexec_b32 s75, vcc_lo
	s_xor_b32 s75, exec_lo, s75
; %bb.1085:                             ;   in Loop: Header=BB12_1027 Depth=3
	v_bfe_u32 v15, v25, 16, 1
	s_delay_alu instid0(VALU_DEP_1)
	v_add3_u32 v15, v25, v15, 0x7fff
                                        ; implicit-def: $vgpr25
; %bb.1086:                             ;   in Loop: Header=BB12_1027 Depth=3
	s_and_not1_saveexec_b32 s75, s75
; %bb.1087:                             ;   in Loop: Header=BB12_1027 Depth=3
	v_and_b32_e32 v15, 0xffff, v25
	v_or_b32_e32 v28, 0x10000, v25
	s_delay_alu instid0(VALU_DEP_2) | instskip(NEXT) | instid1(VALU_DEP_2)
	v_cmp_eq_u32_e32 vcc_lo, 0, v15
	v_cndmask_b32_e32 v15, v28, v25, vcc_lo
; %bb.1088:                             ;   in Loop: Header=BB12_1027 Depth=3
	s_or_b32 exec_lo, exec_lo, s75
	v_lshlrev_b32_e32 v5, 16, v5
	s_delay_alu instid0(VALU_DEP_1) | instskip(NEXT) | instid1(VALU_DEP_1)
	v_mul_f32_e32 v25, v1, v5
	v_and_b32_e32 v5, 0x7f800000, v25
	s_delay_alu instid0(VALU_DEP_1) | instskip(SKIP_1) | instid1(SALU_CYCLE_1)
	v_cmp_ne_u32_e32 vcc_lo, 0x7f800000, v5
                                        ; implicit-def: $vgpr5
	s_and_saveexec_b32 s75, vcc_lo
	s_xor_b32 s75, exec_lo, s75
; %bb.1089:                             ;   in Loop: Header=BB12_1027 Depth=3
	v_bfe_u32 v5, v25, 16, 1
	s_delay_alu instid0(VALU_DEP_1)
	v_add3_u32 v5, v25, v5, 0x7fff
                                        ; implicit-def: $vgpr25
; %bb.1090:                             ;   in Loop: Header=BB12_1027 Depth=3
	s_and_not1_saveexec_b32 s75, s75
; %bb.1091:                             ;   in Loop: Header=BB12_1027 Depth=3
	v_and_b32_e32 v5, 0xffff, v25
	v_or_b32_e32 v28, 0x10000, v25
	s_delay_alu instid0(VALU_DEP_2) | instskip(NEXT) | instid1(VALU_DEP_2)
	v_cmp_eq_u32_e32 vcc_lo, 0, v5
	v_cndmask_b32_e32 v5, v28, v25, vcc_lo
; %bb.1092:                             ;   in Loop: Header=BB12_1027 Depth=3
	s_or_b32 exec_lo, exec_lo, s75
	v_dual_lshrrev_b32 v48, 16, v48 :: v_dual_lshrrev_b32 v34, 16, v34
	v_dual_lshrrev_b32 v32, 16, v32 :: v_dual_lshrrev_b32 v38, 16, v38
	s_delay_alu instid0(VALU_DEP_3)
	v_dual_lshrrev_b32 v36, 16, v36 :: v_dual_lshrrev_b32 v5, 16, v5
	v_dual_lshrrev_b32 v15, 16, v15 :: v_dual_lshrrev_b32 v16, 16, v16
	;; [unrolled: 1-line block ×6, first 2 shown]
	s_clause 0xf
	flat_store_b16 v[8:9], v48 th:TH_STORE_NT
	flat_store_b16 v[8:9], v38 offset:64 th:TH_STORE_NT
	flat_store_b16 v[8:9], v36 offset:128 th:TH_STORE_NT
	flat_store_b16 v[8:9], v34 offset:192 th:TH_STORE_NT
	flat_store_b16 v[8:9], v32 offset:256 th:TH_STORE_NT
	flat_store_b16 v[8:9], v30 offset:320 th:TH_STORE_NT
	flat_store_b16 v[8:9], v7 offset:384 th:TH_STORE_NT
	flat_store_b16 v[8:9], v0 offset:448 th:TH_STORE_NT
	flat_store_b16 v[8:9], v25 offset:512 th:TH_STORE_NT
	flat_store_b16 v[8:9], v23 offset:576 th:TH_STORE_NT
	flat_store_b16 v[8:9], v21 offset:640 th:TH_STORE_NT
	flat_store_b16 v[8:9], v19 offset:704 th:TH_STORE_NT
	flat_store_b16 v[8:9], v17 offset:768 th:TH_STORE_NT
	flat_store_b16 v[8:9], v16 offset:832 th:TH_STORE_NT
	flat_store_b16 v[8:9], v15 offset:896 th:TH_STORE_NT
	flat_store_b16 v[8:9], v5 offset:960 th:TH_STORE_NT
	s_wait_xcnt 0x0
	v_add_nc_u64_e32 v[8:9], v[8:9], v[108:109]
.LBB12_1093:                            ;   in Loop: Header=BB12_1027 Depth=3
	s_or_b32 exec_lo, exec_lo, s76
	v_sub_nc_u32_e32 v2, v2, v60
	v_add_nc_u64_e32 v[10:11], v[10:11], v[108:109]
	s_delay_alu instid0(VALU_DEP_2)
	v_cmp_lt_i32_e64 s75, 0, v2
	s_and_saveexec_b32 s76, s75
	s_cbranch_execz .LBB12_1095
; %bb.1094:                             ;   in Loop: Header=BB12_1027 Depth=3
	s_clause 0xf
	flat_load_u16 v48, v[10:11] th:TH_LOAD_NT
	flat_load_u16 v38, v[10:11] offset:64 th:TH_LOAD_NT
	flat_load_u16 v36, v[10:11] offset:128 th:TH_LOAD_NT
	;; [unrolled: 1-line block ×15, first 2 shown]
	s_wait_xcnt 0x0
	v_add_nc_u64_e32 v[10:11], 0x400, v[10:11]
.LBB12_1095:                            ;   in Loop: Header=BB12_1027 Depth=3
	s_or_b32 exec_lo, exec_lo, s76
	s_wait_loadcnt_dscnt 0xf0f
	v_lshlrev_b32_e32 v4, 16, v51
	s_mov_b32 s76, exec_lo
                                        ; implicit-def: $vgpr51
	s_delay_alu instid0(VALU_DEP_1) | instskip(NEXT) | instid1(VALU_DEP_1)
	v_mul_f32_e32 v4, v1, v4
	v_and_b32_e32 v28, 0x7f800000, v4
	s_delay_alu instid0(VALU_DEP_1)
	v_cmpx_ne_u32_e32 0x7f800000, v28
	s_xor_b32 s76, exec_lo, s76
; %bb.1096:                             ;   in Loop: Header=BB12_1027 Depth=3
	v_bfe_u32 v28, v4, 16, 1
	s_delay_alu instid0(VALU_DEP_1)
	v_add3_u32 v51, v4, v28, 0x7fff
                                        ; implicit-def: $vgpr4
; %bb.1097:                             ;   in Loop: Header=BB12_1027 Depth=3
	s_and_not1_saveexec_b32 s76, s76
; %bb.1098:                             ;   in Loop: Header=BB12_1027 Depth=3
	v_and_b32_e32 v28, 0xffff, v4
	v_or_b32_e32 v51, 0x10000, v4
	s_delay_alu instid0(VALU_DEP_2) | instskip(NEXT) | instid1(VALU_DEP_2)
	v_cmp_eq_u32_e32 vcc_lo, 0, v28
	v_cndmask_b32_e32 v51, v51, v4, vcc_lo
; %bb.1099:                             ;   in Loop: Header=BB12_1027 Depth=3
	s_or_b32 exec_lo, exec_lo, s76
	s_wait_loadcnt_dscnt 0xe0e
	v_lshlrev_b32_e32 v4, 16, v50
	s_mov_b32 s76, exec_lo
                                        ; implicit-def: $vgpr50
	s_delay_alu instid0(VALU_DEP_1) | instskip(NEXT) | instid1(VALU_DEP_1)
	v_mul_f32_e32 v4, v1, v4
	v_and_b32_e32 v28, 0x7f800000, v4
	s_delay_alu instid0(VALU_DEP_1)
	v_cmpx_ne_u32_e32 0x7f800000, v28
	s_xor_b32 s76, exec_lo, s76
; %bb.1100:                             ;   in Loop: Header=BB12_1027 Depth=3
	v_bfe_u32 v28, v4, 16, 1
	s_delay_alu instid0(VALU_DEP_1)
	v_add3_u32 v50, v4, v28, 0x7fff
                                        ; implicit-def: $vgpr4
; %bb.1101:                             ;   in Loop: Header=BB12_1027 Depth=3
	s_and_not1_saveexec_b32 s76, s76
; %bb.1102:                             ;   in Loop: Header=BB12_1027 Depth=3
	v_and_b32_e32 v28, 0xffff, v4
	v_or_b32_e32 v50, 0x10000, v4
	s_delay_alu instid0(VALU_DEP_2) | instskip(NEXT) | instid1(VALU_DEP_2)
	v_cmp_eq_u32_e32 vcc_lo, 0, v28
	v_cndmask_b32_e32 v50, v50, v4, vcc_lo
; %bb.1103:                             ;   in Loop: Header=BB12_1027 Depth=3
	s_or_b32 exec_lo, exec_lo, s76
	s_wait_loadcnt_dscnt 0xd0d
	v_lshlrev_b32_e32 v4, 16, v49
	s_mov_b32 s76, exec_lo
                                        ; implicit-def: $vgpr49
	s_delay_alu instid0(VALU_DEP_1) | instskip(NEXT) | instid1(VALU_DEP_1)
	v_mul_f32_e32 v4, v1, v4
	v_and_b32_e32 v28, 0x7f800000, v4
	s_delay_alu instid0(VALU_DEP_1)
	v_cmpx_ne_u32_e32 0x7f800000, v28
	s_xor_b32 s76, exec_lo, s76
; %bb.1104:                             ;   in Loop: Header=BB12_1027 Depth=3
	v_bfe_u32 v28, v4, 16, 1
	s_delay_alu instid0(VALU_DEP_1)
	v_add3_u32 v49, v4, v28, 0x7fff
                                        ; implicit-def: $vgpr4
; %bb.1105:                             ;   in Loop: Header=BB12_1027 Depth=3
	s_and_not1_saveexec_b32 s76, s76
; %bb.1106:                             ;   in Loop: Header=BB12_1027 Depth=3
	v_and_b32_e32 v28, 0xffff, v4
	v_or_b32_e32 v49, 0x10000, v4
	s_delay_alu instid0(VALU_DEP_2) | instskip(NEXT) | instid1(VALU_DEP_2)
	v_cmp_eq_u32_e32 vcc_lo, 0, v28
	v_cndmask_b32_e32 v49, v49, v4, vcc_lo
; %bb.1107:                             ;   in Loop: Header=BB12_1027 Depth=3
	s_or_b32 exec_lo, exec_lo, s76
	s_wait_loadcnt_dscnt 0xc0c
	v_lshlrev_b32_e32 v4, 16, v39
	s_mov_b32 s76, exec_lo
                                        ; implicit-def: $vgpr39
	s_delay_alu instid0(VALU_DEP_1) | instskip(NEXT) | instid1(VALU_DEP_1)
	v_mul_f32_e32 v4, v1, v4
	v_and_b32_e32 v28, 0x7f800000, v4
	s_delay_alu instid0(VALU_DEP_1)
	v_cmpx_ne_u32_e32 0x7f800000, v28
	s_xor_b32 s76, exec_lo, s76
; %bb.1108:                             ;   in Loop: Header=BB12_1027 Depth=3
	v_bfe_u32 v28, v4, 16, 1
	s_delay_alu instid0(VALU_DEP_1)
	v_add3_u32 v39, v4, v28, 0x7fff
                                        ; implicit-def: $vgpr4
; %bb.1109:                             ;   in Loop: Header=BB12_1027 Depth=3
	s_and_not1_saveexec_b32 s76, s76
; %bb.1110:                             ;   in Loop: Header=BB12_1027 Depth=3
	v_and_b32_e32 v28, 0xffff, v4
	v_or_b32_e32 v39, 0x10000, v4
	s_delay_alu instid0(VALU_DEP_2) | instskip(NEXT) | instid1(VALU_DEP_2)
	v_cmp_eq_u32_e32 vcc_lo, 0, v28
	v_cndmask_b32_e32 v39, v39, v4, vcc_lo
; %bb.1111:                             ;   in Loop: Header=BB12_1027 Depth=3
	s_or_b32 exec_lo, exec_lo, s76
	s_wait_loadcnt_dscnt 0xb0b
	v_lshlrev_b32_e32 v4, 16, v37
	s_mov_b32 s76, exec_lo
                                        ; implicit-def: $vgpr37
	s_delay_alu instid0(VALU_DEP_1) | instskip(NEXT) | instid1(VALU_DEP_1)
	v_mul_f32_e32 v4, v1, v4
	v_and_b32_e32 v28, 0x7f800000, v4
	s_delay_alu instid0(VALU_DEP_1)
	v_cmpx_ne_u32_e32 0x7f800000, v28
	s_xor_b32 s76, exec_lo, s76
; %bb.1112:                             ;   in Loop: Header=BB12_1027 Depth=3
	v_bfe_u32 v28, v4, 16, 1
	s_delay_alu instid0(VALU_DEP_1)
	v_add3_u32 v37, v4, v28, 0x7fff
                                        ; implicit-def: $vgpr4
; %bb.1113:                             ;   in Loop: Header=BB12_1027 Depth=3
	s_and_not1_saveexec_b32 s76, s76
; %bb.1114:                             ;   in Loop: Header=BB12_1027 Depth=3
	v_and_b32_e32 v28, 0xffff, v4
	v_or_b32_e32 v37, 0x10000, v4
	s_delay_alu instid0(VALU_DEP_2) | instskip(NEXT) | instid1(VALU_DEP_2)
	v_cmp_eq_u32_e32 vcc_lo, 0, v28
	v_cndmask_b32_e32 v37, v37, v4, vcc_lo
; %bb.1115:                             ;   in Loop: Header=BB12_1027 Depth=3
	s_or_b32 exec_lo, exec_lo, s76
	s_wait_loadcnt_dscnt 0xa0a
	v_lshlrev_b32_e32 v4, 16, v35
	s_mov_b32 s76, exec_lo
                                        ; implicit-def: $vgpr35
	s_delay_alu instid0(VALU_DEP_1) | instskip(NEXT) | instid1(VALU_DEP_1)
	v_mul_f32_e32 v4, v1, v4
	v_and_b32_e32 v28, 0x7f800000, v4
	s_delay_alu instid0(VALU_DEP_1)
	v_cmpx_ne_u32_e32 0x7f800000, v28
	s_xor_b32 s76, exec_lo, s76
; %bb.1116:                             ;   in Loop: Header=BB12_1027 Depth=3
	v_bfe_u32 v28, v4, 16, 1
	s_delay_alu instid0(VALU_DEP_1)
	v_add3_u32 v35, v4, v28, 0x7fff
                                        ; implicit-def: $vgpr4
; %bb.1117:                             ;   in Loop: Header=BB12_1027 Depth=3
	s_and_not1_saveexec_b32 s76, s76
; %bb.1118:                             ;   in Loop: Header=BB12_1027 Depth=3
	v_and_b32_e32 v28, 0xffff, v4
	v_or_b32_e32 v35, 0x10000, v4
	s_delay_alu instid0(VALU_DEP_2) | instskip(NEXT) | instid1(VALU_DEP_2)
	v_cmp_eq_u32_e32 vcc_lo, 0, v28
	v_cndmask_b32_e32 v35, v35, v4, vcc_lo
; %bb.1119:                             ;   in Loop: Header=BB12_1027 Depth=3
	s_or_b32 exec_lo, exec_lo, s76
	s_wait_loadcnt_dscnt 0x909
	v_lshlrev_b32_e32 v4, 16, v33
	s_mov_b32 s76, exec_lo
                                        ; implicit-def: $vgpr33
	s_delay_alu instid0(VALU_DEP_1) | instskip(NEXT) | instid1(VALU_DEP_1)
	v_mul_f32_e32 v4, v1, v4
	v_and_b32_e32 v28, 0x7f800000, v4
	s_delay_alu instid0(VALU_DEP_1)
	v_cmpx_ne_u32_e32 0x7f800000, v28
	s_xor_b32 s76, exec_lo, s76
; %bb.1120:                             ;   in Loop: Header=BB12_1027 Depth=3
	v_bfe_u32 v28, v4, 16, 1
	s_delay_alu instid0(VALU_DEP_1)
	v_add3_u32 v33, v4, v28, 0x7fff
                                        ; implicit-def: $vgpr4
; %bb.1121:                             ;   in Loop: Header=BB12_1027 Depth=3
	s_and_not1_saveexec_b32 s76, s76
; %bb.1122:                             ;   in Loop: Header=BB12_1027 Depth=3
	v_and_b32_e32 v28, 0xffff, v4
	v_or_b32_e32 v33, 0x10000, v4
	s_delay_alu instid0(VALU_DEP_2) | instskip(NEXT) | instid1(VALU_DEP_2)
	v_cmp_eq_u32_e32 vcc_lo, 0, v28
	v_cndmask_b32_e32 v33, v33, v4, vcc_lo
; %bb.1123:                             ;   in Loop: Header=BB12_1027 Depth=3
	s_or_b32 exec_lo, exec_lo, s76
	s_wait_loadcnt_dscnt 0x808
	v_lshlrev_b32_e32 v4, 16, v31
	s_delay_alu instid0(VALU_DEP_1) | instskip(NEXT) | instid1(VALU_DEP_1)
	v_mul_f32_e32 v28, v1, v4
	v_and_b32_e32 v4, 0x7f800000, v28
	s_delay_alu instid0(VALU_DEP_1) | instskip(SKIP_1) | instid1(SALU_CYCLE_1)
	v_cmp_ne_u32_e32 vcc_lo, 0x7f800000, v4
                                        ; implicit-def: $vgpr4
	s_and_saveexec_b32 s76, vcc_lo
	s_xor_b32 s76, exec_lo, s76
; %bb.1124:                             ;   in Loop: Header=BB12_1027 Depth=3
	v_bfe_u32 v4, v28, 16, 1
	s_delay_alu instid0(VALU_DEP_1)
	v_add3_u32 v4, v28, v4, 0x7fff
                                        ; implicit-def: $vgpr28
; %bb.1125:                             ;   in Loop: Header=BB12_1027 Depth=3
	s_and_not1_saveexec_b32 s76, s76
; %bb.1126:                             ;   in Loop: Header=BB12_1027 Depth=3
	v_and_b32_e32 v4, 0xffff, v28
	v_or_b32_e32 v31, 0x10000, v28
	s_delay_alu instid0(VALU_DEP_2) | instskip(NEXT) | instid1(VALU_DEP_2)
	v_cmp_eq_u32_e32 vcc_lo, 0, v4
	v_cndmask_b32_e32 v4, v31, v28, vcc_lo
; %bb.1127:                             ;   in Loop: Header=BB12_1027 Depth=3
	s_or_b32 exec_lo, exec_lo, s76
	s_wait_loadcnt_dscnt 0x707
	v_lshlrev_b32_e32 v28, 16, v29
	s_delay_alu instid0(VALU_DEP_1) | instskip(NEXT) | instid1(VALU_DEP_1)
	v_mul_f32_e32 v28, v1, v28
	v_and_b32_e32 v29, 0x7f800000, v28
	s_delay_alu instid0(VALU_DEP_1) | instskip(SKIP_1) | instid1(SALU_CYCLE_1)
	v_cmp_ne_u32_e32 vcc_lo, 0x7f800000, v29
                                        ; implicit-def: $vgpr29
	s_and_saveexec_b32 s76, vcc_lo
	s_xor_b32 s76, exec_lo, s76
; %bb.1128:                             ;   in Loop: Header=BB12_1027 Depth=3
	v_bfe_u32 v29, v28, 16, 1
	s_delay_alu instid0(VALU_DEP_1)
	v_add3_u32 v29, v28, v29, 0x7fff
                                        ; implicit-def: $vgpr28
; %bb.1129:                             ;   in Loop: Header=BB12_1027 Depth=3
	s_and_not1_saveexec_b32 s76, s76
; %bb.1130:                             ;   in Loop: Header=BB12_1027 Depth=3
	v_and_b32_e32 v29, 0xffff, v28
	v_or_b32_e32 v31, 0x10000, v28
	s_delay_alu instid0(VALU_DEP_2) | instskip(NEXT) | instid1(VALU_DEP_2)
	v_cmp_eq_u32_e32 vcc_lo, 0, v29
	v_cndmask_b32_e32 v29, v31, v28, vcc_lo
; %bb.1131:                             ;   in Loop: Header=BB12_1027 Depth=3
	s_or_b32 exec_lo, exec_lo, s76
	s_wait_loadcnt_dscnt 0x606
	v_lshlrev_b32_e32 v27, 16, v27
	s_delay_alu instid0(VALU_DEP_1) | instskip(NEXT) | instid1(VALU_DEP_1)
	v_mul_f32_e32 v28, v1, v27
	v_and_b32_e32 v27, 0x7f800000, v28
	s_delay_alu instid0(VALU_DEP_1) | instskip(SKIP_1) | instid1(SALU_CYCLE_1)
	v_cmp_ne_u32_e32 vcc_lo, 0x7f800000, v27
                                        ; implicit-def: $vgpr27
	s_and_saveexec_b32 s76, vcc_lo
	s_xor_b32 s76, exec_lo, s76
; %bb.1132:                             ;   in Loop: Header=BB12_1027 Depth=3
	v_bfe_u32 v27, v28, 16, 1
	s_delay_alu instid0(VALU_DEP_1)
	v_add3_u32 v27, v28, v27, 0x7fff
                                        ; implicit-def: $vgpr28
; %bb.1133:                             ;   in Loop: Header=BB12_1027 Depth=3
	s_and_not1_saveexec_b32 s76, s76
; %bb.1134:                             ;   in Loop: Header=BB12_1027 Depth=3
	v_and_b32_e32 v27, 0xffff, v28
	v_or_b32_e32 v31, 0x10000, v28
	s_delay_alu instid0(VALU_DEP_2) | instskip(NEXT) | instid1(VALU_DEP_2)
	v_cmp_eq_u32_e32 vcc_lo, 0, v27
	v_cndmask_b32_e32 v27, v31, v28, vcc_lo
; %bb.1135:                             ;   in Loop: Header=BB12_1027 Depth=3
	s_or_b32 exec_lo, exec_lo, s76
	s_wait_loadcnt_dscnt 0x505
	v_lshlrev_b32_e32 v6, 16, v6
	s_delay_alu instid0(VALU_DEP_1) | instskip(NEXT) | instid1(VALU_DEP_1)
	v_mul_f32_e32 v28, v1, v6
	v_and_b32_e32 v6, 0x7f800000, v28
	s_delay_alu instid0(VALU_DEP_1) | instskip(SKIP_1) | instid1(SALU_CYCLE_1)
	v_cmp_ne_u32_e32 vcc_lo, 0x7f800000, v6
                                        ; implicit-def: $vgpr6
	s_and_saveexec_b32 s76, vcc_lo
	s_xor_b32 s76, exec_lo, s76
; %bb.1136:                             ;   in Loop: Header=BB12_1027 Depth=3
	v_bfe_u32 v6, v28, 16, 1
	s_delay_alu instid0(VALU_DEP_1)
	v_add3_u32 v6, v28, v6, 0x7fff
                                        ; implicit-def: $vgpr28
; %bb.1137:                             ;   in Loop: Header=BB12_1027 Depth=3
	s_and_not1_saveexec_b32 s76, s76
; %bb.1138:                             ;   in Loop: Header=BB12_1027 Depth=3
	v_and_b32_e32 v6, 0xffff, v28
	v_or_b32_e32 v31, 0x10000, v28
	s_delay_alu instid0(VALU_DEP_2) | instskip(NEXT) | instid1(VALU_DEP_2)
	v_cmp_eq_u32_e32 vcc_lo, 0, v6
	v_cndmask_b32_e32 v6, v31, v28, vcc_lo
; %bb.1139:                             ;   in Loop: Header=BB12_1027 Depth=3
	s_or_b32 exec_lo, exec_lo, s76
	s_wait_loadcnt_dscnt 0x404
	v_lshlrev_b32_e32 v26, 16, v26
	s_delay_alu instid0(VALU_DEP_1) | instskip(NEXT) | instid1(VALU_DEP_1)
	v_mul_f32_e32 v28, v1, v26
	v_and_b32_e32 v26, 0x7f800000, v28
	s_delay_alu instid0(VALU_DEP_1) | instskip(SKIP_1) | instid1(SALU_CYCLE_1)
	v_cmp_ne_u32_e32 vcc_lo, 0x7f800000, v26
                                        ; implicit-def: $vgpr26
	s_and_saveexec_b32 s76, vcc_lo
	s_xor_b32 s76, exec_lo, s76
; %bb.1140:                             ;   in Loop: Header=BB12_1027 Depth=3
	v_bfe_u32 v26, v28, 16, 1
	s_delay_alu instid0(VALU_DEP_1)
	v_add3_u32 v26, v28, v26, 0x7fff
                                        ; implicit-def: $vgpr28
; %bb.1141:                             ;   in Loop: Header=BB12_1027 Depth=3
	s_and_not1_saveexec_b32 s76, s76
; %bb.1142:                             ;   in Loop: Header=BB12_1027 Depth=3
	v_and_b32_e32 v26, 0xffff, v28
	v_or_b32_e32 v31, 0x10000, v28
	s_delay_alu instid0(VALU_DEP_2) | instskip(NEXT) | instid1(VALU_DEP_2)
	v_cmp_eq_u32_e32 vcc_lo, 0, v26
	v_cndmask_b32_e32 v26, v31, v28, vcc_lo
; %bb.1143:                             ;   in Loop: Header=BB12_1027 Depth=3
	s_or_b32 exec_lo, exec_lo, s76
	s_wait_loadcnt_dscnt 0x303
	v_lshlrev_b32_e32 v24, 16, v24
	s_delay_alu instid0(VALU_DEP_1) | instskip(NEXT) | instid1(VALU_DEP_1)
	v_mul_f32_e32 v28, v1, v24
	v_and_b32_e32 v24, 0x7f800000, v28
	s_delay_alu instid0(VALU_DEP_1) | instskip(SKIP_1) | instid1(SALU_CYCLE_1)
	v_cmp_ne_u32_e32 vcc_lo, 0x7f800000, v24
                                        ; implicit-def: $vgpr24
	s_and_saveexec_b32 s76, vcc_lo
	s_xor_b32 s76, exec_lo, s76
; %bb.1144:                             ;   in Loop: Header=BB12_1027 Depth=3
	v_bfe_u32 v24, v28, 16, 1
	s_delay_alu instid0(VALU_DEP_1)
	v_add3_u32 v24, v28, v24, 0x7fff
                                        ; implicit-def: $vgpr28
; %bb.1145:                             ;   in Loop: Header=BB12_1027 Depth=3
	s_and_not1_saveexec_b32 s76, s76
; %bb.1146:                             ;   in Loop: Header=BB12_1027 Depth=3
	v_and_b32_e32 v24, 0xffff, v28
	v_or_b32_e32 v31, 0x10000, v28
	s_delay_alu instid0(VALU_DEP_2) | instskip(NEXT) | instid1(VALU_DEP_2)
	v_cmp_eq_u32_e32 vcc_lo, 0, v24
	v_cndmask_b32_e32 v24, v31, v28, vcc_lo
; %bb.1147:                             ;   in Loop: Header=BB12_1027 Depth=3
	s_or_b32 exec_lo, exec_lo, s76
	s_wait_loadcnt_dscnt 0x202
	v_lshlrev_b32_e32 v22, 16, v22
	s_delay_alu instid0(VALU_DEP_1) | instskip(NEXT) | instid1(VALU_DEP_1)
	v_mul_f32_e32 v28, v1, v22
	v_and_b32_e32 v22, 0x7f800000, v28
	s_delay_alu instid0(VALU_DEP_1) | instskip(SKIP_1) | instid1(SALU_CYCLE_1)
	v_cmp_ne_u32_e32 vcc_lo, 0x7f800000, v22
                                        ; implicit-def: $vgpr22
	s_and_saveexec_b32 s76, vcc_lo
	s_xor_b32 s76, exec_lo, s76
; %bb.1148:                             ;   in Loop: Header=BB12_1027 Depth=3
	v_bfe_u32 v22, v28, 16, 1
	s_delay_alu instid0(VALU_DEP_1)
	v_add3_u32 v22, v28, v22, 0x7fff
                                        ; implicit-def: $vgpr28
; %bb.1149:                             ;   in Loop: Header=BB12_1027 Depth=3
	s_and_not1_saveexec_b32 s76, s76
; %bb.1150:                             ;   in Loop: Header=BB12_1027 Depth=3
	v_and_b32_e32 v22, 0xffff, v28
	v_or_b32_e32 v31, 0x10000, v28
	s_delay_alu instid0(VALU_DEP_2) | instskip(NEXT) | instid1(VALU_DEP_2)
	v_cmp_eq_u32_e32 vcc_lo, 0, v22
	v_cndmask_b32_e32 v22, v31, v28, vcc_lo
; %bb.1151:                             ;   in Loop: Header=BB12_1027 Depth=3
	s_or_b32 exec_lo, exec_lo, s76
	s_wait_loadcnt_dscnt 0x101
	v_lshlrev_b32_e32 v20, 16, v20
	s_delay_alu instid0(VALU_DEP_1) | instskip(NEXT) | instid1(VALU_DEP_1)
	v_mul_f32_e32 v28, v1, v20
	v_and_b32_e32 v20, 0x7f800000, v28
	s_delay_alu instid0(VALU_DEP_1) | instskip(SKIP_1) | instid1(SALU_CYCLE_1)
	v_cmp_ne_u32_e32 vcc_lo, 0x7f800000, v20
                                        ; implicit-def: $vgpr20
	s_and_saveexec_b32 s76, vcc_lo
	s_xor_b32 s76, exec_lo, s76
; %bb.1152:                             ;   in Loop: Header=BB12_1027 Depth=3
	v_bfe_u32 v20, v28, 16, 1
	s_delay_alu instid0(VALU_DEP_1)
	v_add3_u32 v20, v28, v20, 0x7fff
                                        ; implicit-def: $vgpr28
; %bb.1153:                             ;   in Loop: Header=BB12_1027 Depth=3
	s_and_not1_saveexec_b32 s76, s76
; %bb.1154:                             ;   in Loop: Header=BB12_1027 Depth=3
	v_and_b32_e32 v20, 0xffff, v28
	v_or_b32_e32 v31, 0x10000, v28
	s_delay_alu instid0(VALU_DEP_2) | instskip(NEXT) | instid1(VALU_DEP_2)
	v_cmp_eq_u32_e32 vcc_lo, 0, v20
	v_cndmask_b32_e32 v20, v31, v28, vcc_lo
; %bb.1155:                             ;   in Loop: Header=BB12_1027 Depth=3
	s_or_b32 exec_lo, exec_lo, s76
	s_wait_loadcnt_dscnt 0x0
	v_lshlrev_b32_e32 v18, 16, v18
	s_delay_alu instid0(VALU_DEP_1) | instskip(NEXT) | instid1(VALU_DEP_1)
	v_mul_f32_e32 v28, v1, v18
	v_and_b32_e32 v18, 0x7f800000, v28
	s_delay_alu instid0(VALU_DEP_1) | instskip(SKIP_1) | instid1(SALU_CYCLE_1)
	v_cmp_ne_u32_e32 vcc_lo, 0x7f800000, v18
                                        ; implicit-def: $vgpr18
	s_and_saveexec_b32 s76, vcc_lo
	s_xor_b32 s76, exec_lo, s76
; %bb.1156:                             ;   in Loop: Header=BB12_1027 Depth=3
	v_bfe_u32 v18, v28, 16, 1
	s_delay_alu instid0(VALU_DEP_1)
	v_add3_u32 v18, v28, v18, 0x7fff
                                        ; implicit-def: $vgpr28
; %bb.1157:                             ;   in Loop: Header=BB12_1027 Depth=3
	s_and_not1_saveexec_b32 s76, s76
	s_cbranch_execz .LBB12_1026
; %bb.1158:                             ;   in Loop: Header=BB12_1027 Depth=3
	v_and_b32_e32 v18, 0xffff, v28
	v_or_b32_e32 v31, 0x10000, v28
	s_delay_alu instid0(VALU_DEP_2) | instskip(NEXT) | instid1(VALU_DEP_2)
	v_cmp_eq_u32_e32 vcc_lo, 0, v18
	v_cndmask_b32_e32 v18, v31, v28, vcc_lo
	s_branch .LBB12_1026
.LBB12_1159:                            ;   in Loop: Header=BB12_57 Depth=2
	s_or_b32 exec_lo, exec_lo, s74
	v_dual_lshlrev_b32 v35, 16, v48 :: v_dual_lshlrev_b32 v33, 16, v38
	v_dual_lshlrev_b32 v31, 16, v36 :: v_dual_lshlrev_b32 v28, 16, v34
	v_dual_lshlrev_b32 v29, 16, v32 :: v_dual_lshlrev_b32 v27, 16, v30
	v_dual_lshlrev_b32 v4, 16, v7 :: v_dual_lshlrev_b32 v26, 16, v0
	v_dual_lshlrev_b32 v24, 16, v25 :: v_dual_lshlrev_b32 v22, 16, v23
	v_dual_lshlrev_b32 v20, 16, v21 :: v_dual_lshlrev_b32 v18, 16, v19
	v_dual_lshlrev_b32 v17, 16, v17 :: v_dual_lshlrev_b32 v7, 16, v16
	v_dual_lshlrev_b32 v1, 16, v15 :: v_dual_lshlrev_b32 v0, 16, v5
	s_and_b32 s41, s41, exec_lo
.LBB12_1160:                            ;   in Loop: Header=BB12_57 Depth=2
	s_or_b32 exec_lo, exec_lo, s40
	s_and_saveexec_b32 s40, s41
	s_cbranch_execz .LBB12_1226
; %bb.1161:                             ;   in Loop: Header=BB12_57 Depth=2
	s_trap 2
	ds_load_b32 v5, v0
	s_wait_dscnt 0x0
	v_lshlrev_b32_e32 v6, 16, v5
	s_delay_alu instid0(VALU_DEP_1) | instskip(NEXT) | instid1(VALU_DEP_1)
	v_mul_f32_e32 v10, v35, v6
	v_and_b32_e32 v5, 0x7f800000, v10
	s_delay_alu instid0(VALU_DEP_1) | instskip(SKIP_1) | instid1(SALU_CYCLE_1)
	v_cmp_ne_u32_e32 vcc_lo, 0x7f800000, v5
                                        ; implicit-def: $vgpr5
	s_and_saveexec_b32 s41, vcc_lo
	s_xor_b32 s41, exec_lo, s41
; %bb.1162:                             ;   in Loop: Header=BB12_57 Depth=2
	v_bfe_u32 v5, v10, 16, 1
	s_delay_alu instid0(VALU_DEP_1)
	v_add3_u32 v5, v10, v5, 0x7fff
                                        ; implicit-def: $vgpr10
; %bb.1163:                             ;   in Loop: Header=BB12_57 Depth=2
	s_and_not1_saveexec_b32 s41, s41
; %bb.1164:                             ;   in Loop: Header=BB12_57 Depth=2
	v_and_b32_e32 v5, 0xffff, v10
	v_or_b32_e32 v11, 0x10000, v10
	s_delay_alu instid0(VALU_DEP_2) | instskip(NEXT) | instid1(VALU_DEP_2)
	v_cmp_eq_u32_e32 vcc_lo, 0, v5
	v_cndmask_b32_e32 v5, v11, v10, vcc_lo
; %bb.1165:                             ;   in Loop: Header=BB12_57 Depth=2
	s_or_b32 exec_lo, exec_lo, s41
	v_mul_f32_e32 v11, v33, v6
	s_delay_alu instid0(VALU_DEP_1) | instskip(NEXT) | instid1(VALU_DEP_1)
	v_and_b32_e32 v10, 0x7f800000, v11
	v_cmp_ne_u32_e32 vcc_lo, 0x7f800000, v10
                                        ; implicit-def: $vgpr10
	s_and_saveexec_b32 s41, vcc_lo
	s_delay_alu instid0(SALU_CYCLE_1)
	s_xor_b32 s41, exec_lo, s41
; %bb.1166:                             ;   in Loop: Header=BB12_57 Depth=2
	v_bfe_u32 v10, v11, 16, 1
	s_delay_alu instid0(VALU_DEP_1)
	v_add3_u32 v10, v11, v10, 0x7fff
                                        ; implicit-def: $vgpr11
; %bb.1167:                             ;   in Loop: Header=BB12_57 Depth=2
	s_and_not1_saveexec_b32 s41, s41
; %bb.1168:                             ;   in Loop: Header=BB12_57 Depth=2
	v_and_b32_e32 v10, 0xffff, v11
	v_or_b32_e32 v15, 0x10000, v11
	s_delay_alu instid0(VALU_DEP_2) | instskip(NEXT) | instid1(VALU_DEP_2)
	v_cmp_eq_u32_e32 vcc_lo, 0, v10
	v_cndmask_b32_e32 v10, v15, v11, vcc_lo
; %bb.1169:                             ;   in Loop: Header=BB12_57 Depth=2
	s_or_b32 exec_lo, exec_lo, s41
	v_mul_f32_e32 v15, v31, v6
	s_delay_alu instid0(VALU_DEP_1) | instskip(NEXT) | instid1(VALU_DEP_1)
	v_and_b32_e32 v11, 0x7f800000, v15
	v_cmp_ne_u32_e32 vcc_lo, 0x7f800000, v11
                                        ; implicit-def: $vgpr11
	s_and_saveexec_b32 s41, vcc_lo
	s_delay_alu instid0(SALU_CYCLE_1)
	s_xor_b32 s41, exec_lo, s41
; %bb.1170:                             ;   in Loop: Header=BB12_57 Depth=2
	v_bfe_u32 v11, v15, 16, 1
	s_delay_alu instid0(VALU_DEP_1)
	v_add3_u32 v11, v15, v11, 0x7fff
                                        ; implicit-def: $vgpr15
; %bb.1171:                             ;   in Loop: Header=BB12_57 Depth=2
	s_and_not1_saveexec_b32 s41, s41
; %bb.1172:                             ;   in Loop: Header=BB12_57 Depth=2
	v_and_b32_e32 v11, 0xffff, v15
	v_or_b32_e32 v16, 0x10000, v15
	s_delay_alu instid0(VALU_DEP_2) | instskip(NEXT) | instid1(VALU_DEP_2)
	v_cmp_eq_u32_e32 vcc_lo, 0, v11
	v_cndmask_b32_e32 v11, v16, v15, vcc_lo
; %bb.1173:                             ;   in Loop: Header=BB12_57 Depth=2
	s_or_b32 exec_lo, exec_lo, s41
	v_mul_f32_e32 v16, v28, v6
	s_delay_alu instid0(VALU_DEP_1) | instskip(NEXT) | instid1(VALU_DEP_1)
	v_and_b32_e32 v15, 0x7f800000, v16
	v_cmp_ne_u32_e32 vcc_lo, 0x7f800000, v15
                                        ; implicit-def: $vgpr15
	s_and_saveexec_b32 s41, vcc_lo
	s_delay_alu instid0(SALU_CYCLE_1)
	s_xor_b32 s41, exec_lo, s41
; %bb.1174:                             ;   in Loop: Header=BB12_57 Depth=2
	v_bfe_u32 v15, v16, 16, 1
	s_delay_alu instid0(VALU_DEP_1)
	v_add3_u32 v15, v16, v15, 0x7fff
                                        ; implicit-def: $vgpr16
; %bb.1175:                             ;   in Loop: Header=BB12_57 Depth=2
	s_and_not1_saveexec_b32 s41, s41
; %bb.1176:                             ;   in Loop: Header=BB12_57 Depth=2
	v_and_b32_e32 v15, 0xffff, v16
	v_or_b32_e32 v19, 0x10000, v16
	s_delay_alu instid0(VALU_DEP_2) | instskip(NEXT) | instid1(VALU_DEP_2)
	v_cmp_eq_u32_e32 vcc_lo, 0, v15
	v_cndmask_b32_e32 v15, v19, v16, vcc_lo
; %bb.1177:                             ;   in Loop: Header=BB12_57 Depth=2
	s_or_b32 exec_lo, exec_lo, s41
	v_mul_f32_e32 v19, v29, v6
	s_delay_alu instid0(VALU_DEP_1) | instskip(NEXT) | instid1(VALU_DEP_1)
	v_and_b32_e32 v16, 0x7f800000, v19
	v_cmp_ne_u32_e32 vcc_lo, 0x7f800000, v16
                                        ; implicit-def: $vgpr16
	s_and_saveexec_b32 s41, vcc_lo
	s_delay_alu instid0(SALU_CYCLE_1)
	s_xor_b32 s41, exec_lo, s41
; %bb.1178:                             ;   in Loop: Header=BB12_57 Depth=2
	v_bfe_u32 v16, v19, 16, 1
	s_delay_alu instid0(VALU_DEP_1)
	v_add3_u32 v16, v19, v16, 0x7fff
                                        ; implicit-def: $vgpr19
; %bb.1179:                             ;   in Loop: Header=BB12_57 Depth=2
	s_and_not1_saveexec_b32 s41, s41
; %bb.1180:                             ;   in Loop: Header=BB12_57 Depth=2
	v_and_b32_e32 v16, 0xffff, v19
	v_or_b32_e32 v21, 0x10000, v19
	s_delay_alu instid0(VALU_DEP_2) | instskip(NEXT) | instid1(VALU_DEP_2)
	v_cmp_eq_u32_e32 vcc_lo, 0, v16
	v_cndmask_b32_e32 v16, v21, v19, vcc_lo
; %bb.1181:                             ;   in Loop: Header=BB12_57 Depth=2
	s_or_b32 exec_lo, exec_lo, s41
	v_mul_f32_e32 v21, v27, v6
	s_delay_alu instid0(VALU_DEP_1) | instskip(NEXT) | instid1(VALU_DEP_1)
	v_and_b32_e32 v19, 0x7f800000, v21
	v_cmp_ne_u32_e32 vcc_lo, 0x7f800000, v19
                                        ; implicit-def: $vgpr19
	s_and_saveexec_b32 s41, vcc_lo
	s_delay_alu instid0(SALU_CYCLE_1)
	s_xor_b32 s41, exec_lo, s41
; %bb.1182:                             ;   in Loop: Header=BB12_57 Depth=2
	v_bfe_u32 v19, v21, 16, 1
	s_delay_alu instid0(VALU_DEP_1)
	v_add3_u32 v19, v21, v19, 0x7fff
                                        ; implicit-def: $vgpr21
; %bb.1183:                             ;   in Loop: Header=BB12_57 Depth=2
	s_and_not1_saveexec_b32 s41, s41
; %bb.1184:                             ;   in Loop: Header=BB12_57 Depth=2
	v_and_b32_e32 v19, 0xffff, v21
	v_or_b32_e32 v23, 0x10000, v21
	s_delay_alu instid0(VALU_DEP_2) | instskip(NEXT) | instid1(VALU_DEP_2)
	v_cmp_eq_u32_e32 vcc_lo, 0, v19
	v_cndmask_b32_e32 v19, v23, v21, vcc_lo
; %bb.1185:                             ;   in Loop: Header=BB12_57 Depth=2
	s_or_b32 exec_lo, exec_lo, s41
	v_mul_f32_e32 v21, v4, v6
	s_delay_alu instid0(VALU_DEP_1) | instskip(NEXT) | instid1(VALU_DEP_1)
	v_and_b32_e32 v4, 0x7f800000, v21
	v_cmp_ne_u32_e32 vcc_lo, 0x7f800000, v4
                                        ; implicit-def: $vgpr4
	s_and_saveexec_b32 s41, vcc_lo
	s_delay_alu instid0(SALU_CYCLE_1)
	s_xor_b32 s41, exec_lo, s41
; %bb.1186:                             ;   in Loop: Header=BB12_57 Depth=2
	v_bfe_u32 v4, v21, 16, 1
	s_delay_alu instid0(VALU_DEP_1)
	v_add3_u32 v4, v21, v4, 0x7fff
                                        ; implicit-def: $vgpr21
; %bb.1187:                             ;   in Loop: Header=BB12_57 Depth=2
	s_and_not1_saveexec_b32 s41, s41
; %bb.1188:                             ;   in Loop: Header=BB12_57 Depth=2
	v_and_b32_e32 v4, 0xffff, v21
	v_or_b32_e32 v23, 0x10000, v21
	s_delay_alu instid0(VALU_DEP_2) | instskip(NEXT) | instid1(VALU_DEP_2)
	v_cmp_eq_u32_e32 vcc_lo, 0, v4
	v_cndmask_b32_e32 v4, v23, v21, vcc_lo
; %bb.1189:                             ;   in Loop: Header=BB12_57 Depth=2
	s_or_b32 exec_lo, exec_lo, s41
	v_mul_f32_e32 v23, v26, v6
	s_delay_alu instid0(VALU_DEP_1) | instskip(NEXT) | instid1(VALU_DEP_1)
	v_and_b32_e32 v21, 0x7f800000, v23
	v_cmp_ne_u32_e32 vcc_lo, 0x7f800000, v21
                                        ; implicit-def: $vgpr21
	s_and_saveexec_b32 s41, vcc_lo
	s_delay_alu instid0(SALU_CYCLE_1)
	s_xor_b32 s41, exec_lo, s41
; %bb.1190:                             ;   in Loop: Header=BB12_57 Depth=2
	v_bfe_u32 v21, v23, 16, 1
	s_delay_alu instid0(VALU_DEP_1)
	v_add3_u32 v21, v23, v21, 0x7fff
                                        ; implicit-def: $vgpr23
; %bb.1191:                             ;   in Loop: Header=BB12_57 Depth=2
	s_and_not1_saveexec_b32 s41, s41
; %bb.1192:                             ;   in Loop: Header=BB12_57 Depth=2
	v_and_b32_e32 v21, 0xffff, v23
	v_or_b32_e32 v25, 0x10000, v23
	s_delay_alu instid0(VALU_DEP_2) | instskip(NEXT) | instid1(VALU_DEP_2)
	v_cmp_eq_u32_e32 vcc_lo, 0, v21
	v_cndmask_b32_e32 v21, v25, v23, vcc_lo
; %bb.1193:                             ;   in Loop: Header=BB12_57 Depth=2
	s_or_b32 exec_lo, exec_lo, s41
	v_mul_f32_e32 v24, v24, v6
	s_delay_alu instid0(VALU_DEP_1) | instskip(NEXT) | instid1(VALU_DEP_1)
	v_and_b32_e32 v23, 0x7f800000, v24
	v_cmp_ne_u32_e32 vcc_lo, 0x7f800000, v23
                                        ; implicit-def: $vgpr23
	s_and_saveexec_b32 s41, vcc_lo
	s_delay_alu instid0(SALU_CYCLE_1)
	s_xor_b32 s41, exec_lo, s41
; %bb.1194:                             ;   in Loop: Header=BB12_57 Depth=2
	v_bfe_u32 v23, v24, 16, 1
	s_delay_alu instid0(VALU_DEP_1)
	v_add3_u32 v23, v24, v23, 0x7fff
                                        ; implicit-def: $vgpr24
; %bb.1195:                             ;   in Loop: Header=BB12_57 Depth=2
	s_and_not1_saveexec_b32 s41, s41
; %bb.1196:                             ;   in Loop: Header=BB12_57 Depth=2
	v_and_b32_e32 v23, 0xffff, v24
	v_or_b32_e32 v25, 0x10000, v24
	s_delay_alu instid0(VALU_DEP_2) | instskip(NEXT) | instid1(VALU_DEP_2)
	v_cmp_eq_u32_e32 vcc_lo, 0, v23
	v_cndmask_b32_e32 v23, v25, v24, vcc_lo
; %bb.1197:                             ;   in Loop: Header=BB12_57 Depth=2
	s_or_b32 exec_lo, exec_lo, s41
	v_mul_f32_e32 v24, v22, v6
	s_delay_alu instid0(VALU_DEP_1) | instskip(NEXT) | instid1(VALU_DEP_1)
	v_and_b32_e32 v22, 0x7f800000, v24
	v_cmp_ne_u32_e32 vcc_lo, 0x7f800000, v22
                                        ; implicit-def: $vgpr22
	s_and_saveexec_b32 s41, vcc_lo
	s_delay_alu instid0(SALU_CYCLE_1)
	s_xor_b32 s41, exec_lo, s41
; %bb.1198:                             ;   in Loop: Header=BB12_57 Depth=2
	v_bfe_u32 v22, v24, 16, 1
	s_delay_alu instid0(VALU_DEP_1)
	v_add3_u32 v22, v24, v22, 0x7fff
                                        ; implicit-def: $vgpr24
; %bb.1199:                             ;   in Loop: Header=BB12_57 Depth=2
	s_and_not1_saveexec_b32 s41, s41
; %bb.1200:                             ;   in Loop: Header=BB12_57 Depth=2
	v_and_b32_e32 v22, 0xffff, v24
	v_or_b32_e32 v25, 0x10000, v24
	s_delay_alu instid0(VALU_DEP_2) | instskip(NEXT) | instid1(VALU_DEP_2)
	v_cmp_eq_u32_e32 vcc_lo, 0, v22
	v_cndmask_b32_e32 v22, v25, v24, vcc_lo
; %bb.1201:                             ;   in Loop: Header=BB12_57 Depth=2
	s_or_b32 exec_lo, exec_lo, s41
	v_mul_f32_e32 v24, v20, v6
	s_delay_alu instid0(VALU_DEP_1) | instskip(NEXT) | instid1(VALU_DEP_1)
	v_and_b32_e32 v20, 0x7f800000, v24
	v_cmp_ne_u32_e32 vcc_lo, 0x7f800000, v20
                                        ; implicit-def: $vgpr20
	s_and_saveexec_b32 s41, vcc_lo
	s_delay_alu instid0(SALU_CYCLE_1)
	s_xor_b32 s41, exec_lo, s41
; %bb.1202:                             ;   in Loop: Header=BB12_57 Depth=2
	v_bfe_u32 v20, v24, 16, 1
	s_delay_alu instid0(VALU_DEP_1)
	v_add3_u32 v20, v24, v20, 0x7fff
                                        ; implicit-def: $vgpr24
; %bb.1203:                             ;   in Loop: Header=BB12_57 Depth=2
	s_and_not1_saveexec_b32 s41, s41
; %bb.1204:                             ;   in Loop: Header=BB12_57 Depth=2
	v_and_b32_e32 v20, 0xffff, v24
	v_or_b32_e32 v25, 0x10000, v24
	s_delay_alu instid0(VALU_DEP_2) | instskip(NEXT) | instid1(VALU_DEP_2)
	v_cmp_eq_u32_e32 vcc_lo, 0, v20
	v_cndmask_b32_e32 v20, v25, v24, vcc_lo
; %bb.1205:                             ;   in Loop: Header=BB12_57 Depth=2
	s_or_b32 exec_lo, exec_lo, s41
	v_mul_f32_e32 v24, v18, v6
	s_delay_alu instid0(VALU_DEP_1) | instskip(NEXT) | instid1(VALU_DEP_1)
	v_and_b32_e32 v18, 0x7f800000, v24
	v_cmp_ne_u32_e32 vcc_lo, 0x7f800000, v18
                                        ; implicit-def: $vgpr18
	s_and_saveexec_b32 s41, vcc_lo
	s_delay_alu instid0(SALU_CYCLE_1)
	s_xor_b32 s41, exec_lo, s41
; %bb.1206:                             ;   in Loop: Header=BB12_57 Depth=2
	v_bfe_u32 v18, v24, 16, 1
	s_delay_alu instid0(VALU_DEP_1)
	v_add3_u32 v18, v24, v18, 0x7fff
                                        ; implicit-def: $vgpr24
; %bb.1207:                             ;   in Loop: Header=BB12_57 Depth=2
	s_and_not1_saveexec_b32 s41, s41
; %bb.1208:                             ;   in Loop: Header=BB12_57 Depth=2
	v_and_b32_e32 v18, 0xffff, v24
	v_or_b32_e32 v25, 0x10000, v24
	s_delay_alu instid0(VALU_DEP_2) | instskip(NEXT) | instid1(VALU_DEP_2)
	v_cmp_eq_u32_e32 vcc_lo, 0, v18
	v_cndmask_b32_e32 v18, v25, v24, vcc_lo
; %bb.1209:                             ;   in Loop: Header=BB12_57 Depth=2
	s_or_b32 exec_lo, exec_lo, s41
	v_mul_f32_e32 v24, v17, v6
	s_delay_alu instid0(VALU_DEP_1) | instskip(NEXT) | instid1(VALU_DEP_1)
	v_and_b32_e32 v17, 0x7f800000, v24
	v_cmp_ne_u32_e32 vcc_lo, 0x7f800000, v17
                                        ; implicit-def: $vgpr17
	s_and_saveexec_b32 s41, vcc_lo
	s_delay_alu instid0(SALU_CYCLE_1)
	s_xor_b32 s41, exec_lo, s41
; %bb.1210:                             ;   in Loop: Header=BB12_57 Depth=2
	v_bfe_u32 v17, v24, 16, 1
	s_delay_alu instid0(VALU_DEP_1)
	v_add3_u32 v17, v24, v17, 0x7fff
                                        ; implicit-def: $vgpr24
; %bb.1211:                             ;   in Loop: Header=BB12_57 Depth=2
	s_and_not1_saveexec_b32 s41, s41
; %bb.1212:                             ;   in Loop: Header=BB12_57 Depth=2
	v_and_b32_e32 v17, 0xffff, v24
	v_or_b32_e32 v25, 0x10000, v24
	s_delay_alu instid0(VALU_DEP_2) | instskip(NEXT) | instid1(VALU_DEP_2)
	v_cmp_eq_u32_e32 vcc_lo, 0, v17
	v_cndmask_b32_e32 v17, v25, v24, vcc_lo
; %bb.1213:                             ;   in Loop: Header=BB12_57 Depth=2
	s_or_b32 exec_lo, exec_lo, s41
	v_mul_f32_e32 v24, v7, v6
	s_delay_alu instid0(VALU_DEP_1) | instskip(NEXT) | instid1(VALU_DEP_1)
	v_and_b32_e32 v7, 0x7f800000, v24
	v_cmp_ne_u32_e32 vcc_lo, 0x7f800000, v7
                                        ; implicit-def: $vgpr7
	s_and_saveexec_b32 s41, vcc_lo
	s_delay_alu instid0(SALU_CYCLE_1)
	s_xor_b32 s41, exec_lo, s41
; %bb.1214:                             ;   in Loop: Header=BB12_57 Depth=2
	v_bfe_u32 v7, v24, 16, 1
	s_delay_alu instid0(VALU_DEP_1)
	v_add3_u32 v7, v24, v7, 0x7fff
                                        ; implicit-def: $vgpr24
; %bb.1215:                             ;   in Loop: Header=BB12_57 Depth=2
	s_and_not1_saveexec_b32 s41, s41
; %bb.1216:                             ;   in Loop: Header=BB12_57 Depth=2
	v_and_b32_e32 v7, 0xffff, v24
	v_or_b32_e32 v25, 0x10000, v24
	s_delay_alu instid0(VALU_DEP_2) | instskip(NEXT) | instid1(VALU_DEP_2)
	v_cmp_eq_u32_e32 vcc_lo, 0, v7
	v_cndmask_b32_e32 v7, v25, v24, vcc_lo
; %bb.1217:                             ;   in Loop: Header=BB12_57 Depth=2
	s_or_b32 exec_lo, exec_lo, s41
	v_mul_f32_e32 v24, v1, v6
	s_delay_alu instid0(VALU_DEP_1) | instskip(NEXT) | instid1(VALU_DEP_1)
	v_and_b32_e32 v1, 0x7f800000, v24
	v_cmp_ne_u32_e32 vcc_lo, 0x7f800000, v1
                                        ; implicit-def: $vgpr1
	s_and_saveexec_b32 s41, vcc_lo
	s_delay_alu instid0(SALU_CYCLE_1)
	s_xor_b32 s41, exec_lo, s41
; %bb.1218:                             ;   in Loop: Header=BB12_57 Depth=2
	v_bfe_u32 v1, v24, 16, 1
	s_delay_alu instid0(VALU_DEP_1)
	v_add3_u32 v1, v24, v1, 0x7fff
                                        ; implicit-def: $vgpr24
; %bb.1219:                             ;   in Loop: Header=BB12_57 Depth=2
	s_and_not1_saveexec_b32 s41, s41
; %bb.1220:                             ;   in Loop: Header=BB12_57 Depth=2
	v_and_b32_e32 v1, 0xffff, v24
	v_or_b32_e32 v25, 0x10000, v24
	s_delay_alu instid0(VALU_DEP_2) | instskip(NEXT) | instid1(VALU_DEP_2)
	v_cmp_eq_u32_e32 vcc_lo, 0, v1
	v_cndmask_b32_e32 v1, v25, v24, vcc_lo
; %bb.1221:                             ;   in Loop: Header=BB12_57 Depth=2
	s_or_b32 exec_lo, exec_lo, s41
	v_mul_f32_e32 v6, v0, v6
	s_delay_alu instid0(VALU_DEP_1) | instskip(NEXT) | instid1(VALU_DEP_1)
	v_and_b32_e32 v0, 0x7f800000, v6
	v_cmp_ne_u32_e32 vcc_lo, 0x7f800000, v0
                                        ; implicit-def: $vgpr0
	s_and_saveexec_b32 s41, vcc_lo
	s_delay_alu instid0(SALU_CYCLE_1)
	s_xor_b32 s41, exec_lo, s41
; %bb.1222:                             ;   in Loop: Header=BB12_57 Depth=2
	v_bfe_u32 v0, v6, 16, 1
	s_delay_alu instid0(VALU_DEP_1)
	v_add3_u32 v0, v6, v0, 0x7fff
                                        ; implicit-def: $vgpr6
; %bb.1223:                             ;   in Loop: Header=BB12_57 Depth=2
	s_and_not1_saveexec_b32 s41, s41
; %bb.1224:                             ;   in Loop: Header=BB12_57 Depth=2
	v_and_b32_e32 v0, 0xffff, v6
	v_or_b32_e32 v24, 0x10000, v6
	s_delay_alu instid0(VALU_DEP_2) | instskip(NEXT) | instid1(VALU_DEP_2)
	v_cmp_eq_u32_e32 vcc_lo, 0, v0
	v_cndmask_b32_e32 v0, v24, v6, vcc_lo
; %bb.1225:                             ;   in Loop: Header=BB12_57 Depth=2
	s_or_b32 exec_lo, exec_lo, s41
	s_clause 0xf
	flat_store_d16_hi_b16 v[8:9], v5 th:TH_STORE_NT
	flat_store_d16_hi_b16 v[8:9], v10 offset:64 th:TH_STORE_NT
	flat_store_d16_hi_b16 v[8:9], v11 offset:128 th:TH_STORE_NT
	;; [unrolled: 1-line block ×15, first 2 shown]
.LBB12_1226:                            ;   in Loop: Header=BB12_57 Depth=2
	s_wait_xcnt 0x0
	s_or_b32 exec_lo, exec_lo, s40
	v_lshlrev_b32_e32 v0, 10, v14
	s_delay_alu instid0(VALU_DEP_1)
	v_cmp_ne_u32_e32 vcc_lo, v103, v0
	s_and_b32 exec_lo, exec_lo, vcc_lo
	s_cbranch_execz .LBB12_1248
; %bb.1227:                             ;   in Loop: Header=BB12_57 Depth=2
	v_lshlrev_b32_e32 v1, 5, v2
	s_delay_alu instid0(VALU_DEP_1) | instskip(NEXT) | instid1(VALU_DEP_1)
	v_sub_nc_u32_e32 v1, v13, v1
	v_ashrrev_i32_e32 v2, 31, v1
	s_delay_alu instid0(VALU_DEP_1) | instskip(NEXT) | instid1(VALU_DEP_1)
	v_lshrrev_b32_e32 v2, 27, v2
	v_add_nc_u32_e32 v2, v1, v2
	s_delay_alu instid0(VALU_DEP_1) | instskip(NEXT) | instid1(VALU_DEP_1)
	v_and_b32_e32 v4, 0x7fffffe0, v2
	v_dual_lshlrev_b32 v2, 1, v2 :: v_dual_sub_nc_u32 v1, v1, v4
	s_delay_alu instid0(VALU_DEP_1) | instskip(NEXT) | instid1(VALU_DEP_2)
	v_and_b32_e32 v2, 0xffffffc0, v2
	v_lshlrev_b32_e32 v1, 1, v1
	s_delay_alu instid0(VALU_DEP_1) | instskip(NEXT) | instid1(VALU_DEP_1)
	v_add3_u32 v0, v2, v1, v0
	v_sub_nc_u32_e32 v2, v103, v0
	s_delay_alu instid0(VALU_DEP_1)
	v_cmp_lt_i32_e32 vcc_lo, 1, v2
	s_and_b32 exec_lo, exec_lo, vcc_lo
	s_cbranch_execz .LBB12_1248
; %bb.1228:                             ;   in Loop: Header=BB12_57 Depth=2
	s_trap 2
	ds_load_b64 v[4:5], v0
	ds_load_b32 v6, v0
	v_add_nc_u32_e32 v0, v0, v12
	s_mov_b32 s74, 0
	s_mov_b32 s40, 0
                                        ; implicit-def: $sgpr41
	s_delay_alu instid0(VALU_DEP_1) | instskip(NEXT) | instid1(VALU_DEP_1)
	v_ashrrev_i32_e32 v1, 31, v0
	v_add_nc_u64_e32 v[8:9], v[118:119], v[0:1]
	s_wait_dscnt 0x1
	v_add_nc_u64_e32 v[10:11], v[4:5], v[0:1]
	s_wait_dscnt 0x0
	v_lshlrev_b32_e32 v0, 16, v6
                                        ; implicit-def: $vgpr1
	s_branch .LBB12_1230
.LBB12_1229:                            ;   in Loop: Header=BB12_1230 Depth=3
	s_or_b32 exec_lo, exec_lo, s75
	v_dual_cndmask_b32 v5, 0, v111, s74 :: v_dual_cndmask_b32 v7, 0, v105, s74
	v_add_nc_u64_e32 v[12:13], 64, v[104:105]
	flat_store_d16_hi_b16 v[8:9], v4 th:TH_STORE_NT
	v_dual_cndmask_b32 v6, 0, v104, s74 :: v_dual_sub_nc_u32 v2, v2, v5
	v_dual_cndmask_b32 v13, 0, v13, s74 :: v_dual_cndmask_b32 v12, 64, v12, s74
	s_delay_alu instid0(VALU_DEP_2) | instskip(NEXT) | instid1(VALU_DEP_3)
	v_cmp_gt_i32_e32 vcc_lo, 2, v2
	v_add_nc_u64_e32 v[10:11], v[10:11], v[6:7]
	s_wait_xcnt 0x0
	s_delay_alu instid0(VALU_DEP_3) | instskip(SKIP_3) | instid1(SALU_CYCLE_1)
	v_add_nc_u64_e32 v[8:9], v[8:9], v[12:13]
	s_or_b32 s40, vcc_lo, s40
	s_and_not1_b32 s41, s41, exec_lo
	s_and_b32 s75, s74, exec_lo
	s_or_b32 s41, s41, s75
	s_and_not1_b32 exec_lo, exec_lo, s40
	s_cbranch_execz .LBB12_1242
.LBB12_1230:                            ;   Parent Loop BB12_47 Depth=1
                                        ;     Parent Loop BB12_57 Depth=2
                                        ; =>    This Inner Loop Header: Depth=3
	flat_load_u16 v4, v[10:11] th:TH_LOAD_NT
	s_wait_xcnt 0x0
	s_and_saveexec_b32 s75, s74
	s_cbranch_execz .LBB12_1236
; %bb.1231:                             ;   in Loop: Header=BB12_1230 Depth=3
	v_lshlrev_b32_e32 v1, 16, v1
	s_delay_alu instid0(VALU_DEP_1) | instskip(NEXT) | instid1(VALU_DEP_1)
	v_mul_f32_e32 v1, v0, v1
	v_and_b32_e32 v5, 0x7f800000, v1
	s_delay_alu instid0(VALU_DEP_1) | instskip(SKIP_1) | instid1(SALU_CYCLE_1)
	v_cmp_ne_u32_e32 vcc_lo, 0x7f800000, v5
                                        ; implicit-def: $vgpr5
	s_and_saveexec_b32 s74, vcc_lo
	s_xor_b32 s74, exec_lo, s74
; %bb.1232:                             ;   in Loop: Header=BB12_1230 Depth=3
	v_bfe_u32 v5, v1, 16, 1
	s_delay_alu instid0(VALU_DEP_1)
	v_add3_u32 v5, v1, v5, 0x7fff
                                        ; implicit-def: $vgpr1
; %bb.1233:                             ;   in Loop: Header=BB12_1230 Depth=3
	s_and_not1_saveexec_b32 s74, s74
; %bb.1234:                             ;   in Loop: Header=BB12_1230 Depth=3
	v_and_b32_e32 v5, 0xffff, v1
	v_or_b32_e32 v6, 0x10000, v1
	s_delay_alu instid0(VALU_DEP_2) | instskip(NEXT) | instid1(VALU_DEP_2)
	v_cmp_eq_u32_e32 vcc_lo, 0, v5
	v_cndmask_b32_e32 v5, v6, v1, vcc_lo
; %bb.1235:                             ;   in Loop: Header=BB12_1230 Depth=3
	s_or_b32 exec_lo, exec_lo, s74
	v_add_nc_u64_e32 v[6:7], 64, v[104:105]
	s_delay_alu instid0(VALU_DEP_2)
	v_lshrrev_b32_e32 v1, 16, v5
	flat_store_b16 v[8:9], v1 th:TH_STORE_NT
	s_wait_xcnt 0x0
	v_add_nc_u64_e32 v[8:9], v[8:9], v[6:7]
.LBB12_1236:                            ;   in Loop: Header=BB12_1230 Depth=3
	s_or_b32 exec_lo, exec_lo, s75
	v_add_nc_u64_e32 v[6:7], 64, v[104:105]
	v_sub_nc_u32_e32 v2, v2, v111
	s_delay_alu instid0(VALU_DEP_1) | instskip(NEXT) | instid1(VALU_DEP_3)
	v_cmp_lt_i32_e64 s74, 1, v2
	v_add_nc_u64_e32 v[10:11], v[10:11], v[6:7]
	s_and_saveexec_b32 s75, s74
	s_cbranch_execz .LBB12_1238
; %bb.1237:                             ;   in Loop: Header=BB12_1230 Depth=3
	flat_load_u16 v1, v[10:11] th:TH_LOAD_NT
	s_wait_xcnt 0x0
	v_add_nc_u64_e32 v[10:11], 64, v[10:11]
.LBB12_1238:                            ;   in Loop: Header=BB12_1230 Depth=3
	s_or_b32 exec_lo, exec_lo, s75
	s_wait_loadcnt_dscnt 0x0
	v_lshlrev_b32_e32 v4, 16, v4
	s_delay_alu instid0(VALU_DEP_1) | instskip(NEXT) | instid1(VALU_DEP_1)
	v_mul_f32_e32 v5, v0, v4
	v_and_b32_e32 v4, 0x7f800000, v5
	s_delay_alu instid0(VALU_DEP_1) | instskip(SKIP_1) | instid1(SALU_CYCLE_1)
	v_cmp_ne_u32_e32 vcc_lo, 0x7f800000, v4
                                        ; implicit-def: $vgpr4
	s_and_saveexec_b32 s75, vcc_lo
	s_xor_b32 s75, exec_lo, s75
; %bb.1239:                             ;   in Loop: Header=BB12_1230 Depth=3
	v_bfe_u32 v4, v5, 16, 1
	s_delay_alu instid0(VALU_DEP_1)
	v_add3_u32 v4, v5, v4, 0x7fff
                                        ; implicit-def: $vgpr5
; %bb.1240:                             ;   in Loop: Header=BB12_1230 Depth=3
	s_and_not1_saveexec_b32 s75, s75
	s_cbranch_execz .LBB12_1229
; %bb.1241:                             ;   in Loop: Header=BB12_1230 Depth=3
	v_and_b32_e32 v4, 0xffff, v5
	v_or_b32_e32 v6, 0x10000, v5
	s_delay_alu instid0(VALU_DEP_2) | instskip(NEXT) | instid1(VALU_DEP_2)
	v_cmp_eq_u32_e32 vcc_lo, 0, v4
	v_cndmask_b32_e32 v4, v6, v5, vcc_lo
	s_branch .LBB12_1229
.LBB12_1242:                            ;   in Loop: Header=BB12_57 Depth=2
	s_or_b32 exec_lo, exec_lo, s40
	s_delay_alu instid0(SALU_CYCLE_1)
	s_and_b32 exec_lo, exec_lo, s41
	s_cbranch_execz .LBB12_1248
; %bb.1243:                             ;   in Loop: Header=BB12_57 Depth=2
	v_lshlrev_b32_e32 v1, 16, v1
	s_delay_alu instid0(VALU_DEP_1) | instskip(NEXT) | instid1(VALU_DEP_1)
	v_mul_f32_e32 v0, v0, v1
	v_and_b32_e32 v1, 0x7f800000, v0
	s_delay_alu instid0(VALU_DEP_1) | instskip(SKIP_1) | instid1(SALU_CYCLE_1)
	v_cmp_ne_u32_e32 vcc_lo, 0x7f800000, v1
                                        ; implicit-def: $vgpr1
	s_and_saveexec_b32 s40, vcc_lo
	s_xor_b32 s40, exec_lo, s40
; %bb.1244:                             ;   in Loop: Header=BB12_57 Depth=2
	v_bfe_u32 v1, v0, 16, 1
	s_delay_alu instid0(VALU_DEP_1)
	v_add3_u32 v1, v0, v1, 0x7fff
                                        ; implicit-def: $vgpr0
; %bb.1245:                             ;   in Loop: Header=BB12_57 Depth=2
	s_and_not1_saveexec_b32 s40, s40
; %bb.1246:                             ;   in Loop: Header=BB12_57 Depth=2
	v_and_b32_e32 v1, 0xffff, v0
	v_or_b32_e32 v2, 0x10000, v0
	s_delay_alu instid0(VALU_DEP_2) | instskip(NEXT) | instid1(VALU_DEP_2)
	v_cmp_eq_u32_e32 vcc_lo, 0, v1
	v_cndmask_b32_e32 v1, v2, v0, vcc_lo
; %bb.1247:                             ;   in Loop: Header=BB12_57 Depth=2
	s_or_b32 exec_lo, exec_lo, s40
	flat_store_d16_hi_b16 v[8:9], v1 th:TH_STORE_NT
.LBB12_1248:                            ;   in Loop: Header=BB12_57 Depth=2
	s_wait_xcnt 0x0
	s_or_b32 exec_lo, exec_lo, s13
	v_cmp_lt_i32_e64 s13, 0, v101
	s_and_saveexec_b32 s40, s2
	s_cbranch_execz .LBB12_1267
.LBB12_1249:                            ;   in Loop: Header=BB12_57 Depth=2
	s_and_saveexec_b32 s41, s3
	s_delay_alu instid0(SALU_CYCLE_1)
	s_xor_b32 s41, exec_lo, s41
	s_cbranch_execz .LBB12_1264
; %bb.1250:                             ;   in Loop: Header=BB12_57 Depth=2
	s_and_saveexec_b32 s74, s6
	s_cbranch_execz .LBB12_1263
; %bb.1251:                             ;   in Loop: Header=BB12_57 Depth=2
	s_mov_b32 s76, exec_lo
	s_mov_b32 s75, exec_lo
	v_mbcnt_lo_u32_b32 v0, s76, 0
	global_wb scope:SCOPE_DEV
	s_wait_storecnt 0x0
	s_wait_loadcnt_dscnt 0x0
	global_inv scope:SCOPE_DEV
	v_cmpx_eq_u32_e32 0, v0
	s_cbranch_execz .LBB12_1253
; %bb.1252:                             ;   in Loop: Header=BB12_57 Depth=2
	s_bcnt1_i32_b32 s76, s76
	s_delay_alu instid0(SALU_CYCLE_1)
	v_mov_b32_e32 v2, s76
	s_wait_loadcnt 0x0
	ds_add_u64 v0, v[2:3]
	s_trap 2
.LBB12_1253:                            ;   in Loop: Header=BB12_57 Depth=2
	s_or_b32 exec_lo, exec_lo, s75
	s_trap 2
	ds_load_b64 v[0:1], v0
	s_wait_dscnt 0x0
	v_add_nc_u64_e32 v[56:57], v[56:57], v[60:61]
	s_mov_b32 s75, exec_lo
	s_delay_alu instid0(VALU_DEP_1)
	v_cmpx_lt_u64_e64 v[0:1], v[56:57]
	s_cbranch_execz .LBB12_1262
; %bb.1254:                             ;   in Loop: Header=BB12_57 Depth=2
	s_mov_b32 s76, 0
	s_mov_b32 s79, 0
                                        ; implicit-def: $sgpr77
                                        ; implicit-def: $sgpr78
	s_branch .LBB12_1256
.LBB12_1255:                            ;   in Loop: Header=BB12_1256 Depth=3
	s_or_b32 exec_lo, exec_lo, s89
	s_delay_alu instid0(SALU_CYCLE_1) | instskip(NEXT) | instid1(SALU_CYCLE_1)
	s_and_b32 s88, exec_lo, s90
	s_or_b32 s76, s88, s76
	s_and_not1_b32 s77, s77, exec_lo
	s_and_b32 s88, s78, exec_lo
	s_delay_alu instid0(SALU_CYCLE_1)
	s_or_b32 s77, s77, s88
	s_and_not1_b32 exec_lo, exec_lo, s76
	s_cbranch_execz .LBB12_1260
.LBB12_1256:                            ;   Parent Loop BB12_47 Depth=1
                                        ;     Parent Loop BB12_57 Depth=2
                                        ; =>    This Inner Loop Header: Depth=3
	s_add_co_i32 s79, s79, 1
	s_delay_alu instid0(SALU_CYCLE_1) | instskip(SKIP_1) | instid1(SALU_CYCLE_1)
	s_cmp_lg_u32 s79, 0x2710
	s_cselect_b32 s88, -1, 0
	s_and_b32 vcc_lo, exec_lo, s88
	s_cbranch_vccz .LBB12_1258
; %bb.1257:                             ;   in Loop: Header=BB12_1256 Depth=3
	s_mov_b32 s90, -1
	s_or_b32 s78, s78, exec_lo
	s_and_saveexec_b32 s89, s88
	s_cbranch_execz .LBB12_1255
	s_branch .LBB12_1259
.LBB12_1258:                            ;   in Loop: Header=BB12_1256 Depth=3
	s_trap 2
	ds_load_b64 v[0:1], v0
	s_and_not1_b32 s88, s88, exec_lo
	s_mov_b32 s79, 0
	s_wait_loadcnt_dscnt 0x0
	flat_load_b32 v0, v[0:1] scope:SCOPE_SYS
	s_wait_loadcnt_dscnt 0x0
	global_inv scope:SCOPE_SYS
	v_cmp_eq_u32_e32 vcc_lo, 0, v0
	s_and_b32 s89, vcc_lo, exec_lo
	s_delay_alu instid0(SALU_CYCLE_1)
	s_or_b32 s88, s88, s89
	s_mov_b32 s90, -1
	s_or_b32 s78, s78, exec_lo
	s_wait_xcnt 0x0
	s_and_saveexec_b32 s89, s88
	s_cbranch_execz .LBB12_1255
.LBB12_1259:                            ;   in Loop: Header=BB12_1256 Depth=3
	s_sleep 1
	s_trap 2
	ds_load_b64 v[0:1], v0
	s_wait_dscnt 0x0
	s_and_not1_b32 s78, s78, exec_lo
	v_cmp_ge_u64_e32 vcc_lo, v[0:1], v[56:57]
	s_or_not1_b32 s90, vcc_lo, exec_lo
	s_branch .LBB12_1255
.LBB12_1260:                            ;   in Loop: Header=BB12_57 Depth=2
	s_or_b32 exec_lo, exec_lo, s76
	s_and_saveexec_b32 s76, s77
	s_delay_alu instid0(SALU_CYCLE_1)
	s_xor_b32 s76, exec_lo, s76
	s_cbranch_execz .LBB12_1262
; %bb.1261:                             ;   in Loop: Header=BB12_57 Depth=2
	v_mov_b32_e32 v0, 1
	ds_store_b32 v0, v0
	s_trap 2
.LBB12_1262:                            ;   in Loop: Header=BB12_57 Depth=2
	s_or_b32 exec_lo, exec_lo, s75
	;;#ASMSTART
	s_wakeup
	;;#ASMEND
.LBB12_1263:                            ;   in Loop: Header=BB12_57 Depth=2
	s_or_b32 exec_lo, exec_lo, s74
.LBB12_1264:                            ;   in Loop: Header=BB12_57 Depth=2
	s_and_not1_saveexec_b32 s41, s41
	s_cbranch_execz .LBB12_1266
; %bb.1265:                             ;   in Loop: Header=BB12_57 Depth=2
	global_wb scope:SCOPE_DEV
	s_wait_storecnt 0x0
	s_wait_loadcnt_dscnt 0x0
	global_inv scope:SCOPE_DEV
	s_barrier_signal -1
	s_barrier_wait -1
.LBB12_1266:                            ;   in Loop: Header=BB12_57 Depth=2
	s_or_b32 exec_lo, exec_lo, s41
.LBB12_1267:                            ;   in Loop: Header=BB12_57 Depth=2
	s_delay_alu instid0(SALU_CYCLE_1) | instskip(SKIP_2) | instid1(SALU_CYCLE_1)
	s_or_b32 exec_lo, exec_lo, s40
	v_and_b32_e32 v0, 16, v126
	s_and_saveexec_b32 s40, s12
	s_xor_b32 s40, exec_lo, s40
	s_cbranch_execz .LBB12_1271
; %bb.1268:                             ;   in Loop: Header=BB12_57 Depth=2
	v_and_b32_e32 v0, 16, v126
	s_delay_alu instid0(VALU_DEP_1) | instskip(SKIP_2) | instid1(SALU_CYCLE_1)
	v_cmp_ne_u32_e32 vcc_lo, 0, v0
	v_and_b32_e32 v0, 16, v126
	s_and_b32 s41, vcc_lo, s13
	s_and_saveexec_b32 s13, s41
	s_cbranch_execz .LBB12_1270
; %bb.1269:                             ;   in Loop: Header=BB12_57 Depth=2
	v_mov_b32_e32 v0, 1
	global_wb scope:SCOPE_SYS
	s_wait_storecnt 0x0
	s_wait_loadcnt_dscnt 0x0
	global_inv scope:SCOPE_SYS
.LBB12_1270:                            ;   in Loop: Header=BB12_57 Depth=2
	s_or_b32 exec_lo, exec_lo, s13
.LBB12_1271:                            ;   in Loop: Header=BB12_57 Depth=2
	s_and_not1_saveexec_b32 s13, s40
	s_cbranch_execz .LBB12_1290
; %bb.1272:                             ;   in Loop: Header=BB12_57 Depth=2
	s_and_saveexec_b32 s40, s3
	s_delay_alu instid0(SALU_CYCLE_1)
	s_xor_b32 s40, exec_lo, s40
	s_cbranch_execz .LBB12_1287
; %bb.1273:                             ;   in Loop: Header=BB12_57 Depth=2
	s_and_saveexec_b32 s41, s6
	s_cbranch_execz .LBB12_1286
; %bb.1274:                             ;   in Loop: Header=BB12_57 Depth=2
	s_mov_b32 s75, exec_lo
	s_mov_b32 s74, exec_lo
	v_mbcnt_lo_u32_b32 v1, s75, 0
	;;#ASMSTART
	s_waitcnt lgkmcnt(0) vmcnt(0)
	;;#ASMEND
	s_delay_alu instid0(VALU_DEP_1)
	v_cmpx_eq_u32_e32 0, v1
	s_cbranch_execz .LBB12_1276
; %bb.1275:                             ;   in Loop: Header=BB12_57 Depth=2
	s_bcnt1_i32_b32 s75, s75
	s_delay_alu instid0(SALU_CYCLE_1)
	v_mov_b32_e32 v2, s75
	s_wait_storecnt 0x0
	s_wait_loadcnt_dscnt 0x0
	ds_add_u64 v0, v[2:3]
	s_trap 2
.LBB12_1276:                            ;   in Loop: Header=BB12_57 Depth=2
	s_or_b32 exec_lo, exec_lo, s74
	s_trap 2
	s_wait_loadcnt 0x1
	ds_load_b64 v[4:5], v0
	s_wait_dscnt 0x0
	v_add_nc_u64_e32 v[56:57], v[56:57], v[60:61]
	s_mov_b32 s74, exec_lo
	s_delay_alu instid0(VALU_DEP_1)
	v_cmpx_lt_u64_e64 v[4:5], v[56:57]
	s_cbranch_execz .LBB12_1285
; %bb.1277:                             ;   in Loop: Header=BB12_57 Depth=2
	s_mov_b32 s75, 0
	s_mov_b32 s78, 0
                                        ; implicit-def: $sgpr76
                                        ; implicit-def: $sgpr77
	s_branch .LBB12_1279
.LBB12_1278:                            ;   in Loop: Header=BB12_1279 Depth=3
	s_or_b32 exec_lo, exec_lo, s88
	s_delay_alu instid0(SALU_CYCLE_1) | instskip(NEXT) | instid1(SALU_CYCLE_1)
	s_and_b32 s79, exec_lo, s89
	s_or_b32 s75, s79, s75
	s_and_not1_b32 s76, s76, exec_lo
	s_and_b32 s79, s77, exec_lo
	s_delay_alu instid0(SALU_CYCLE_1)
	s_or_b32 s76, s76, s79
	s_and_not1_b32 exec_lo, exec_lo, s75
	s_cbranch_execz .LBB12_1283
.LBB12_1279:                            ;   Parent Loop BB12_47 Depth=1
                                        ;     Parent Loop BB12_57 Depth=2
                                        ; =>    This Inner Loop Header: Depth=3
	s_add_co_i32 s78, s78, 1
	s_delay_alu instid0(SALU_CYCLE_1) | instskip(SKIP_1) | instid1(SALU_CYCLE_1)
	s_cmp_lg_u32 s78, 0x2710
	s_cselect_b32 s79, -1, 0
	s_and_b32 vcc_lo, exec_lo, s79
	s_cbranch_vccz .LBB12_1281
; %bb.1280:                             ;   in Loop: Header=BB12_1279 Depth=3
	s_mov_b32 s89, -1
	s_or_b32 s77, s77, exec_lo
	s_and_saveexec_b32 s88, s79
	s_cbranch_execz .LBB12_1278
	s_branch .LBB12_1282
.LBB12_1281:                            ;   in Loop: Header=BB12_1279 Depth=3
	s_trap 2
	ds_load_b64 v[4:5], v0
	s_and_not1_b32 s79, s79, exec_lo
	s_mov_b32 s78, 0
	s_wait_storecnt 0x0
	s_wait_loadcnt_dscnt 0x0
	flat_load_b32 v1, v[4:5] scope:SCOPE_SYS
	s_wait_loadcnt_dscnt 0x0
	global_inv scope:SCOPE_SYS
	v_cmp_eq_u32_e32 vcc_lo, 0, v1
	s_and_b32 s88, vcc_lo, exec_lo
	s_delay_alu instid0(SALU_CYCLE_1)
	s_or_b32 s79, s79, s88
	s_mov_b32 s89, -1
	s_or_b32 s77, s77, exec_lo
	s_wait_xcnt 0x0
	s_and_saveexec_b32 s88, s79
	s_cbranch_execz .LBB12_1278
.LBB12_1282:                            ;   in Loop: Header=BB12_1279 Depth=3
	s_sleep 1
	s_trap 2
	ds_load_b64 v[4:5], v0
	s_wait_dscnt 0x0
	s_and_not1_b32 s77, s77, exec_lo
	v_cmp_ge_u64_e32 vcc_lo, v[4:5], v[56:57]
	s_or_not1_b32 s89, vcc_lo, exec_lo
	s_branch .LBB12_1278
.LBB12_1283:                            ;   in Loop: Header=BB12_57 Depth=2
	s_or_b32 exec_lo, exec_lo, s75
	s_and_saveexec_b32 s75, s76
	s_delay_alu instid0(SALU_CYCLE_1)
	s_xor_b32 s75, exec_lo, s75
	s_cbranch_execz .LBB12_1285
; %bb.1284:                             ;   in Loop: Header=BB12_57 Depth=2
	v_mov_b32_e32 v1, 1
	ds_store_b32 v0, v1
	s_trap 2
.LBB12_1285:                            ;   in Loop: Header=BB12_57 Depth=2
	s_or_b32 exec_lo, exec_lo, s74
	;;#ASMSTART
	s_wakeup
	;;#ASMEND
.LBB12_1286:                            ;   in Loop: Header=BB12_57 Depth=2
	s_or_b32 exec_lo, exec_lo, s41
.LBB12_1287:                            ;   in Loop: Header=BB12_57 Depth=2
	s_and_not1_saveexec_b32 s40, s40
	s_cbranch_execz .LBB12_1289
; %bb.1288:                             ;   in Loop: Header=BB12_57 Depth=2
	;;#ASMSTART
	s_waitcnt lgkmcnt(0) vmcnt(0)
	;;#ASMEND
	s_barrier_signal -1
	s_barrier_wait -1
.LBB12_1289:                            ;   in Loop: Header=BB12_57 Depth=2
	s_or_b32 exec_lo, exec_lo, s40
.LBB12_1290:                            ;   in Loop: Header=BB12_57 Depth=2
	s_delay_alu instid0(SALU_CYCLE_1) | instskip(NEXT) | instid1(SALU_CYCLE_1)
	s_or_b32 exec_lo, exec_lo, s13
	s_mov_b32 s13, exec_lo
	v_cmpx_ne_u32_e32 0, v0
	s_cbranch_execz .LBB12_56
; %bb.1291:                             ;   in Loop: Header=BB12_57 Depth=2
	s_and_saveexec_b32 s40, s5
	s_cbranch_execz .LBB12_55
; %bb.1292:                             ;   in Loop: Header=BB12_57 Depth=2
	scratch_load_b64 v[0:1], off, s33 offset:304 ; 8-byte Folded Reload
	v_mov_b32_e32 v2, 1
	global_wb scope:SCOPE_SYS
	s_wait_storecnt 0x0
	s_wait_xcnt 0x0
	s_wait_loadcnt_dscnt 0x0
	flat_store_b32 v[0:1], v2 scope:SCOPE_SYS
	s_branch .LBB12_55
.LBB12_1293:                            ;   in Loop: Header=BB12_47 Depth=1
	s_or_b32 exec_lo, exec_lo, s15
.LBB12_1294:                            ;   in Loop: Header=BB12_47 Depth=1
	s_delay_alu instid0(SALU_CYCLE_1) | instskip(NEXT) | instid1(SALU_CYCLE_1)
	s_or_b32 exec_lo, exec_lo, s14
	s_mov_b32 s14, exec_lo
	v_cmpx_gt_i32_e32 2, v0
	s_cbranch_execz .LBB12_1368
; %bb.1295:                             ;   in Loop: Header=BB12_47 Depth=1
	v_cmp_eq_u32_e64 s18, 0, v0
	s_mov_b32 s15, 0
	s_branch .LBB12_1298
.LBB12_1296:                            ;   in Loop: Header=BB12_1298 Depth=2
	s_wait_xcnt 0x0
	s_or_b32 exec_lo, exec_lo, s18
	v_add_nc_u64_e32 v[116:117], 2, v[116:117]
	global_wb scope:SCOPE_SYS
	s_wait_storecnt 0x0
	s_wait_loadcnt_dscnt 0x0
	flat_store_b64 v[40:41], v[116:117] scope:SCOPE_SYS
.LBB12_1297:                            ;   in Loop: Header=BB12_1298 Depth=2
	s_wait_xcnt 0x0
	s_or_b32 exec_lo, exec_lo, s13
	v_add_nc_u32_e32 v112, v102, v112
	s_mov_b32 s18, 0
	s_and_not1_b32 exec_lo, exec_lo, s15
	s_cbranch_execz .LBB12_1367
.LBB12_1298:                            ;   Parent Loop BB12_47 Depth=1
                                        ; =>  This Loop Header: Depth=2
                                        ;       Child Loop BB12_1304 Depth 3
                                        ;       Child Loop BB12_1328 Depth 3
	;; [unrolled: 1-line block ×3, first 2 shown]
	s_delay_alu instid0(VALU_DEP_1) | instskip(SKIP_1) | instid1(VALU_DEP_1)
	v_dual_sub_nc_u32 v0, v100, v112 :: v_dual_bitop2_b32 v1, 8, v126 bitop3:0x40
	s_mov_b32 s27, exec_lo
	v_min_i32_e32 v102, v102, v0
	s_delay_alu instid0(VALU_DEP_2)
	v_cmpx_ne_u32_e32 0, v1
	s_cbranch_execz .LBB12_1320
; %bb.1299:                             ;   in Loop: Header=BB12_1298 Depth=2
	s_wait_dscnt 0x1
	v_add_nc_u64_e32 v[0:1], 8, v[58:59]
	s_wait_loadcnt 0x0
	v_add_nc_u64_e32 v[8:9], 2, v[116:117]
	s_mov_b32 s40, exec_lo
	s_delay_alu instid0(VALU_DEP_1)
	v_cmpx_lt_u64_e64 v[0:1], v[8:9]
	s_cbranch_execz .LBB12_1311
; %bb.1300:                             ;   in Loop: Header=BB12_1298 Depth=2
	v_and_b32_e32 v0, 64, v126
	s_mov_b32 s41, 0
	s_mov_b32 s77, 0
                                        ; implicit-def: $sgpr74
                                        ; implicit-def: $sgpr75
                                        ; implicit-def: $sgpr76
	s_delay_alu instid0(VALU_DEP_1)
	v_cmp_eq_u32_e32 vcc_lo, 0, v0
	s_branch .LBB12_1304
.LBB12_1301:                            ;   in Loop: Header=BB12_1304 Depth=3
	s_wait_loadcnt_dscnt 0x0
	v_add_nc_u64_e32 v[4:5], 8, v[58:59]
	s_or_b32 s88, s88, exec_lo
	s_delay_alu instid0(VALU_DEP_1)
	v_cmp_ge_u64_e64 s13, v[4:5], v[8:9]
	s_or_not1_b32 s79, s13, exec_lo
.LBB12_1302:                            ;   in Loop: Header=BB12_1304 Depth=3
	s_or_b32 exec_lo, exec_lo, s90
	s_delay_alu instid0(SALU_CYCLE_1)
	s_and_not1_b32 s13, s76, exec_lo
	s_and_b32 s76, s88, exec_lo
	s_and_not1_b32 s75, s75, exec_lo
	s_and_b32 s79, s79, exec_lo
	s_or_b32 s76, s13, s76
	s_or_b32 s75, s75, s79
.LBB12_1303:                            ;   in Loop: Header=BB12_1304 Depth=3
	s_or_b32 exec_lo, exec_lo, s78
	s_delay_alu instid0(SALU_CYCLE_1) | instskip(NEXT) | instid1(SALU_CYCLE_1)
	s_and_b32 s13, exec_lo, s75
	s_or_b32 s41, s13, s41
	s_and_not1_b32 s13, s74, exec_lo
	s_and_b32 s74, s76, exec_lo
	s_delay_alu instid0(SALU_CYCLE_1)
	s_or_b32 s74, s13, s74
	s_and_not1_b32 exec_lo, exec_lo, s41
	s_cbranch_execz .LBB12_1308
.LBB12_1304:                            ;   Parent Loop BB12_47 Depth=1
                                        ;     Parent Loop BB12_1298 Depth=2
                                        ; =>    This Inner Loop Header: Depth=3
	s_sleep 1
	s_wait_loadcnt_dscnt 0x0
	flat_load_b64 v[58:59], v[40:41] scope:SCOPE_SYS
	s_or_b32 s76, s76, exec_lo
	s_or_b32 s75, s75, exec_lo
                                        ; implicit-def: $vgpr0
	s_wait_xcnt 0x0
	s_and_saveexec_b32 s78, vcc_lo
	s_cbranch_execz .LBB12_1303
; %bb.1305:                             ;   in Loop: Header=BB12_1304 Depth=3
	s_cmp_lt_i32 s77, 0x270f
	s_mov_b32 s79, -1
	s_cselect_b32 s89, -1, 0
	s_cmp_gt_i32 s77, 0x270e
	s_cbranch_scc0 .LBB12_1307
; %bb.1306:                             ;   in Loop: Header=BB12_1304 Depth=3
	s_trap 2
	ds_load_b64 v[0:1], v0
	s_and_not1_b32 s77, s89, exec_lo
	s_mov_b32 s88, 0
	s_wait_storecnt 0x0
	s_wait_loadcnt_dscnt 0x0
	flat_load_b32 v0, v[0:1] scope:SCOPE_SYS
	s_wait_loadcnt_dscnt 0x0
	global_inv scope:SCOPE_SYS
	v_cmp_eq_u32_e64 s13, 0, v0
	s_and_b32 s13, s13, exec_lo
	s_delay_alu instid0(SALU_CYCLE_1)
	s_or_b32 s89, s77, s13
	s_mov_b32 s77, 0
	s_wait_xcnt 0x0
	s_and_saveexec_b32 s90, s89
	s_cbranch_execz .LBB12_1302
	s_branch .LBB12_1301
.LBB12_1307:                            ;   in Loop: Header=BB12_1304 Depth=3
	s_add_co_i32 s77, s77, 1
	s_mov_b32 s88, -1
                                        ; implicit-def: $vgpr0
	s_and_saveexec_b32 s90, s89
	s_cbranch_execz .LBB12_1302
	s_branch .LBB12_1301
.LBB12_1308:                            ;   in Loop: Header=BB12_1298 Depth=2
	s_or_b32 exec_lo, exec_lo, s41
	s_xor_b32 s13, s74, -1
	s_delay_alu instid0(SALU_CYCLE_1) | instskip(NEXT) | instid1(SALU_CYCLE_1)
	s_and_saveexec_b32 s41, s13
	s_xor_b32 s13, exec_lo, s41
	s_cbranch_execz .LBB12_1310
; %bb.1309:                             ;   in Loop: Header=BB12_1298 Depth=2
	v_or_b32_e32 v126, 64, v126
	s_wait_storecnt 0x0
	s_wait_loadcnt_dscnt 0x0
	ds_store_b32 v0, v0
	s_trap 2
.LBB12_1310:                            ;   in Loop: Header=BB12_1298 Depth=2
	s_or_b32 exec_lo, exec_lo, s13
.LBB12_1311:                            ;   in Loop: Header=BB12_1298 Depth=2
	s_delay_alu instid0(SALU_CYCLE_1)
	s_or_b32 exec_lo, exec_lo, s40
	v_and_b32_e32 v0, 0x100, v126
	v_and_b32_e32 v2, 7, v116
	s_mov_b32 s40, 0
	s_mov_b32 s13, exec_lo
	;;#ASMSTART
	s_wakeup
	;;#ASMEND
                                        ; implicit-def: $vgpr10_vgpr11
	v_cmpx_ne_u32_e32 0, v0
	s_xor_b32 s13, exec_lo, s13
	s_cbranch_execz .LBB12_1332
; %bb.1312:                             ;   in Loop: Header=BB12_1298 Depth=2
	scratch_load_b128 v[4:7], off, s33 offset:288 ; 16-byte Folded Reload
	v_ashrrev_i32_e32 v103, 31, v102
	s_mov_b32 s40, -1
	s_mov_b32 s41, exec_lo
                                        ; implicit-def: $vgpr10_vgpr11
	s_delay_alu instid0(VALU_DEP_1)
	v_lshlrev_b64_e32 v[0:1], 1, v[102:103]
	s_wait_loadcnt 0x0
	v_mad_nc_u64_u32 v[12:13], v2, 24, v[4:5]
	s_clause 0x1
	flat_load_b32 v4, v[12:13]
	flat_store_b64 v[12:13], v[0:1] offset:8
	s_wait_loadcnt_dscnt 0x1
	s_wait_xcnt 0x0
	v_cmpx_eq_u32_e32 1, v4
	s_cbranch_execz .LBB12_1314
; %bb.1313:                             ;   in Loop: Header=BB12_1298 Depth=2
	flat_load_b32 v0, v[12:13] offset:4 scope:SCOPE_SYS
	s_xor_b32 s40, exec_lo, -1
	s_wait_loadcnt_dscnt 0x0
	v_ashrrev_i32_e32 v1, 31, v0
	s_delay_alu instid0(VALU_DEP_1)
	v_lshrrev_b64 v[10:11], 1, v[0:1]
.LBB12_1314:                            ;   in Loop: Header=BB12_1298 Depth=2
	s_wait_xcnt 0x0
	s_or_b32 exec_lo, exec_lo, s41
	s_delay_alu instid0(SALU_CYCLE_1)
	s_and_b32 s40, s40, exec_lo
	s_and_not1_saveexec_b32 s13, s13
	s_cbranch_execnz .LBB12_1333
.LBB12_1315:                            ;   in Loop: Header=BB12_1298 Depth=2
	s_or_b32 exec_lo, exec_lo, s13
	s_and_saveexec_b32 s13, s40
	s_cbranch_execz .LBB12_1317
.LBB12_1316:                            ;   in Loop: Header=BB12_1298 Depth=2
	scratch_load_b64 v[0:1], off, s33 offset:312 ; 8-byte Folded Reload
	s_wait_loadcnt 0x0
	v_mul_u64_e32 v[10:11], v[2:3], v[0:1]
.LBB12_1317:                            ;   in Loop: Header=BB12_1298 Depth=2
	s_wait_xcnt 0x0
	s_or_b32 exec_lo, exec_lo, s13
	scratch_load_b64 v[0:1], off, s33 offset:280 ; 8-byte Folded Reload
	v_and_b32_e32 v2, 0x2000, v126
	s_mov_b32 s13, exec_lo
	s_wait_loadcnt 0x0
	v_lshl_add_u64 v[0:1], v[10:11], 1, v[0:1]
	ds_store_b64 v0, v[0:1] offset:784
	s_wait_xcnt 0x0
	v_cmpx_ne_u32_e32 0, v2
	s_cbranch_execz .LBB12_1319
; %bb.1318:                             ;   in Loop: Header=BB12_1298 Depth=2
	ds_load_b64 v[0:1], v0 offset:872
	s_wait_dscnt 0x0
	v_add_nc_u64_e32 v[0:1], 1, v[0:1]
	ds_store_b64 v0, v[0:1] offset:872
.LBB12_1319:                            ;   in Loop: Header=BB12_1298 Depth=2
	s_or_b32 exec_lo, exec_lo, s13
	v_mov_b64_e32 v[116:117], v[8:9]
.LBB12_1320:                            ;   in Loop: Header=BB12_1298 Depth=2
	s_or_b32 exec_lo, exec_lo, s27
	s_xor_b32 s13, s18, -1
	s_delay_alu instid0(SALU_CYCLE_1) | instskip(NEXT) | instid1(SALU_CYCLE_1)
	s_and_b32 s13, exec_lo, s13
	s_or_b32 s15, s13, s15
	s_and_saveexec_b32 s13, s2
	s_cbranch_execz .LBB12_1341
; %bb.1321:                             ;   in Loop: Header=BB12_1298 Depth=2
	s_and_saveexec_b32 s18, s3
	s_delay_alu instid0(SALU_CYCLE_1)
	s_xor_b32 s18, exec_lo, s18
	s_cbranch_execz .LBB12_1338
; %bb.1322:                             ;   in Loop: Header=BB12_1298 Depth=2
	s_and_saveexec_b32 s27, s6
	s_cbranch_execz .LBB12_1337
; %bb.1323:                             ;   in Loop: Header=BB12_1298 Depth=2
	s_mov_b32 s41, exec_lo
	s_mov_b32 s40, exec_lo
	v_mbcnt_lo_u32_b32 v0, s41, 0
	global_wb scope:SCOPE_DEV
	s_wait_storecnt 0x0
	s_wait_loadcnt_dscnt 0x0
	global_inv scope:SCOPE_DEV
	v_cmpx_eq_u32_e32 0, v0
	s_cbranch_execz .LBB12_1325
; %bb.1324:                             ;   in Loop: Header=BB12_1298 Depth=2
	s_bcnt1_i32_b32 s41, s41
	s_delay_alu instid0(SALU_CYCLE_1)
	v_mov_b32_e32 v2, s41
	s_wait_loadcnt 0x0
	ds_add_u64 v0, v[2:3]
	s_trap 2
.LBB12_1325:                            ;   in Loop: Header=BB12_1298 Depth=2
	s_or_b32 exec_lo, exec_lo, s40
	s_trap 2
	ds_load_b64 v[0:1], v0
	s_wait_dscnt 0x0
	v_add_nc_u64_e32 v[56:57], v[56:57], v[60:61]
	s_mov_b32 s40, exec_lo
	s_delay_alu instid0(VALU_DEP_1)
	v_cmpx_lt_u64_e64 v[0:1], v[56:57]
	s_cbranch_execz .LBB12_1336
; %bb.1326:                             ;   in Loop: Header=BB12_1298 Depth=2
	s_mov_b32 s41, 0
	s_mov_b32 s76, 0
                                        ; implicit-def: $sgpr74
                                        ; implicit-def: $sgpr75
	s_branch .LBB12_1328
.LBB12_1327:                            ;   in Loop: Header=BB12_1328 Depth=3
	s_or_b32 exec_lo, exec_lo, s78
	s_delay_alu instid0(SALU_CYCLE_1) | instskip(NEXT) | instid1(SALU_CYCLE_1)
	s_and_b32 s77, exec_lo, s79
	s_or_b32 s41, s77, s41
	s_and_not1_b32 s74, s74, exec_lo
	s_and_b32 s77, s75, exec_lo
	s_delay_alu instid0(SALU_CYCLE_1)
	s_or_b32 s74, s74, s77
	s_and_not1_b32 exec_lo, exec_lo, s41
	s_cbranch_execz .LBB12_1334
.LBB12_1328:                            ;   Parent Loop BB12_47 Depth=1
                                        ;     Parent Loop BB12_1298 Depth=2
                                        ; =>    This Inner Loop Header: Depth=3
	s_add_co_i32 s76, s76, 1
	s_delay_alu instid0(SALU_CYCLE_1) | instskip(SKIP_1) | instid1(SALU_CYCLE_1)
	s_cmp_lg_u32 s76, 0x2710
	s_cselect_b32 s77, -1, 0
	s_and_b32 vcc_lo, exec_lo, s77
	s_cbranch_vccz .LBB12_1330
; %bb.1329:                             ;   in Loop: Header=BB12_1328 Depth=3
	s_mov_b32 s79, -1
	s_or_b32 s75, s75, exec_lo
	s_and_saveexec_b32 s78, s77
	s_cbranch_execz .LBB12_1327
	s_branch .LBB12_1331
.LBB12_1330:                            ;   in Loop: Header=BB12_1328 Depth=3
	s_trap 2
	ds_load_b64 v[0:1], v0
	s_and_not1_b32 s77, s77, exec_lo
	s_mov_b32 s76, 0
	s_wait_loadcnt_dscnt 0x0
	flat_load_b32 v0, v[0:1] scope:SCOPE_SYS
	s_wait_loadcnt_dscnt 0x0
	global_inv scope:SCOPE_SYS
	v_cmp_eq_u32_e32 vcc_lo, 0, v0
	s_and_b32 s78, vcc_lo, exec_lo
	s_delay_alu instid0(SALU_CYCLE_1)
	s_or_b32 s77, s77, s78
	s_mov_b32 s79, -1
	s_or_b32 s75, s75, exec_lo
	s_wait_xcnt 0x0
	s_and_saveexec_b32 s78, s77
	s_cbranch_execz .LBB12_1327
.LBB12_1331:                            ;   in Loop: Header=BB12_1328 Depth=3
	s_sleep 1
	s_trap 2
	ds_load_b64 v[0:1], v0
	s_wait_dscnt 0x0
	s_and_not1_b32 s75, s75, exec_lo
	v_cmp_ge_u64_e32 vcc_lo, v[0:1], v[56:57]
	s_or_not1_b32 s79, vcc_lo, exec_lo
	s_branch .LBB12_1327
.LBB12_1332:                            ;   in Loop: Header=BB12_1298 Depth=2
	s_and_not1_saveexec_b32 s13, s13
	s_cbranch_execz .LBB12_1315
.LBB12_1333:                            ;   in Loop: Header=BB12_1298 Depth=2
	s_or_b32 s40, s40, exec_lo
	s_or_b32 exec_lo, exec_lo, s13
	s_and_saveexec_b32 s13, s40
	s_cbranch_execnz .LBB12_1316
	s_branch .LBB12_1317
.LBB12_1334:                            ;   in Loop: Header=BB12_1298 Depth=2
	s_or_b32 exec_lo, exec_lo, s41
	s_and_saveexec_b32 s41, s74
	s_delay_alu instid0(SALU_CYCLE_1)
	s_xor_b32 s41, exec_lo, s41
	s_cbranch_execz .LBB12_1336
; %bb.1335:                             ;   in Loop: Header=BB12_1298 Depth=2
	v_mov_b32_e32 v0, 1
	ds_store_b32 v0, v0
	s_trap 2
.LBB12_1336:                            ;   in Loop: Header=BB12_1298 Depth=2
	s_or_b32 exec_lo, exec_lo, s40
	;;#ASMSTART
	s_wakeup
	;;#ASMEND
.LBB12_1337:                            ;   in Loop: Header=BB12_1298 Depth=2
	s_or_b32 exec_lo, exec_lo, s27
.LBB12_1338:                            ;   in Loop: Header=BB12_1298 Depth=2
	s_and_not1_saveexec_b32 s18, s18
	s_cbranch_execz .LBB12_1340
; %bb.1339:                             ;   in Loop: Header=BB12_1298 Depth=2
	global_wb scope:SCOPE_DEV
	s_wait_storecnt 0x0
	s_wait_loadcnt_dscnt 0x0
	global_inv scope:SCOPE_DEV
	s_barrier_signal -1
	s_barrier_wait -1
.LBB12_1340:                            ;   in Loop: Header=BB12_1298 Depth=2
	s_or_b32 exec_lo, exec_lo, s18
.LBB12_1341:                            ;   in Loop: Header=BB12_1298 Depth=2
	s_delay_alu instid0(SALU_CYCLE_1) | instskip(SKIP_2) | instid1(SALU_CYCLE_1)
	s_or_b32 exec_lo, exec_lo, s13
	v_and_b32_e32 v0, 16, v126
	s_and_saveexec_b32 s13, s12
	s_xor_b32 s18, exec_lo, s13
	s_cbranch_execz .LBB12_1345
; %bb.1342:                             ;   in Loop: Header=BB12_1298 Depth=2
	s_trap 2
	ds_load_b32 v0, v0
	v_cmp_lt_i32_e32 vcc_lo, 0, v102
	s_wait_dscnt 0x0
	v_readfirstlane_b32 s13, v0
	v_and_b32_e32 v0, 16, v126
	s_cmp_eq_u32 s13, 0
	s_delay_alu instid0(VALU_DEP_1) | instskip(SKIP_3) | instid1(SALU_CYCLE_1)
	v_cmp_ne_u32_e64 s13, 0, v0
	s_cselect_b32 s27, -1, 0
	v_and_b32_e32 v0, 16, v126
	s_and_b32 s27, vcc_lo, s27
	s_and_b32 s27, s13, s27
	s_delay_alu instid0(SALU_CYCLE_1)
	s_and_saveexec_b32 s13, s27
	s_cbranch_execz .LBB12_1344
; %bb.1343:                             ;   in Loop: Header=BB12_1298 Depth=2
	v_mov_b32_e32 v0, 1
	global_wb scope:SCOPE_SYS
	s_wait_loadcnt 0x0
	s_wait_storecnt 0x0
	global_inv scope:SCOPE_SYS
.LBB12_1344:                            ;   in Loop: Header=BB12_1298 Depth=2
	s_or_b32 exec_lo, exec_lo, s13
.LBB12_1345:                            ;   in Loop: Header=BB12_1298 Depth=2
	s_and_not1_saveexec_b32 s13, s18
	s_cbranch_execz .LBB12_1364
; %bb.1346:                             ;   in Loop: Header=BB12_1298 Depth=2
	s_and_saveexec_b32 s18, s3
	s_delay_alu instid0(SALU_CYCLE_1)
	s_xor_b32 s18, exec_lo, s18
	s_cbranch_execz .LBB12_1361
; %bb.1347:                             ;   in Loop: Header=BB12_1298 Depth=2
	s_and_saveexec_b32 s27, s6
	s_cbranch_execz .LBB12_1360
; %bb.1348:                             ;   in Loop: Header=BB12_1298 Depth=2
	s_mov_b32 s41, exec_lo
	s_mov_b32 s40, exec_lo
	v_mbcnt_lo_u32_b32 v1, s41, 0
	;;#ASMSTART
	s_waitcnt lgkmcnt(0) vmcnt(0)
	;;#ASMEND
	s_delay_alu instid0(VALU_DEP_1)
	v_cmpx_eq_u32_e32 0, v1
	s_cbranch_execz .LBB12_1350
; %bb.1349:                             ;   in Loop: Header=BB12_1298 Depth=2
	s_bcnt1_i32_b32 s41, s41
	s_delay_alu instid0(SALU_CYCLE_1)
	v_mov_b32_e32 v2, s41
	s_wait_storecnt 0x0
	s_wait_loadcnt_dscnt 0x0
	ds_add_u64 v0, v[2:3]
	s_trap 2
.LBB12_1350:                            ;   in Loop: Header=BB12_1298 Depth=2
	s_or_b32 exec_lo, exec_lo, s40
	s_trap 2
	s_wait_loadcnt 0x1
	ds_load_b64 v[4:5], v0
	s_wait_dscnt 0x0
	v_add_nc_u64_e32 v[56:57], v[56:57], v[60:61]
	s_mov_b32 s40, exec_lo
	s_delay_alu instid0(VALU_DEP_1)
	v_cmpx_lt_u64_e64 v[4:5], v[56:57]
	s_cbranch_execz .LBB12_1359
; %bb.1351:                             ;   in Loop: Header=BB12_1298 Depth=2
	s_mov_b32 s41, 0
	s_mov_b32 s76, 0
                                        ; implicit-def: $sgpr74
                                        ; implicit-def: $sgpr75
	s_branch .LBB12_1353
.LBB12_1352:                            ;   in Loop: Header=BB12_1353 Depth=3
	s_or_b32 exec_lo, exec_lo, s78
	s_delay_alu instid0(SALU_CYCLE_1) | instskip(NEXT) | instid1(SALU_CYCLE_1)
	s_and_b32 s77, exec_lo, s79
	s_or_b32 s41, s77, s41
	s_and_not1_b32 s74, s74, exec_lo
	s_and_b32 s77, s75, exec_lo
	s_delay_alu instid0(SALU_CYCLE_1)
	s_or_b32 s74, s74, s77
	s_and_not1_b32 exec_lo, exec_lo, s41
	s_cbranch_execz .LBB12_1357
.LBB12_1353:                            ;   Parent Loop BB12_47 Depth=1
                                        ;     Parent Loop BB12_1298 Depth=2
                                        ; =>    This Inner Loop Header: Depth=3
	s_add_co_i32 s76, s76, 1
	s_delay_alu instid0(SALU_CYCLE_1) | instskip(SKIP_1) | instid1(SALU_CYCLE_1)
	s_cmp_lg_u32 s76, 0x2710
	s_cselect_b32 s77, -1, 0
	s_and_b32 vcc_lo, exec_lo, s77
	s_cbranch_vccz .LBB12_1355
; %bb.1354:                             ;   in Loop: Header=BB12_1353 Depth=3
	s_mov_b32 s79, -1
	s_or_b32 s75, s75, exec_lo
	s_and_saveexec_b32 s78, s77
	s_cbranch_execz .LBB12_1352
	s_branch .LBB12_1356
.LBB12_1355:                            ;   in Loop: Header=BB12_1353 Depth=3
	s_trap 2
	ds_load_b64 v[4:5], v0
	s_and_not1_b32 s77, s77, exec_lo
	s_mov_b32 s76, 0
	s_wait_storecnt 0x0
	s_wait_loadcnt_dscnt 0x0
	flat_load_b32 v1, v[4:5] scope:SCOPE_SYS
	s_wait_loadcnt_dscnt 0x0
	global_inv scope:SCOPE_SYS
	v_cmp_eq_u32_e32 vcc_lo, 0, v1
	s_and_b32 s78, vcc_lo, exec_lo
	s_delay_alu instid0(SALU_CYCLE_1)
	s_or_b32 s77, s77, s78
	s_mov_b32 s79, -1
	s_or_b32 s75, s75, exec_lo
	s_wait_xcnt 0x0
	s_and_saveexec_b32 s78, s77
	s_cbranch_execz .LBB12_1352
.LBB12_1356:                            ;   in Loop: Header=BB12_1353 Depth=3
	s_sleep 1
	s_trap 2
	ds_load_b64 v[4:5], v0
	s_wait_dscnt 0x0
	s_and_not1_b32 s75, s75, exec_lo
	v_cmp_ge_u64_e32 vcc_lo, v[4:5], v[56:57]
	s_or_not1_b32 s79, vcc_lo, exec_lo
	s_branch .LBB12_1352
.LBB12_1357:                            ;   in Loop: Header=BB12_1298 Depth=2
	s_or_b32 exec_lo, exec_lo, s41
	s_and_saveexec_b32 s41, s74
	s_delay_alu instid0(SALU_CYCLE_1)
	s_xor_b32 s41, exec_lo, s41
	s_cbranch_execz .LBB12_1359
; %bb.1358:                             ;   in Loop: Header=BB12_1298 Depth=2
	v_mov_b32_e32 v1, 1
	ds_store_b32 v0, v1
	s_trap 2
.LBB12_1359:                            ;   in Loop: Header=BB12_1298 Depth=2
	s_or_b32 exec_lo, exec_lo, s40
	;;#ASMSTART
	s_wakeup
	;;#ASMEND
.LBB12_1360:                            ;   in Loop: Header=BB12_1298 Depth=2
	s_or_b32 exec_lo, exec_lo, s27
.LBB12_1361:                            ;   in Loop: Header=BB12_1298 Depth=2
	s_and_not1_saveexec_b32 s18, s18
	s_cbranch_execz .LBB12_1363
; %bb.1362:                             ;   in Loop: Header=BB12_1298 Depth=2
	;;#ASMSTART
	s_waitcnt lgkmcnt(0) vmcnt(0)
	;;#ASMEND
	s_barrier_signal -1
	s_barrier_wait -1
.LBB12_1363:                            ;   in Loop: Header=BB12_1298 Depth=2
	s_or_b32 exec_lo, exec_lo, s18
.LBB12_1364:                            ;   in Loop: Header=BB12_1298 Depth=2
	s_delay_alu instid0(SALU_CYCLE_1) | instskip(NEXT) | instid1(SALU_CYCLE_1)
	s_or_b32 exec_lo, exec_lo, s13
	s_mov_b32 s13, exec_lo
	v_cmpx_ne_u32_e32 0, v0
	s_cbranch_execz .LBB12_1297
; %bb.1365:                             ;   in Loop: Header=BB12_1298 Depth=2
	s_and_saveexec_b32 s18, s5
	s_cbranch_execz .LBB12_1296
; %bb.1366:                             ;   in Loop: Header=BB12_1298 Depth=2
	scratch_load_b64 v[0:1], off, s33 offset:304 ; 8-byte Folded Reload
	v_mov_b32_e32 v2, 1
	global_wb scope:SCOPE_SYS
	s_wait_storecnt 0x0
	s_wait_xcnt 0x0
	s_wait_loadcnt_dscnt 0x0
	flat_store_b32 v[0:1], v2 scope:SCOPE_SYS
	s_branch .LBB12_1296
.LBB12_1367:                            ;   in Loop: Header=BB12_47 Depth=1
	s_or_b32 exec_lo, exec_lo, s15
.LBB12_1368:                            ;   in Loop: Header=BB12_47 Depth=1
	s_delay_alu instid0(SALU_CYCLE_1) | instskip(NEXT) | instid1(SALU_CYCLE_1)
	s_or_b32 exec_lo, exec_lo, s14
	s_and_not1_b32 vcc_lo, exec_lo, s46
	s_cbranch_vccnz .LBB12_2996
; %bb.1369:                             ;   in Loop: Header=BB12_47 Depth=1
	s_mov_b32 s18, 2
	s_branch .LBB12_1372
.LBB12_1370:                            ;   in Loop: Header=BB12_1372 Depth=2
	s_or_b32 exec_lo, exec_lo, s15
.LBB12_1371:                            ;   in Loop: Header=BB12_1372 Depth=2
	s_delay_alu instid0(SALU_CYCLE_1) | instskip(SKIP_1) | instid1(SALU_CYCLE_1)
	s_or_b32 exec_lo, exec_lo, s14
	s_add_co_i32 s18, s18, 1
	s_cmp_eq_u32 s18, s16
	s_cbranch_scc1 .LBB12_2996
.LBB12_1372:                            ;   Parent Loop BB12_47 Depth=1
                                        ; =>  This Loop Header: Depth=2
                                        ;       Child Loop BB12_1375 Depth 3
                                        ;         Child Loop BB12_1383 Depth 4
                                        ;         Child Loop BB12_1411 Depth 4
	;; [unrolled: 1-line block ×5, first 2 shown]
                                        ;           Child Loop BB12_2240 Depth 5
                                        ;           Child Loop BB12_2309 Depth 5
                                        ;         Child Loop BB12_2450 Depth 4
                                        ;         Child Loop BB12_2845 Depth 4
                                        ;           Child Loop BB12_2846 Depth 5
                                        ;           Child Loop BB12_2859 Depth 5
                                        ;         Child Loop BB12_2886 Depth 4
                                        ;         Child Loop BB12_2905 Depth 4
                                        ;       Child Loop BB12_2924 Depth 3
                                        ;         Child Loop BB12_2930 Depth 4
                                        ;         Child Loop BB12_2958 Depth 4
	;; [unrolled: 1-line block ×3, first 2 shown]
	s_wait_loadcnt 0x1
	s_clause 0x1
	scratch_load_b64 v[4:5], off, s33 offset:380
	scratch_load_b64 v[0:1], off, s33 offset:372
	s_sub_co_i32 s13, s44, s18
	s_mov_b32 s74, 0
	s_cmp_ge_i32 s13, s16
	v_mov_b32_e32 v28, 0
	s_cselect_b32 s14, s16, 0
	s_delay_alu instid0(SALU_CYCLE_1) | instskip(NEXT) | instid1(SALU_CYCLE_1)
	s_sub_co_i32 s14, s13, s14
	s_ashr_i32 s15, s14, 31
	s_wait_loadcnt 0x1
	v_mul_u64_e32 v[6:7], s[14:15], v[4:5]
	s_wait_loadcnt 0x0
	s_delay_alu instid0(VALU_DEP_1) | instskip(SKIP_2) | instid1(VALU_DEP_1)
	v_sub_nc_u64_e32 v[0:1], v[0:1], v[6:7]
	scratch_store_b64 off, v[6:7], s33 offset:340 ; 8-byte Folded Spill
	v_min_i64 v[4:5], v[4:5], v[0:1]
	v_max_i32_e32 v91, 0, v4
	v_cmp_lt_i32_e32 vcc_lo, 0, v4
	s_delay_alu instid0(VALU_DEP_2) | instskip(SKIP_1) | instid1(VALU_DEP_1)
	v_add_nc_u32_e32 v0, 31, v91
	s_and_b32 s13, s63, vcc_lo
	v_lshrrev_b32_e32 v0, 1, v0
	s_delay_alu instid0(VALU_DEP_1) | instskip(NEXT) | instid1(VALU_DEP_1)
	v_and_b32_e32 v1, 0x3ffffff0, v0
	v_dual_mov_b32 v0, 0 :: v_dual_max_i32 v4, s45, v1
	s_wait_xcnt 0x0
	s_and_saveexec_b32 s27, s13
	s_cbranch_execz .LBB12_2921
; %bb.1373:                             ;   in Loop: Header=BB12_1372 Depth=2
	v_mov_b32_e32 v28, 0
	s_mov_b32 s76, 1
	s_mov_b32 s75, -1
	s_branch .LBB12_1375
.LBB12_1374:                            ;   in Loop: Header=BB12_1375 Depth=3
	s_wait_xcnt 0x0
	s_or_b32 exec_lo, exec_lo, s13
	v_dual_add_nc_u32 v28, v4, v28 :: v_dual_mov_b32 v0, s76
	s_xor_b32 s13, s75, -1
	s_mov_b32 s75, 0
	s_mov_b32 s76, 2
	s_delay_alu instid0(VALU_DEP_1) | instskip(SKIP_1) | instid1(SALU_CYCLE_1)
	v_cmp_ge_i32_e32 vcc_lo, v28, v91
	s_or_b32 s13, s13, vcc_lo
	s_and_b32 s13, exec_lo, s13
	s_delay_alu instid0(SALU_CYCLE_1) | instskip(NEXT) | instid1(SALU_CYCLE_1)
	s_or_b32 s74, s13, s74
	s_and_not1_b32 exec_lo, exec_lo, s74
	s_cbranch_execz .LBB12_2920
.LBB12_1375:                            ;   Parent Loop BB12_47 Depth=1
                                        ;     Parent Loop BB12_1372 Depth=2
                                        ; =>    This Loop Header: Depth=3
                                        ;         Child Loop BB12_1383 Depth 4
                                        ;         Child Loop BB12_1411 Depth 4
	;; [unrolled: 1-line block ×5, first 2 shown]
                                        ;           Child Loop BB12_2240 Depth 5
                                        ;           Child Loop BB12_2309 Depth 5
                                        ;         Child Loop BB12_2450 Depth 4
                                        ;         Child Loop BB12_2845 Depth 4
                                        ;           Child Loop BB12_2846 Depth 5
                                        ;           Child Loop BB12_2859 Depth 5
                                        ;         Child Loop BB12_2886 Depth 4
                                        ;         Child Loop BB12_2905 Depth 4
	s_and_saveexec_b32 s13, s0
	s_cbranch_execz .LBB12_1377
; %bb.1376:                             ;   in Loop: Header=BB12_1375 Depth=3
	s_trap 2
	scratch_load_b64 v[6:7], off, s33 offset:332 ; 8-byte Folded Reload
	ds_load_b64 v[0:1], v0
	v_ashrrev_i32_e32 v29, 31, v28
	s_wait_loadcnt_dscnt 0x0
	v_lshl_add_u64 v[0:1], v[6:7], 1, v[0:1]
	scratch_load_b64 v[6:7], off, s33 offset:340 ; 8-byte Folded Reload
	s_wait_loadcnt 0x0
	v_lshl_add_u64 v[0:1], v[6:7], 1, v[0:1]
	s_delay_alu instid0(VALU_DEP_1)
	v_lshl_add_u64 v[0:1], v[28:29], 1, v[0:1]
	ds_store_b64 v0, v[0:1]
	v_mov_b64_e32 v[0:1], 0
	ds_store_b64 v0, v[0:1]
.LBB12_1377:                            ;   in Loop: Header=BB12_1375 Depth=3
	s_wait_xcnt 0x0
	s_or_b32 exec_lo, exec_lo, s13
	v_dual_sub_nc_u32 v0, v91, v28 :: v_dual_bitop2_b32 v1, 12, v126 bitop3:0x40
	s_mov_b32 s14, exec_lo
	s_delay_alu instid0(VALU_DEP_1) | instskip(NEXT) | instid1(VALU_DEP_2)
	v_min_i32_e32 v4, v4, v0
	v_cmpx_ne_u32_e32 0, v1
	s_cbranch_execz .LBB12_1403
; %bb.1378:                             ;   in Loop: Header=BB12_1375 Depth=3
	v_and_b32_e32 v2, 8, v126
	v_add_nc_u64_e32 v[8:9], 2, v[116:117]
	s_mov_b32 s15, exec_lo
	s_wait_dscnt 0x1
	s_delay_alu instid0(VALU_DEP_2) | instskip(NEXT) | instid1(VALU_DEP_1)
	v_add_nc_u64_e32 v[0:1], v[58:59], v[2:3]
	v_cmpx_lt_u64_e64 v[0:1], v[8:9]
	s_cbranch_execz .LBB12_1390
; %bb.1379:                             ;   in Loop: Header=BB12_1375 Depth=3
	v_and_b32_e32 v0, 64, v126
	s_mov_b32 s40, 0
	s_mov_b32 s79, 0
                                        ; implicit-def: $sgpr41
                                        ; implicit-def: $sgpr77
                                        ; implicit-def: $sgpr78
	s_delay_alu instid0(VALU_DEP_1)
	v_cmp_eq_u32_e32 vcc_lo, 0, v0
	s_branch .LBB12_1383
.LBB12_1380:                            ;   in Loop: Header=BB12_1383 Depth=4
	s_wait_loadcnt_dscnt 0x0
	v_add_nc_u64_e32 v[6:7], v[58:59], v[2:3]
	s_or_b32 s90, s90, exec_lo
	s_delay_alu instid0(VALU_DEP_1)
	v_cmp_ge_u64_e64 s13, v[6:7], v[8:9]
	s_or_not1_b32 s89, s13, exec_lo
.LBB12_1381:                            ;   in Loop: Header=BB12_1383 Depth=4
	s_or_b32 exec_lo, exec_lo, s92
	s_delay_alu instid0(SALU_CYCLE_1)
	s_and_not1_b32 s13, s78, exec_lo
	s_and_b32 s78, s90, exec_lo
	s_and_not1_b32 s77, s77, exec_lo
	s_and_b32 s89, s89, exec_lo
	s_or_b32 s78, s13, s78
	s_or_b32 s77, s77, s89
.LBB12_1382:                            ;   in Loop: Header=BB12_1383 Depth=4
	s_or_b32 exec_lo, exec_lo, s88
	s_delay_alu instid0(SALU_CYCLE_1) | instskip(NEXT) | instid1(SALU_CYCLE_1)
	s_and_b32 s13, exec_lo, s77
	s_or_b32 s40, s13, s40
	s_and_not1_b32 s13, s41, exec_lo
	s_and_b32 s41, s78, exec_lo
	s_delay_alu instid0(SALU_CYCLE_1)
	s_or_b32 s41, s13, s41
	s_and_not1_b32 exec_lo, exec_lo, s40
	s_cbranch_execz .LBB12_1387
.LBB12_1383:                            ;   Parent Loop BB12_47 Depth=1
                                        ;     Parent Loop BB12_1372 Depth=2
                                        ;       Parent Loop BB12_1375 Depth=3
                                        ; =>      This Inner Loop Header: Depth=4
	s_sleep 1
	s_wait_loadcnt_dscnt 0x0
	flat_load_b64 v[58:59], v[40:41] scope:SCOPE_SYS
	s_or_b32 s78, s78, exec_lo
	s_or_b32 s77, s77, exec_lo
                                        ; implicit-def: $vgpr0
	s_wait_xcnt 0x0
	s_and_saveexec_b32 s88, vcc_lo
	s_cbranch_execz .LBB12_1382
; %bb.1384:                             ;   in Loop: Header=BB12_1383 Depth=4
	s_cmp_lt_i32 s79, 0x270f
	s_mov_b32 s89, -1
	s_cselect_b32 s91, -1, 0
	s_cmp_gt_i32 s79, 0x270e
	s_cbranch_scc0 .LBB12_1386
; %bb.1385:                             ;   in Loop: Header=BB12_1383 Depth=4
	s_trap 2
	ds_load_b64 v[0:1], v0
	s_and_not1_b32 s79, s91, exec_lo
	s_mov_b32 s90, 0
	s_wait_storecnt 0x0
	s_wait_loadcnt_dscnt 0x0
	flat_load_b32 v0, v[0:1] scope:SCOPE_SYS
	s_wait_loadcnt_dscnt 0x0
	global_inv scope:SCOPE_SYS
	v_cmp_eq_u32_e64 s13, 0, v0
	s_and_b32 s13, s13, exec_lo
	s_delay_alu instid0(SALU_CYCLE_1)
	s_or_b32 s91, s79, s13
	s_mov_b32 s79, 0
	s_wait_xcnt 0x0
	s_and_saveexec_b32 s92, s91
	s_cbranch_execz .LBB12_1381
	s_branch .LBB12_1380
.LBB12_1386:                            ;   in Loop: Header=BB12_1383 Depth=4
	s_add_co_i32 s79, s79, 1
	s_mov_b32 s90, -1
                                        ; implicit-def: $vgpr0
	s_and_saveexec_b32 s92, s91
	s_cbranch_execz .LBB12_1381
	s_branch .LBB12_1380
.LBB12_1387:                            ;   in Loop: Header=BB12_1375 Depth=3
	s_or_b32 exec_lo, exec_lo, s40
	s_xor_b32 s13, s41, -1
	s_delay_alu instid0(SALU_CYCLE_1) | instskip(NEXT) | instid1(SALU_CYCLE_1)
	s_and_saveexec_b32 s40, s13
	s_xor_b32 s13, exec_lo, s40
	s_cbranch_execz .LBB12_1389
; %bb.1388:                             ;   in Loop: Header=BB12_1375 Depth=3
	v_or_b32_e32 v126, 64, v126
	s_wait_storecnt 0x0
	s_wait_loadcnt_dscnt 0x0
	ds_store_b32 v0, v0
	s_trap 2
.LBB12_1389:                            ;   in Loop: Header=BB12_1375 Depth=3
	s_or_b32 exec_lo, exec_lo, s13
.LBB12_1390:                            ;   in Loop: Header=BB12_1375 Depth=3
	s_delay_alu instid0(SALU_CYCLE_1) | instskip(SKIP_3) | instid1(VALU_DEP_1)
	s_or_b32 exec_lo, exec_lo, s15
	v_and_b32_e32 v0, 0x108, v126
	s_mov_b32 s13, exec_lo
	;;#ASMSTART
	s_wakeup
	;;#ASMEND
                                        ; implicit-def: $vgpr10_vgpr11
	v_cmpx_ne_u32_e32 0x108, v0
	s_xor_b32 s13, exec_lo, s13
; %bb.1391:                             ;   in Loop: Header=BB12_1375 Depth=3
	v_dual_mov_b32 v11, v3 :: v_dual_bitop2_b32 v10, 7, v116 bitop3:0x40
                                        ; implicit-def: $vgpr116_vgpr117
; %bb.1392:                             ;   in Loop: Header=BB12_1375 Depth=3
	s_and_not1_saveexec_b32 s13, s13
	s_cbranch_execz .LBB12_1394
; %bb.1393:                             ;   in Loop: Header=BB12_1375 Depth=3
	scratch_load_b128 v[12:15], off, s33 offset:288 ; 16-byte Folded Reload
	v_dual_mov_b32 v11, v3 :: v_dual_bitop2_b32 v10, 7, v116 bitop3:0x40
	v_ashrrev_i32_e32 v5, 31, v4
	s_delay_alu instid0(VALU_DEP_1) | instskip(SKIP_1) | instid1(VALU_DEP_3)
	v_lshlrev_b64_e32 v[6:7], 1, v[4:5]
	s_wait_loadcnt 0x0
	v_mad_nc_u64_u32 v[0:1], v10, 24, v[12:13]
	flat_store_b64 v[0:1], v[6:7] offset:8
.LBB12_1394:                            ;   in Loop: Header=BB12_1375 Depth=3
	s_wait_xcnt 0x0
	s_or_b32 exec_lo, exec_lo, s13
	v_and_b32_e32 v0, 0x100, v126
	s_mov_b32 s13, -1
	s_mov_b32 s15, exec_lo
                                        ; implicit-def: $vgpr12_vgpr13
	s_delay_alu instid0(VALU_DEP_1)
	v_cmpx_ne_u32_e32 0, v0
	s_cbranch_execz .LBB12_1398
; %bb.1395:                             ;   in Loop: Header=BB12_1375 Depth=3
	scratch_load_b128 v[12:15], off, s33 offset:288 ; 16-byte Folded Reload
	s_mov_b32 s40, exec_lo
	s_wait_loadcnt 0x0
	v_mad_nc_u64_u32 v[14:15], v10, 24, v[12:13]
                                        ; implicit-def: $vgpr12_vgpr13
	s_delay_alu instid0(VALU_DEP_1)
	v_mad_u32 v15, v11, 24, v15
	flat_load_b32 v0, v[14:15]
	s_wait_loadcnt_dscnt 0x0
	v_cmp_ne_u32_e32 vcc_lo, 1, v0
	s_wait_xcnt 0x0
	v_cmpx_eq_u32_e32 1, v0
	s_cbranch_execz .LBB12_1397
; %bb.1396:                             ;   in Loop: Header=BB12_1375 Depth=3
	flat_load_b32 v0, v[14:15] offset:4 scope:SCOPE_SYS
	s_wait_loadcnt_dscnt 0x0
	v_ashrrev_i32_e32 v1, 31, v0
	s_delay_alu instid0(VALU_DEP_1)
	v_lshrrev_b64 v[12:13], 1, v[0:1]
.LBB12_1397:                            ;   in Loop: Header=BB12_1375 Depth=3
	s_wait_xcnt 0x0
	s_or_b32 exec_lo, exec_lo, s40
	s_delay_alu instid0(SALU_CYCLE_1)
	s_or_not1_b32 s13, vcc_lo, exec_lo
.LBB12_1398:                            ;   in Loop: Header=BB12_1375 Depth=3
	s_or_b32 exec_lo, exec_lo, s15
	s_and_saveexec_b32 s15, s13
	s_cbranch_execz .LBB12_1400
; %bb.1399:                             ;   in Loop: Header=BB12_1375 Depth=3
	scratch_load_b64 v[0:1], off, s33 offset:312 ; 8-byte Folded Reload
	s_wait_loadcnt 0x0
	v_mul_u64_e32 v[12:13], v[10:11], v[0:1]
.LBB12_1400:                            ;   in Loop: Header=BB12_1375 Depth=3
	s_wait_xcnt 0x0
	s_or_b32 exec_lo, exec_lo, s15
	v_cmp_eq_u32_e32 vcc_lo, 0, v2
	v_mov_b32_e32 v0, 0x90
	v_and_b32_e32 v5, 0x2000, v126
	s_mov_b32 s13, exec_lo
	s_delay_alu instid0(VALU_DEP_2) | instskip(SKIP_3) | instid1(VALU_DEP_1)
	v_cndmask_b32_e32 v2, 0xc8, v0, vcc_lo
	scratch_load_b64 v[0:1], off, s33 offset:280 ; 8-byte Folded Reload
	s_wait_loadcnt 0x0
	v_lshl_add_u64 v[0:1], v[12:13], 1, v[0:1]
	v_add_nc_u32_e32 v2, v0, v2
	ds_store_b64 v2, v[0:1] offset:584
	s_wait_xcnt 0x0
	v_cmpx_ne_u32_e32 0, v5
	s_cbranch_execz .LBB12_1402
; %bb.1401:                             ;   in Loop: Header=BB12_1375 Depth=3
	ds_load_b64 v[0:1], v0 offset:872
	s_wait_dscnt 0x0
	v_add_nc_u64_e32 v[0:1], 1, v[0:1]
	ds_store_b64 v0, v[0:1] offset:872
.LBB12_1402:                            ;   in Loop: Header=BB12_1375 Depth=3
	s_or_b32 exec_lo, exec_lo, s13
	v_mov_b64_e32 v[116:117], v[8:9]
.LBB12_1403:                            ;   in Loop: Header=BB12_1375 Depth=3
	s_or_b32 exec_lo, exec_lo, s14
	s_and_saveexec_b32 s13, s2
	s_cbranch_execz .LBB12_1422
; %bb.1404:                             ;   in Loop: Header=BB12_1375 Depth=3
	s_and_saveexec_b32 s14, s3
	s_delay_alu instid0(SALU_CYCLE_1)
	s_xor_b32 s14, exec_lo, s14
	s_cbranch_execz .LBB12_1419
; %bb.1405:                             ;   in Loop: Header=BB12_1375 Depth=3
	s_and_saveexec_b32 s15, s6
	s_cbranch_execz .LBB12_1418
; %bb.1406:                             ;   in Loop: Header=BB12_1375 Depth=3
	s_mov_b32 s41, exec_lo
	s_mov_b32 s40, exec_lo
	v_mbcnt_lo_u32_b32 v0, s41, 0
	global_wb scope:SCOPE_DEV
	s_wait_storecnt_dscnt 0x0
	global_inv scope:SCOPE_DEV
	v_cmpx_eq_u32_e32 0, v0
	s_cbranch_execz .LBB12_1408
; %bb.1407:                             ;   in Loop: Header=BB12_1375 Depth=3
	s_bcnt1_i32_b32 s41, s41
	s_delay_alu instid0(SALU_CYCLE_1)
	v_mov_b32_e32 v2, s41
	s_wait_loadcnt 0x0
	ds_add_u64 v0, v[2:3]
	s_trap 2
.LBB12_1408:                            ;   in Loop: Header=BB12_1375 Depth=3
	s_or_b32 exec_lo, exec_lo, s40
	s_trap 2
	ds_load_b64 v[0:1], v0
	s_wait_dscnt 0x0
	v_add_nc_u64_e32 v[56:57], v[56:57], v[60:61]
	s_mov_b32 s40, exec_lo
	s_delay_alu instid0(VALU_DEP_1)
	v_cmpx_lt_u64_e64 v[0:1], v[56:57]
	s_cbranch_execz .LBB12_1417
; %bb.1409:                             ;   in Loop: Header=BB12_1375 Depth=3
	s_mov_b32 s41, 0
	s_mov_b32 s79, 0
                                        ; implicit-def: $sgpr77
                                        ; implicit-def: $sgpr78
	s_branch .LBB12_1411
.LBB12_1410:                            ;   in Loop: Header=BB12_1411 Depth=4
	s_or_b32 exec_lo, exec_lo, s89
	s_delay_alu instid0(SALU_CYCLE_1) | instskip(NEXT) | instid1(SALU_CYCLE_1)
	s_and_b32 s88, exec_lo, s90
	s_or_b32 s41, s88, s41
	s_and_not1_b32 s77, s77, exec_lo
	s_and_b32 s88, s78, exec_lo
	s_delay_alu instid0(SALU_CYCLE_1)
	s_or_b32 s77, s77, s88
	s_and_not1_b32 exec_lo, exec_lo, s41
	s_cbranch_execz .LBB12_1415
.LBB12_1411:                            ;   Parent Loop BB12_47 Depth=1
                                        ;     Parent Loop BB12_1372 Depth=2
                                        ;       Parent Loop BB12_1375 Depth=3
                                        ; =>      This Inner Loop Header: Depth=4
	s_add_co_i32 s79, s79, 1
	s_delay_alu instid0(SALU_CYCLE_1) | instskip(SKIP_1) | instid1(SALU_CYCLE_1)
	s_cmp_lg_u32 s79, 0x2710
	s_cselect_b32 s88, -1, 0
	s_and_b32 vcc_lo, exec_lo, s88
	s_cbranch_vccz .LBB12_1413
; %bb.1412:                             ;   in Loop: Header=BB12_1411 Depth=4
	s_mov_b32 s90, -1
	s_or_b32 s78, s78, exec_lo
	s_and_saveexec_b32 s89, s88
	s_cbranch_execz .LBB12_1410
	s_branch .LBB12_1414
.LBB12_1413:                            ;   in Loop: Header=BB12_1411 Depth=4
	s_trap 2
	ds_load_b64 v[0:1], v0
	s_and_not1_b32 s88, s88, exec_lo
	s_mov_b32 s79, 0
	s_wait_loadcnt_dscnt 0x0
	flat_load_b32 v0, v[0:1] scope:SCOPE_SYS
	s_wait_loadcnt_dscnt 0x0
	global_inv scope:SCOPE_SYS
	v_cmp_eq_u32_e32 vcc_lo, 0, v0
	s_and_b32 s89, vcc_lo, exec_lo
	s_delay_alu instid0(SALU_CYCLE_1)
	s_or_b32 s88, s88, s89
	s_mov_b32 s90, -1
	s_or_b32 s78, s78, exec_lo
	s_wait_xcnt 0x0
	s_and_saveexec_b32 s89, s88
	s_cbranch_execz .LBB12_1410
.LBB12_1414:                            ;   in Loop: Header=BB12_1411 Depth=4
	s_sleep 1
	s_trap 2
	ds_load_b64 v[0:1], v0
	s_wait_dscnt 0x0
	s_and_not1_b32 s78, s78, exec_lo
	v_cmp_ge_u64_e32 vcc_lo, v[0:1], v[56:57]
	s_or_not1_b32 s90, vcc_lo, exec_lo
	s_branch .LBB12_1410
.LBB12_1415:                            ;   in Loop: Header=BB12_1375 Depth=3
	s_or_b32 exec_lo, exec_lo, s41
	s_and_saveexec_b32 s41, s77
	s_delay_alu instid0(SALU_CYCLE_1)
	s_xor_b32 s41, exec_lo, s41
	s_cbranch_execz .LBB12_1417
; %bb.1416:                             ;   in Loop: Header=BB12_1375 Depth=3
	v_mov_b32_e32 v0, 1
	ds_store_b32 v0, v0
	s_trap 2
.LBB12_1417:                            ;   in Loop: Header=BB12_1375 Depth=3
	s_or_b32 exec_lo, exec_lo, s40
	;;#ASMSTART
	s_wakeup
	;;#ASMEND
.LBB12_1418:                            ;   in Loop: Header=BB12_1375 Depth=3
	s_or_b32 exec_lo, exec_lo, s15
.LBB12_1419:                            ;   in Loop: Header=BB12_1375 Depth=3
	s_and_not1_saveexec_b32 s14, s14
	s_cbranch_execz .LBB12_1421
; %bb.1420:                             ;   in Loop: Header=BB12_1375 Depth=3
	global_wb scope:SCOPE_DEV
	s_wait_storecnt 0x0
	s_wait_loadcnt_dscnt 0x0
	global_inv scope:SCOPE_DEV
	s_barrier_signal -1
	s_barrier_wait -1
.LBB12_1421:                            ;   in Loop: Header=BB12_1375 Depth=3
	s_or_b32 exec_lo, exec_lo, s14
.LBB12_1422:                            ;   in Loop: Header=BB12_1375 Depth=3
	s_delay_alu instid0(SALU_CYCLE_1) | instskip(SKIP_4) | instid1(VALU_DEP_1)
	s_or_b32 exec_lo, exec_lo, s13
	s_trap 2
	ds_load_b32 v0, v0
	v_and_b32_e32 v1, 0x4000, v126
	s_xor_b32 s13, s1, -1
	v_cmp_ne_u32_e32 vcc_lo, 0, v1
	s_and_b32 s14, s13, vcc_lo
	s_delay_alu instid0(SALU_CYCLE_1)
	s_and_saveexec_b32 s13, s14
	s_cbranch_execz .LBB12_1441
; %bb.1423:                             ;   in Loop: Header=BB12_1375 Depth=3
	s_and_saveexec_b32 s14, s3
	s_delay_alu instid0(SALU_CYCLE_1)
	s_xor_b32 s14, exec_lo, s14
	s_cbranch_execz .LBB12_1438
; %bb.1424:                             ;   in Loop: Header=BB12_1375 Depth=3
	s_and_saveexec_b32 s15, s6
	s_cbranch_execz .LBB12_1437
; %bb.1425:                             ;   in Loop: Header=BB12_1375 Depth=3
	s_mov_b32 s41, exec_lo
	s_mov_b32 s40, exec_lo
	v_mbcnt_lo_u32_b32 v1, s41, 0
	global_wb scope:SCOPE_DEV
	s_wait_storecnt 0x0
	s_wait_loadcnt_dscnt 0x0
	global_inv scope:SCOPE_DEV
	v_cmpx_eq_u32_e32 0, v1
	s_cbranch_execz .LBB12_1427
; %bb.1426:                             ;   in Loop: Header=BB12_1375 Depth=3
	s_bcnt1_i32_b32 s41, s41
	s_delay_alu instid0(SALU_CYCLE_1)
	v_mov_b32_e32 v2, s41
	s_wait_loadcnt 0x0
	ds_add_u64 v0, v[2:3]
	s_trap 2
.LBB12_1427:                            ;   in Loop: Header=BB12_1375 Depth=3
	s_or_b32 exec_lo, exec_lo, s40
	s_trap 2
	ds_load_b64 v[6:7], v0
	s_wait_dscnt 0x0
	v_add_nc_u64_e32 v[56:57], v[56:57], v[60:61]
	s_mov_b32 s40, exec_lo
	s_delay_alu instid0(VALU_DEP_1)
	v_cmpx_lt_u64_e64 v[6:7], v[56:57]
	s_cbranch_execz .LBB12_1436
; %bb.1428:                             ;   in Loop: Header=BB12_1375 Depth=3
	s_mov_b32 s41, 0
	s_mov_b32 s79, 0
                                        ; implicit-def: $sgpr77
                                        ; implicit-def: $sgpr78
	s_branch .LBB12_1430
.LBB12_1429:                            ;   in Loop: Header=BB12_1430 Depth=4
	s_or_b32 exec_lo, exec_lo, s89
	s_delay_alu instid0(SALU_CYCLE_1) | instskip(NEXT) | instid1(SALU_CYCLE_1)
	s_and_b32 s88, exec_lo, s90
	s_or_b32 s41, s88, s41
	s_and_not1_b32 s77, s77, exec_lo
	s_and_b32 s88, s78, exec_lo
	s_delay_alu instid0(SALU_CYCLE_1)
	s_or_b32 s77, s77, s88
	s_and_not1_b32 exec_lo, exec_lo, s41
	s_cbranch_execz .LBB12_1434
.LBB12_1430:                            ;   Parent Loop BB12_47 Depth=1
                                        ;     Parent Loop BB12_1372 Depth=2
                                        ;       Parent Loop BB12_1375 Depth=3
                                        ; =>      This Inner Loop Header: Depth=4
	s_add_co_i32 s79, s79, 1
	s_delay_alu instid0(SALU_CYCLE_1) | instskip(SKIP_1) | instid1(SALU_CYCLE_1)
	s_cmp_lg_u32 s79, 0x2710
	s_cselect_b32 s88, -1, 0
	s_and_b32 vcc_lo, exec_lo, s88
	s_cbranch_vccz .LBB12_1432
; %bb.1431:                             ;   in Loop: Header=BB12_1430 Depth=4
	s_mov_b32 s90, -1
	s_or_b32 s78, s78, exec_lo
	s_and_saveexec_b32 s89, s88
	s_cbranch_execz .LBB12_1429
	s_branch .LBB12_1433
.LBB12_1432:                            ;   in Loop: Header=BB12_1430 Depth=4
	s_trap 2
	ds_load_b64 v[6:7], v0
	s_and_not1_b32 s88, s88, exec_lo
	s_mov_b32 s79, 0
	s_wait_loadcnt_dscnt 0x0
	flat_load_b32 v1, v[6:7] scope:SCOPE_SYS
	s_wait_loadcnt_dscnt 0x0
	global_inv scope:SCOPE_SYS
	v_cmp_eq_u32_e32 vcc_lo, 0, v1
	s_and_b32 s89, vcc_lo, exec_lo
	s_delay_alu instid0(SALU_CYCLE_1)
	s_or_b32 s88, s88, s89
	s_mov_b32 s90, -1
	s_or_b32 s78, s78, exec_lo
	s_wait_xcnt 0x0
	s_and_saveexec_b32 s89, s88
	s_cbranch_execz .LBB12_1429
.LBB12_1433:                            ;   in Loop: Header=BB12_1430 Depth=4
	s_sleep 1
	s_trap 2
	ds_load_b64 v[6:7], v0
	s_wait_dscnt 0x0
	s_and_not1_b32 s78, s78, exec_lo
	v_cmp_ge_u64_e32 vcc_lo, v[6:7], v[56:57]
	s_or_not1_b32 s90, vcc_lo, exec_lo
	s_branch .LBB12_1429
.LBB12_1434:                            ;   in Loop: Header=BB12_1375 Depth=3
	s_or_b32 exec_lo, exec_lo, s41
	s_and_saveexec_b32 s41, s77
	s_delay_alu instid0(SALU_CYCLE_1)
	s_xor_b32 s41, exec_lo, s41
	s_cbranch_execz .LBB12_1436
; %bb.1435:                             ;   in Loop: Header=BB12_1375 Depth=3
	v_mov_b32_e32 v1, 1
	ds_store_b32 v0, v1
	s_trap 2
.LBB12_1436:                            ;   in Loop: Header=BB12_1375 Depth=3
	s_or_b32 exec_lo, exec_lo, s40
	;;#ASMSTART
	s_wakeup
	;;#ASMEND
.LBB12_1437:                            ;   in Loop: Header=BB12_1375 Depth=3
	s_or_b32 exec_lo, exec_lo, s15
.LBB12_1438:                            ;   in Loop: Header=BB12_1375 Depth=3
	s_and_not1_saveexec_b32 s14, s14
	s_cbranch_execz .LBB12_1440
; %bb.1439:                             ;   in Loop: Header=BB12_1375 Depth=3
	global_wb scope:SCOPE_DEV
	s_wait_storecnt 0x0
	s_wait_loadcnt_dscnt 0x0
	global_inv scope:SCOPE_DEV
	s_barrier_signal -1
	s_barrier_wait -1
.LBB12_1440:                            ;   in Loop: Header=BB12_1375 Depth=3
	s_or_b32 exec_lo, exec_lo, s14
.LBB12_1441:                            ;   in Loop: Header=BB12_1375 Depth=3
	s_delay_alu instid0(SALU_CYCLE_1)
	s_or_b32 exec_lo, exec_lo, s13
	s_trap 2
	s_wait_dscnt 0x0
	ds_load_b64 v[72:73], v0
	s_wait_dscnt 0x0
	v_cmp_eq_u64_e32 vcc_lo, 0, v[72:73]
	s_cbranch_vccnz .LBB12_1449
; %bb.1442:                             ;   in Loop: Header=BB12_1375 Depth=3
	s_trap 2
	ds_load_b64 v[74:75], v0
	s_wait_dscnt 0x0
	v_cmp_eq_u64_e32 vcc_lo, 0, v[74:75]
	s_cbranch_vccnz .LBB12_1449
; %bb.1443:                             ;   in Loop: Header=BB12_1375 Depth=3
	s_mov_b32 s13, -1
	s_and_saveexec_b32 s14, s11
	s_cbranch_execz .LBB12_1445
; %bb.1444:                             ;   in Loop: Header=BB12_1375 Depth=3
	ds_load_b32 v1, v0 offset:720
	s_wait_dscnt 0x0
	v_and_b32_e32 v1, 15, v1
	s_delay_alu instid0(VALU_DEP_1)
	v_cmp_eq_u32_e32 vcc_lo, 0, v1
	s_or_not1_b32 s13, vcc_lo, exec_lo
.LBB12_1445:                            ;   in Loop: Header=BB12_1375 Depth=3
	s_or_b32 exec_lo, exec_lo, s14
	s_and_saveexec_b32 s14, s10
	s_cbranch_execz .LBB12_1447
; %bb.1446:                             ;   in Loop: Header=BB12_1375 Depth=3
	ds_load_b32 v1, v0 offset:784
	s_wait_dscnt 0x0
	v_and_b32_e32 v1, 15, v1
	s_delay_alu instid0(VALU_DEP_1) | instskip(SKIP_3) | instid1(SALU_CYCLE_1)
	v_cmp_eq_u32_e32 vcc_lo, 0, v1
	s_and_b32 s15, s13, vcc_lo
	s_and_not1_b32 s13, s13, exec_lo
	s_and_b32 s15, s15, exec_lo
	s_or_b32 s13, s13, s15
.LBB12_1447:                            ;   in Loop: Header=BB12_1375 Depth=3
	s_or_b32 exec_lo, exec_lo, s14
	s_xor_b32 s13, s13, -1
	s_mov_b32 s14, -1
	v_cndmask_b32_e64 v1, 0, 1, s13
	v_cmp_eq_u32_e64 s13, 0, v0
	s_delay_alu instid0(VALU_DEP_2)
	v_cmp_ne_u32_e32 vcc_lo, 0, v1
	s_cbranch_vccz .LBB12_1454
; %bb.1448:                             ;   in Loop: Header=BB12_1375 Depth=3
	s_mov_b32 s14, 0
	s_mov_b32 s77, -1
	s_branch .LBB12_1455
.LBB12_1449:                            ;   in Loop: Header=BB12_1375 Depth=3
	s_mov_b32 s13, 0
	s_and_saveexec_b32 s14, s2
	s_cbranch_execnz .LBB12_2879
.LBB12_1450:                            ;   in Loop: Header=BB12_1375 Depth=3
	s_or_b32 exec_lo, exec_lo, s14
                                        ; implicit-def: $vgpr0
	s_and_saveexec_b32 s14, s12
	s_delay_alu instid0(SALU_CYCLE_1)
	s_xor_b32 s14, exec_lo, s14
	s_cbranch_execz .LBB12_2897
.LBB12_1451:                            ;   in Loop: Header=BB12_1375 Depth=3
	s_wait_loadcnt 0x1
	v_and_b32_e32 v0, 16, v126
	s_delay_alu instid0(VALU_DEP_1) | instskip(SKIP_2) | instid1(SALU_CYCLE_1)
	v_cmp_ne_u32_e32 vcc_lo, 0, v0
	v_and_b32_e32 v0, 16, v126
	s_and_b32 s15, vcc_lo, s13
	s_and_saveexec_b32 s13, s15
	s_cbranch_execz .LBB12_1453
; %bb.1452:                             ;   in Loop: Header=BB12_1375 Depth=3
	v_mov_b32_e32 v0, 1
	global_wb scope:SCOPE_SYS
	s_wait_storecnt 0x0
	s_wait_loadcnt_dscnt 0x0
	global_inv scope:SCOPE_SYS
.LBB12_1453:                            ;   in Loop: Header=BB12_1375 Depth=3
	s_or_b32 exec_lo, exec_lo, s13
	s_and_not1_saveexec_b32 s13, s14
	s_cbranch_execz .LBB12_2916
	s_branch .LBB12_2898
.LBB12_1454:                            ;   in Loop: Header=BB12_1375 Depth=3
	s_mov_b32 s77, 0
.LBB12_1455:                            ;   in Loop: Header=BB12_1375 Depth=3
	v_dual_cndmask_b32 v2, 0, v4, s13 :: v_dual_mov_b32 v18, 0
	s_and_not1_b32 vcc_lo, exec_lo, s14
	s_delay_alu instid0(VALU_DEP_1)
	v_lshlrev_b32_e32 v5, 1, v2
	s_cbranch_vccnz .LBB12_1975
; %bb.1456:                             ;   in Loop: Header=BB12_1375 Depth=3
	s_delay_alu instid0(VALU_DEP_1) | instskip(SKIP_2) | instid1(VALU_DEP_1)
	v_ashrrev_i32_e32 v0, 31, v5
	s_mov_b32 s14, 0
	s_mov_b32 s13, exec_lo
                                        ; implicit-def: $vgpr96_vgpr97
                                        ; implicit-def: $vgpr68_vgpr69
                                        ; implicit-def: $vgpr48_vgpr49
                                        ; implicit-def: $vgpr24_vgpr25
                                        ; implicit-def: $vgpr20_vgpr21
                                        ; implicit-def: $vgpr16_vgpr17
                                        ; implicit-def: $vgpr12_vgpr13
                                        ; implicit-def: $vgpr8_vgpr9
	v_lshrrev_b32_e32 v0, 21, v0
	s_delay_alu instid0(VALU_DEP_1) | instskip(NEXT) | instid1(VALU_DEP_1)
	v_add_nc_u32_e32 v0, v5, v0
	v_ashrrev_i32_e32 v29, 11, v0
	scratch_load_b32 v0, off, s33 offset:360 ; 4-byte Folded Reload
	s_wait_loadcnt 0x0
	v_sub_nc_u32_e32 v31, v29, v0
	scratch_load_b64 v[0:1], off, s33 offset:348 ; 8-byte Folded Reload
	s_wait_loadcnt 0x0
	v_add_nc_u64_e32 v[62:63], v[74:75], v[0:1]
	s_wait_xcnt 0x0
	v_cmpx_lt_i32_e32 0, v31
	s_cbranch_execz .LBB12_1977
; %bb.1457:                             ;   in Loop: Header=BB12_1375 Depth=3
	s_trap 2
	scratch_load_b64 v[8:9], off, s33 offset:348 ; 8-byte Folded Reload
	ds_load_b64 v[0:1], v0
	s_mov_b32 s40, 0
                                        ; implicit-def: $sgpr15
                                        ; implicit-def: $vgpr96_vgpr97
                                        ; implicit-def: $vgpr68_vgpr69
                                        ; implicit-def: $vgpr48_vgpr49
                                        ; implicit-def: $vgpr24_vgpr25
                                        ; implicit-def: $vgpr20_vgpr21
                                        ; implicit-def: $vgpr16_vgpr17
                                        ; implicit-def: $vgpr12_vgpr13
	s_wait_dscnt 0x0
	ds_load_b32 v6, v0
	s_wait_dscnt 0x0
	v_lshlrev_b32_e32 v30, 16, v6
	s_wait_loadcnt 0x0
	v_add_nc_u64_e32 v[76:77], v[72:73], v[8:9]
	v_add_nc_u64_e32 v[124:125], v[0:1], v[8:9]
                                        ; implicit-def: $vgpr8_vgpr9
	s_branch .LBB12_1459
.LBB12_1458:                            ;   in Loop: Header=BB12_1459 Depth=4
	s_or_b32 exec_lo, exec_lo, s41
	v_dual_lshrrev_b32 v80, 16, v114 :: v_dual_lshrrev_b32 v85, 16, v112
	v_dual_lshrrev_b32 v87, 16, v102 :: v_dual_lshrrev_b32 v7, 16, v7
	;; [unrolled: 1-line block ×3, first 2 shown]
	s_delay_alu instid0(VALU_DEP_3) | instskip(SKIP_1) | instid1(VALU_DEP_4)
	v_and_or_b32 v37, 0xffff0000, v37, v80
	v_dual_lshrrev_b32 v80, 16, v83 :: v_dual_lshrrev_b32 v1, 16, v1
	v_and_or_b32 v52, 0xffff0000, v52, v7
	v_lshrrev_b32_e32 v7, 16, v119
	v_and_or_b32 v36, 0xffff0000, v36, v82
	v_and_or_b32 v53, 0xffff0000, v53, v67
	v_dual_lshrrev_b32 v67, 16, v44 :: v_dual_lshrrev_b32 v82, 16, v65
	s_delay_alu instid0(VALU_DEP_4)
	v_and_or_b32 v54, 0xffff0000, v54, v7
	v_and_or_b32 v65, 0xffff0000, v0, v80
	;; [unrolled: 1-line block ×3, first 2 shown]
	v_lshrrev_b32_e32 v0, 16, v118
	v_dual_lshrrev_b32 v1, 16, v86 :: v_dual_lshrrev_b32 v7, 16, v100
	v_dual_lshrrev_b32 v80, 16, v84 :: v_dual_lshrrev_b32 v81, 16, v81
	v_and_or_b32 v55, 0xffff0000, v55, v67
	s_delay_alu instid0(VALU_DEP_4) | instskip(NEXT) | instid1(VALU_DEP_4)
	v_and_or_b32 v67, 0xffff0000, v6, v0
	v_and_or_b32 v32, 0xffff0000, v32, v7
	v_add_nc_u64_e32 v[6:7], 0x800, v[92:93]
	v_and_or_b32 v34, 0xffff0000, v34, v80
	v_cndmask_b32_e64 v80, 0, v60, s40
	v_and_or_b32 v66, 0xffff0000, v66, v82
	v_and_or_b32 v33, 0xffff0000, v33, v1
	v_add_nc_u64_e32 v[0:1], v[76:77], v[92:93]
	v_and_or_b32 v38, 0xffff0000, v38, v85
	v_dual_cndmask_b32 v7, 0, v7, s40 :: v_dual_sub_nc_u32 v31, v31, v80
	v_and_or_b32 v39, 0xffff0000, v39, v87
	s_clause 0x1
	global_store_b128 v[62:63], v[64:67], off th:TH_STORE_NT
	global_store_b128 v[62:63], v[52:55], off offset:512 th:TH_STORE_NT
	v_cndmask_b32_e64 v6, 0x800, v6, s40
	s_wait_xcnt 0x0
	v_add_nc_u64_e32 v[52:53], v[124:125], v[92:93]
	v_and_or_b32 v35, 0xffff0000, v35, v81
	v_cndmask_b32_e64 v77, v77, v1, s40
	v_cmp_gt_i32_e32 vcc_lo, 1, v31
	s_clause 0x1
	global_store_b128 v[62:63], v[36:39], off offset:1024 th:TH_STORE_NT
	global_store_b128 v[62:63], v[32:35], off offset:1536 th:TH_STORE_NT
	s_wait_xcnt 0x0
	v_add_nc_u64_e32 v[62:63], v[62:63], v[6:7]
	v_dual_cndmask_b32 v76, v76, v0, s40 :: v_dual_cndmask_b32 v125, v125, v53, s40
	v_cndmask_b32_e64 v124, v124, v52, s40
	s_or_b32 s14, vcc_lo, s14
	s_and_not1_b32 s15, s15, exec_lo
	s_and_b32 s41, s40, exec_lo
	s_delay_alu instid0(SALU_CYCLE_1)
	s_or_b32 s15, s15, s41
	s_and_not1_b32 exec_lo, exec_lo, s14
	s_cbranch_execz .LBB12_1976
.LBB12_1459:                            ;   Parent Loop BB12_47 Depth=1
                                        ;     Parent Loop BB12_1372 Depth=2
                                        ;       Parent Loop BB12_1375 Depth=3
                                        ; =>      This Inner Loop Header: Depth=4
	s_clause 0x3
	global_load_b128 v[112:115], v[76:77], off th:TH_LOAD_NT
	global_load_b128 v[100:103], v[76:77], off offset:512 th:TH_LOAD_NT
	global_load_b128 v[84:87], v[76:77], off offset:1024 th:TH_LOAD_NT
	;; [unrolled: 1-line block ×3, first 2 shown]
	s_clause 0x3
	global_load_b128 v[64:67], v[124:125], off th:TH_LOAD_NT
	global_load_b128 v[52:55], v[124:125], off offset:512 th:TH_LOAD_NT
	global_load_b128 v[36:39], v[124:125], off offset:1024 th:TH_LOAD_NT
	;; [unrolled: 1-line block ×3, first 2 shown]
	s_wait_xcnt 0x0
	s_and_saveexec_b32 s41, s40
	s_cbranch_execz .LBB12_1717
; %bb.1460:                             ;   in Loop: Header=BB12_1459 Depth=4
	v_lshlrev_b32_e32 v0, 16, v96
	s_delay_alu instid0(VALU_DEP_1) | instskip(NEXT) | instid1(VALU_DEP_1)
	v_mul_f32_e32 v0, v30, v0
	v_and_b32_e32 v1, 0x7f800000, v0
	s_delay_alu instid0(VALU_DEP_1) | instskip(SKIP_1) | instid1(SALU_CYCLE_1)
	v_cmp_ne_u32_e32 vcc_lo, 0x7f800000, v1
                                        ; implicit-def: $vgpr1
	s_and_saveexec_b32 s40, vcc_lo
	s_xor_b32 s40, exec_lo, s40
; %bb.1461:                             ;   in Loop: Header=BB12_1459 Depth=4
	v_bfe_u32 v1, v0, 16, 1
	s_delay_alu instid0(VALU_DEP_1)
	v_add3_u32 v1, v0, v1, 0x7fff
                                        ; implicit-def: $vgpr0
; %bb.1462:                             ;   in Loop: Header=BB12_1459 Depth=4
	s_and_not1_saveexec_b32 s40, s40
; %bb.1463:                             ;   in Loop: Header=BB12_1459 Depth=4
	v_and_b32_e32 v1, 0xffff, v0
	v_or_b32_e32 v6, 0x10000, v0
	s_delay_alu instid0(VALU_DEP_2) | instskip(NEXT) | instid1(VALU_DEP_2)
	v_cmp_eq_u32_e32 vcc_lo, 0, v1
	v_cndmask_b32_e32 v1, v6, v0, vcc_lo
; %bb.1464:                             ;   in Loop: Header=BB12_1459 Depth=4
	s_or_b32 exec_lo, exec_lo, s40
	v_and_b32_e32 v0, 0xffff0000, v96
	s_mov_b32 s40, exec_lo
                                        ; implicit-def: $vgpr118
	s_delay_alu instid0(VALU_DEP_1) | instskip(NEXT) | instid1(VALU_DEP_1)
	v_mul_f32_e32 v0, v30, v0
	v_and_b32_e32 v6, 0x7f800000, v0
	s_delay_alu instid0(VALU_DEP_1)
	v_cmpx_ne_u32_e32 0x7f800000, v6
	s_xor_b32 s40, exec_lo, s40
; %bb.1465:                             ;   in Loop: Header=BB12_1459 Depth=4
	v_bfe_u32 v6, v0, 16, 1
	s_delay_alu instid0(VALU_DEP_1)
	v_add3_u32 v118, v0, v6, 0x7fff
                                        ; implicit-def: $vgpr0
; %bb.1466:                             ;   in Loop: Header=BB12_1459 Depth=4
	s_and_not1_saveexec_b32 s40, s40
; %bb.1467:                             ;   in Loop: Header=BB12_1459 Depth=4
	v_and_b32_e32 v6, 0xffff, v0
	v_or_b32_e32 v7, 0x10000, v0
	s_delay_alu instid0(VALU_DEP_2) | instskip(NEXT) | instid1(VALU_DEP_2)
	v_cmp_eq_u32_e32 vcc_lo, 0, v6
	v_cndmask_b32_e32 v118, v7, v0, vcc_lo
; %bb.1468:                             ;   in Loop: Header=BB12_1459 Depth=4
	s_or_b32 exec_lo, exec_lo, s40
	v_lshlrev_b32_e32 v0, 16, v97
	s_mov_b32 s40, exec_lo
                                        ; implicit-def: $vgpr119
	s_delay_alu instid0(VALU_DEP_1) | instskip(NEXT) | instid1(VALU_DEP_1)
	v_mul_f32_e32 v0, v30, v0
	v_and_b32_e32 v6, 0x7f800000, v0
	s_delay_alu instid0(VALU_DEP_1)
	v_cmpx_ne_u32_e32 0x7f800000, v6
	s_xor_b32 s40, exec_lo, s40
; %bb.1469:                             ;   in Loop: Header=BB12_1459 Depth=4
	v_bfe_u32 v6, v0, 16, 1
	s_delay_alu instid0(VALU_DEP_1)
	v_add3_u32 v119, v0, v6, 0x7fff
                                        ; implicit-def: $vgpr0
; %bb.1470:                             ;   in Loop: Header=BB12_1459 Depth=4
	s_and_not1_saveexec_b32 s40, s40
; %bb.1471:                             ;   in Loop: Header=BB12_1459 Depth=4
	v_and_b32_e32 v6, 0xffff, v0
	v_or_b32_e32 v7, 0x10000, v0
	s_delay_alu instid0(VALU_DEP_2) | instskip(NEXT) | instid1(VALU_DEP_2)
	v_cmp_eq_u32_e32 vcc_lo, 0, v6
	v_cndmask_b32_e32 v119, v7, v0, vcc_lo
; %bb.1472:                             ;   in Loop: Header=BB12_1459 Depth=4
	s_or_b32 exec_lo, exec_lo, s40
	v_and_b32_e32 v0, 0xffff0000, v97
	s_mov_b32 s40, exec_lo
                                        ; implicit-def: $vgpr45
	s_delay_alu instid0(VALU_DEP_1) | instskip(NEXT) | instid1(VALU_DEP_1)
	v_mul_f32_e32 v0, v30, v0
	v_and_b32_e32 v6, 0x7f800000, v0
	s_delay_alu instid0(VALU_DEP_1)
	v_cmpx_ne_u32_e32 0x7f800000, v6
	s_xor_b32 s40, exec_lo, s40
; %bb.1473:                             ;   in Loop: Header=BB12_1459 Depth=4
	v_bfe_u32 v6, v0, 16, 1
	s_delay_alu instid0(VALU_DEP_1)
	v_add3_u32 v45, v0, v6, 0x7fff
                                        ; implicit-def: $vgpr0
; %bb.1474:                             ;   in Loop: Header=BB12_1459 Depth=4
	s_and_not1_saveexec_b32 s40, s40
; %bb.1475:                             ;   in Loop: Header=BB12_1459 Depth=4
	v_and_b32_e32 v6, 0xffff, v0
	v_or_b32_e32 v7, 0x10000, v0
	s_delay_alu instid0(VALU_DEP_2) | instskip(NEXT) | instid1(VALU_DEP_2)
	v_cmp_eq_u32_e32 vcc_lo, 0, v6
	v_cndmask_b32_e32 v45, v7, v0, vcc_lo
; %bb.1476:                             ;   in Loop: Header=BB12_1459 Depth=4
	s_or_b32 exec_lo, exec_lo, s40
	v_lshlrev_b32_e32 v0, 16, v98
	s_delay_alu instid0(VALU_DEP_1) | instskip(NEXT) | instid1(VALU_DEP_1)
	v_mul_f32_e32 v6, v30, v0
	v_and_b32_e32 v0, 0x7f800000, v6
	s_delay_alu instid0(VALU_DEP_1) | instskip(SKIP_1) | instid1(SALU_CYCLE_1)
	v_cmp_ne_u32_e32 vcc_lo, 0x7f800000, v0
                                        ; implicit-def: $vgpr0
	s_and_saveexec_b32 s40, vcc_lo
	s_xor_b32 s40, exec_lo, s40
; %bb.1477:                             ;   in Loop: Header=BB12_1459 Depth=4
	v_bfe_u32 v0, v6, 16, 1
	s_delay_alu instid0(VALU_DEP_1)
	v_add3_u32 v0, v6, v0, 0x7fff
                                        ; implicit-def: $vgpr6
; %bb.1478:                             ;   in Loop: Header=BB12_1459 Depth=4
	s_and_not1_saveexec_b32 s40, s40
; %bb.1479:                             ;   in Loop: Header=BB12_1459 Depth=4
	v_and_b32_e32 v0, 0xffff, v6
	v_or_b32_e32 v7, 0x10000, v6
	s_delay_alu instid0(VALU_DEP_2) | instskip(NEXT) | instid1(VALU_DEP_2)
	v_cmp_eq_u32_e32 vcc_lo, 0, v0
	v_cndmask_b32_e32 v0, v7, v6, vcc_lo
; %bb.1480:                             ;   in Loop: Header=BB12_1459 Depth=4
	s_or_b32 exec_lo, exec_lo, s40
	v_and_b32_e32 v6, 0xffff0000, v98
	s_delay_alu instid0(VALU_DEP_1) | instskip(NEXT) | instid1(VALU_DEP_1)
	v_mul_f32_e32 v6, v30, v6
	v_and_b32_e32 v7, 0x7f800000, v6
	s_delay_alu instid0(VALU_DEP_1) | instskip(SKIP_1) | instid1(SALU_CYCLE_1)
	v_cmp_ne_u32_e32 vcc_lo, 0x7f800000, v7
                                        ; implicit-def: $vgpr7
	s_and_saveexec_b32 s40, vcc_lo
	s_xor_b32 s40, exec_lo, s40
; %bb.1481:                             ;   in Loop: Header=BB12_1459 Depth=4
	v_bfe_u32 v7, v6, 16, 1
	s_delay_alu instid0(VALU_DEP_1)
	v_add3_u32 v7, v6, v7, 0x7fff
                                        ; implicit-def: $vgpr6
; %bb.1482:                             ;   in Loop: Header=BB12_1459 Depth=4
	s_and_not1_saveexec_b32 s40, s40
; %bb.1483:                             ;   in Loop: Header=BB12_1459 Depth=4
	v_and_b32_e32 v7, 0xffff, v6
	v_or_b32_e32 v96, 0x10000, v6
	s_delay_alu instid0(VALU_DEP_2) | instskip(NEXT) | instid1(VALU_DEP_2)
	v_cmp_eq_u32_e32 vcc_lo, 0, v7
	v_cndmask_b32_e32 v7, v96, v6, vcc_lo
; %bb.1484:                             ;   in Loop: Header=BB12_1459 Depth=4
	s_or_b32 exec_lo, exec_lo, s40
	v_lshlrev_b32_e32 v6, 16, v99
	s_mov_b32 s40, exec_lo
                                        ; implicit-def: $vgpr44
	s_delay_alu instid0(VALU_DEP_1) | instskip(NEXT) | instid1(VALU_DEP_1)
	v_mul_f32_e32 v6, v30, v6
	v_and_b32_e32 v96, 0x7f800000, v6
	s_delay_alu instid0(VALU_DEP_1)
	v_cmpx_ne_u32_e32 0x7f800000, v96
	s_xor_b32 s40, exec_lo, s40
; %bb.1485:                             ;   in Loop: Header=BB12_1459 Depth=4
	v_bfe_u32 v96, v6, 16, 1
	s_delay_alu instid0(VALU_DEP_1)
	v_add3_u32 v44, v6, v96, 0x7fff
                                        ; implicit-def: $vgpr6
; %bb.1486:                             ;   in Loop: Header=BB12_1459 Depth=4
	s_and_not1_saveexec_b32 s40, s40
; %bb.1487:                             ;   in Loop: Header=BB12_1459 Depth=4
	v_and_b32_e32 v96, 0xffff, v6
	v_or_b32_e32 v97, 0x10000, v6
	s_delay_alu instid0(VALU_DEP_2) | instskip(NEXT) | instid1(VALU_DEP_2)
	v_cmp_eq_u32_e32 vcc_lo, 0, v96
	v_cndmask_b32_e32 v44, v97, v6, vcc_lo
; %bb.1488:                             ;   in Loop: Header=BB12_1459 Depth=4
	s_or_b32 exec_lo, exec_lo, s40
	v_and_b32_e32 v6, 0xffff0000, v99
	s_mov_b32 s40, exec_lo
                                        ; implicit-def: $vgpr47
	s_delay_alu instid0(VALU_DEP_1) | instskip(NEXT) | instid1(VALU_DEP_1)
	v_mul_f32_e32 v6, v30, v6
	v_and_b32_e32 v96, 0x7f800000, v6
	s_delay_alu instid0(VALU_DEP_1)
	v_cmpx_ne_u32_e32 0x7f800000, v96
	s_xor_b32 s40, exec_lo, s40
; %bb.1489:                             ;   in Loop: Header=BB12_1459 Depth=4
	v_bfe_u32 v96, v6, 16, 1
	s_delay_alu instid0(VALU_DEP_1)
	v_add3_u32 v47, v6, v96, 0x7fff
                                        ; implicit-def: $vgpr6
; %bb.1490:                             ;   in Loop: Header=BB12_1459 Depth=4
	s_and_not1_saveexec_b32 s40, s40
; %bb.1491:                             ;   in Loop: Header=BB12_1459 Depth=4
	v_and_b32_e32 v96, 0xffff, v6
	v_or_b32_e32 v97, 0x10000, v6
	s_delay_alu instid0(VALU_DEP_2) | instskip(NEXT) | instid1(VALU_DEP_2)
	v_cmp_eq_u32_e32 vcc_lo, 0, v96
	v_cndmask_b32_e32 v47, v97, v6, vcc_lo
; %bb.1492:                             ;   in Loop: Header=BB12_1459 Depth=4
	s_or_b32 exec_lo, exec_lo, s40
	v_lshlrev_b32_e32 v6, 16, v68
	s_delay_alu instid0(VALU_DEP_1) | instskip(NEXT) | instid1(VALU_DEP_1)
	v_mul_f32_e32 v96, v30, v6
	v_and_b32_e32 v6, 0x7f800000, v96
	s_delay_alu instid0(VALU_DEP_1) | instskip(SKIP_1) | instid1(SALU_CYCLE_1)
	v_cmp_ne_u32_e32 vcc_lo, 0x7f800000, v6
                                        ; implicit-def: $vgpr6
	s_and_saveexec_b32 s40, vcc_lo
	s_xor_b32 s40, exec_lo, s40
; %bb.1493:                             ;   in Loop: Header=BB12_1459 Depth=4
	v_bfe_u32 v6, v96, 16, 1
	s_delay_alu instid0(VALU_DEP_1)
	v_add3_u32 v6, v96, v6, 0x7fff
                                        ; implicit-def: $vgpr96
; %bb.1494:                             ;   in Loop: Header=BB12_1459 Depth=4
	s_and_not1_saveexec_b32 s40, s40
; %bb.1495:                             ;   in Loop: Header=BB12_1459 Depth=4
	v_and_b32_e32 v6, 0xffff, v96
	v_or_b32_e32 v97, 0x10000, v96
	s_delay_alu instid0(VALU_DEP_2) | instskip(NEXT) | instid1(VALU_DEP_2)
	v_cmp_eq_u32_e32 vcc_lo, 0, v6
	v_cndmask_b32_e32 v6, v97, v96, vcc_lo
; %bb.1496:                             ;   in Loop: Header=BB12_1459 Depth=4
	s_or_b32 exec_lo, exec_lo, s40
	v_and_b32_e32 v68, 0xffff0000, v68
	s_mov_b32 s40, exec_lo
                                        ; implicit-def: $vgpr107
	s_delay_alu instid0(VALU_DEP_1) | instskip(NEXT) | instid1(VALU_DEP_1)
	v_mul_f32_e32 v68, v30, v68
	v_and_b32_e32 v96, 0x7f800000, v68
	s_delay_alu instid0(VALU_DEP_1)
	v_cmpx_ne_u32_e32 0x7f800000, v96
	s_xor_b32 s40, exec_lo, s40
; %bb.1497:                             ;   in Loop: Header=BB12_1459 Depth=4
	v_bfe_u32 v96, v68, 16, 1
	s_delay_alu instid0(VALU_DEP_1)
	v_add3_u32 v107, v68, v96, 0x7fff
                                        ; implicit-def: $vgpr68
; %bb.1498:                             ;   in Loop: Header=BB12_1459 Depth=4
	s_and_not1_saveexec_b32 s40, s40
; %bb.1499:                             ;   in Loop: Header=BB12_1459 Depth=4
	v_and_b32_e32 v96, 0xffff, v68
	v_or_b32_e32 v97, 0x10000, v68
	s_delay_alu instid0(VALU_DEP_2) | instskip(NEXT) | instid1(VALU_DEP_2)
	v_cmp_eq_u32_e32 vcc_lo, 0, v96
	v_cndmask_b32_e32 v107, v97, v68, vcc_lo
; %bb.1500:                             ;   in Loop: Header=BB12_1459 Depth=4
	s_or_b32 exec_lo, exec_lo, s40
	v_lshlrev_b32_e32 v68, 16, v69
	s_mov_b32 s40, exec_lo
                                        ; implicit-def: $vgpr46
	s_delay_alu instid0(VALU_DEP_1) | instskip(NEXT) | instid1(VALU_DEP_1)
	v_mul_f32_e32 v68, v30, v68
	v_and_b32_e32 v96, 0x7f800000, v68
	s_delay_alu instid0(VALU_DEP_1)
	v_cmpx_ne_u32_e32 0x7f800000, v96
	s_xor_b32 s40, exec_lo, s40
; %bb.1501:                             ;   in Loop: Header=BB12_1459 Depth=4
	v_bfe_u32 v96, v68, 16, 1
	s_delay_alu instid0(VALU_DEP_1)
	v_add3_u32 v46, v68, v96, 0x7fff
                                        ; implicit-def: $vgpr68
; %bb.1502:                             ;   in Loop: Header=BB12_1459 Depth=4
	s_and_not1_saveexec_b32 s40, s40
; %bb.1503:                             ;   in Loop: Header=BB12_1459 Depth=4
	v_and_b32_e32 v96, 0xffff, v68
	v_or_b32_e32 v97, 0x10000, v68
	s_delay_alu instid0(VALU_DEP_2) | instskip(NEXT) | instid1(VALU_DEP_2)
	v_cmp_eq_u32_e32 vcc_lo, 0, v96
	v_cndmask_b32_e32 v46, v97, v68, vcc_lo
; %bb.1504:                             ;   in Loop: Header=BB12_1459 Depth=4
	s_or_b32 exec_lo, exec_lo, s40
	v_and_b32_e32 v68, 0xffff0000, v69
	s_mov_b32 s40, exec_lo
                                        ; implicit-def: $vgpr121
	s_delay_alu instid0(VALU_DEP_1) | instskip(NEXT) | instid1(VALU_DEP_1)
	v_mul_f32_e32 v68, v30, v68
	v_and_b32_e32 v69, 0x7f800000, v68
	s_delay_alu instid0(VALU_DEP_1)
	v_cmpx_ne_u32_e32 0x7f800000, v69
	s_xor_b32 s40, exec_lo, s40
; %bb.1505:                             ;   in Loop: Header=BB12_1459 Depth=4
	v_bfe_u32 v69, v68, 16, 1
	s_delay_alu instid0(VALU_DEP_1)
	v_add3_u32 v121, v68, v69, 0x7fff
                                        ; implicit-def: $vgpr68
; %bb.1506:                             ;   in Loop: Header=BB12_1459 Depth=4
	s_and_not1_saveexec_b32 s40, s40
; %bb.1507:                             ;   in Loop: Header=BB12_1459 Depth=4
	v_and_b32_e32 v69, 0xffff, v68
	v_or_b32_e32 v96, 0x10000, v68
	s_delay_alu instid0(VALU_DEP_2) | instskip(NEXT) | instid1(VALU_DEP_2)
	v_cmp_eq_u32_e32 vcc_lo, 0, v69
	v_cndmask_b32_e32 v121, v96, v68, vcc_lo
; %bb.1508:                             ;   in Loop: Header=BB12_1459 Depth=4
	s_or_b32 exec_lo, exec_lo, s40
	v_lshlrev_b32_e32 v68, 16, v70
	s_mov_b32 s40, exec_lo
                                        ; implicit-def: $vgpr106
	s_delay_alu instid0(VALU_DEP_1) | instskip(NEXT) | instid1(VALU_DEP_1)
	v_mul_f32_e32 v68, v30, v68
	v_and_b32_e32 v69, 0x7f800000, v68
	s_delay_alu instid0(VALU_DEP_1)
	v_cmpx_ne_u32_e32 0x7f800000, v69
	s_xor_b32 s40, exec_lo, s40
; %bb.1509:                             ;   in Loop: Header=BB12_1459 Depth=4
	v_bfe_u32 v69, v68, 16, 1
	s_delay_alu instid0(VALU_DEP_1)
	v_add3_u32 v106, v68, v69, 0x7fff
                                        ; implicit-def: $vgpr68
; %bb.1510:                             ;   in Loop: Header=BB12_1459 Depth=4
	s_and_not1_saveexec_b32 s40, s40
; %bb.1511:                             ;   in Loop: Header=BB12_1459 Depth=4
	v_and_b32_e32 v69, 0xffff, v68
	v_or_b32_e32 v96, 0x10000, v68
	s_delay_alu instid0(VALU_DEP_2) | instskip(NEXT) | instid1(VALU_DEP_2)
	v_cmp_eq_u32_e32 vcc_lo, 0, v69
	v_cndmask_b32_e32 v106, v96, v68, vcc_lo
; %bb.1512:                             ;   in Loop: Header=BB12_1459 Depth=4
	s_or_b32 exec_lo, exec_lo, s40
	v_and_b32_e32 v68, 0xffff0000, v70
	s_mov_b32 s40, exec_lo
                                        ; implicit-def: $vgpr79
	s_delay_alu instid0(VALU_DEP_1) | instskip(NEXT) | instid1(VALU_DEP_1)
	v_mul_f32_e32 v68, v30, v68
	v_and_b32_e32 v69, 0x7f800000, v68
	s_delay_alu instid0(VALU_DEP_1)
	v_cmpx_ne_u32_e32 0x7f800000, v69
	s_xor_b32 s40, exec_lo, s40
; %bb.1513:                             ;   in Loop: Header=BB12_1459 Depth=4
	v_bfe_u32 v69, v68, 16, 1
	s_delay_alu instid0(VALU_DEP_1)
	v_add3_u32 v79, v68, v69, 0x7fff
                                        ; implicit-def: $vgpr68
; %bb.1514:                             ;   in Loop: Header=BB12_1459 Depth=4
	s_and_not1_saveexec_b32 s40, s40
; %bb.1515:                             ;   in Loop: Header=BB12_1459 Depth=4
	v_and_b32_e32 v69, 0xffff, v68
	v_or_b32_e32 v70, 0x10000, v68
	s_delay_alu instid0(VALU_DEP_2) | instskip(NEXT) | instid1(VALU_DEP_2)
	v_cmp_eq_u32_e32 vcc_lo, 0, v69
	v_cndmask_b32_e32 v79, v70, v68, vcc_lo
; %bb.1516:                             ;   in Loop: Header=BB12_1459 Depth=4
	s_or_b32 exec_lo, exec_lo, s40
	v_lshlrev_b32_e32 v68, 16, v71
	s_mov_b32 s40, exec_lo
                                        ; implicit-def: $vgpr120
	s_delay_alu instid0(VALU_DEP_1) | instskip(NEXT) | instid1(VALU_DEP_1)
	v_mul_f32_e32 v68, v30, v68
	v_and_b32_e32 v69, 0x7f800000, v68
	s_delay_alu instid0(VALU_DEP_1)
	v_cmpx_ne_u32_e32 0x7f800000, v69
	s_xor_b32 s40, exec_lo, s40
; %bb.1517:                             ;   in Loop: Header=BB12_1459 Depth=4
	v_bfe_u32 v69, v68, 16, 1
	s_delay_alu instid0(VALU_DEP_1)
	v_add3_u32 v120, v68, v69, 0x7fff
                                        ; implicit-def: $vgpr68
; %bb.1518:                             ;   in Loop: Header=BB12_1459 Depth=4
	s_and_not1_saveexec_b32 s40, s40
; %bb.1519:                             ;   in Loop: Header=BB12_1459 Depth=4
	v_and_b32_e32 v69, 0xffff, v68
	v_or_b32_e32 v70, 0x10000, v68
	s_delay_alu instid0(VALU_DEP_2) | instskip(NEXT) | instid1(VALU_DEP_2)
	v_cmp_eq_u32_e32 vcc_lo, 0, v69
	v_cndmask_b32_e32 v120, v70, v68, vcc_lo
; %bb.1520:                             ;   in Loop: Header=BB12_1459 Depth=4
	s_or_b32 exec_lo, exec_lo, s40
	v_and_b32_e32 v68, 0xffff0000, v71
	s_mov_b32 s40, exec_lo
                                        ; implicit-def: $vgpr43
	s_delay_alu instid0(VALU_DEP_1) | instskip(NEXT) | instid1(VALU_DEP_1)
	v_mul_f32_e32 v68, v30, v68
	v_and_b32_e32 v69, 0x7f800000, v68
	s_delay_alu instid0(VALU_DEP_1)
	v_cmpx_ne_u32_e32 0x7f800000, v69
	s_xor_b32 s40, exec_lo, s40
; %bb.1521:                             ;   in Loop: Header=BB12_1459 Depth=4
	v_bfe_u32 v69, v68, 16, 1
	s_delay_alu instid0(VALU_DEP_1)
	v_add3_u32 v43, v68, v69, 0x7fff
                                        ; implicit-def: $vgpr68
; %bb.1522:                             ;   in Loop: Header=BB12_1459 Depth=4
	s_and_not1_saveexec_b32 s40, s40
; %bb.1523:                             ;   in Loop: Header=BB12_1459 Depth=4
	v_and_b32_e32 v69, 0xffff, v68
	v_or_b32_e32 v70, 0x10000, v68
	s_delay_alu instid0(VALU_DEP_2) | instskip(NEXT) | instid1(VALU_DEP_2)
	v_cmp_eq_u32_e32 vcc_lo, 0, v69
	v_cndmask_b32_e32 v43, v70, v68, vcc_lo
; %bb.1524:                             ;   in Loop: Header=BB12_1459 Depth=4
	s_or_b32 exec_lo, exec_lo, s40
	v_lshlrev_b32_e32 v68, 16, v48
	s_mov_b32 s40, exec_lo
                                        ; implicit-def: $vgpr78
	s_delay_alu instid0(VALU_DEP_1) | instskip(NEXT) | instid1(VALU_DEP_1)
	v_mul_f32_e32 v68, v30, v68
	v_and_b32_e32 v69, 0x7f800000, v68
	s_delay_alu instid0(VALU_DEP_1)
	v_cmpx_ne_u32_e32 0x7f800000, v69
	s_xor_b32 s40, exec_lo, s40
; %bb.1525:                             ;   in Loop: Header=BB12_1459 Depth=4
	v_bfe_u32 v69, v68, 16, 1
	s_delay_alu instid0(VALU_DEP_1)
	v_add3_u32 v78, v68, v69, 0x7fff
                                        ; implicit-def: $vgpr68
; %bb.1526:                             ;   in Loop: Header=BB12_1459 Depth=4
	s_and_not1_saveexec_b32 s40, s40
; %bb.1527:                             ;   in Loop: Header=BB12_1459 Depth=4
	v_and_b32_e32 v69, 0xffff, v68
	v_or_b32_e32 v70, 0x10000, v68
	s_delay_alu instid0(VALU_DEP_2) | instskip(NEXT) | instid1(VALU_DEP_2)
	v_cmp_eq_u32_e32 vcc_lo, 0, v69
	v_cndmask_b32_e32 v78, v70, v68, vcc_lo
; %bb.1528:                             ;   in Loop: Header=BB12_1459 Depth=4
	s_or_b32 exec_lo, exec_lo, s40
	v_and_b32_e32 v48, 0xffff0000, v48
	s_mov_b32 s40, exec_lo
                                        ; implicit-def: $vgpr99
	s_delay_alu instid0(VALU_DEP_1) | instskip(NEXT) | instid1(VALU_DEP_1)
	v_mul_f32_e32 v48, v30, v48
	v_and_b32_e32 v68, 0x7f800000, v48
	s_delay_alu instid0(VALU_DEP_1)
	v_cmpx_ne_u32_e32 0x7f800000, v68
	s_xor_b32 s40, exec_lo, s40
; %bb.1529:                             ;   in Loop: Header=BB12_1459 Depth=4
	v_bfe_u32 v68, v48, 16, 1
	s_delay_alu instid0(VALU_DEP_1)
	v_add3_u32 v99, v48, v68, 0x7fff
                                        ; implicit-def: $vgpr48
; %bb.1530:                             ;   in Loop: Header=BB12_1459 Depth=4
	s_and_not1_saveexec_b32 s40, s40
; %bb.1531:                             ;   in Loop: Header=BB12_1459 Depth=4
	v_and_b32_e32 v68, 0xffff, v48
	v_or_b32_e32 v69, 0x10000, v48
	s_delay_alu instid0(VALU_DEP_2) | instskip(NEXT) | instid1(VALU_DEP_2)
	v_cmp_eq_u32_e32 vcc_lo, 0, v68
	v_cndmask_b32_e32 v99, v69, v48, vcc_lo
; %bb.1532:                             ;   in Loop: Header=BB12_1459 Depth=4
	s_or_b32 exec_lo, exec_lo, s40
	v_lshlrev_b32_e32 v48, 16, v49
	s_mov_b32 s40, exec_lo
                                        ; implicit-def: $vgpr42
	s_delay_alu instid0(VALU_DEP_1) | instskip(NEXT) | instid1(VALU_DEP_1)
	v_mul_f32_e32 v48, v30, v48
	v_and_b32_e32 v68, 0x7f800000, v48
	s_delay_alu instid0(VALU_DEP_1)
	v_cmpx_ne_u32_e32 0x7f800000, v68
	s_xor_b32 s40, exec_lo, s40
; %bb.1533:                             ;   in Loop: Header=BB12_1459 Depth=4
	v_bfe_u32 v68, v48, 16, 1
	s_delay_alu instid0(VALU_DEP_1)
	v_add3_u32 v42, v48, v68, 0x7fff
                                        ; implicit-def: $vgpr48
; %bb.1534:                             ;   in Loop: Header=BB12_1459 Depth=4
	s_and_not1_saveexec_b32 s40, s40
; %bb.1535:                             ;   in Loop: Header=BB12_1459 Depth=4
	v_and_b32_e32 v68, 0xffff, v48
	v_or_b32_e32 v69, 0x10000, v48
	s_delay_alu instid0(VALU_DEP_2) | instskip(NEXT) | instid1(VALU_DEP_2)
	v_cmp_eq_u32_e32 vcc_lo, 0, v68
	v_cndmask_b32_e32 v42, v69, v48, vcc_lo
; %bb.1536:                             ;   in Loop: Header=BB12_1459 Depth=4
	s_or_b32 exec_lo, exec_lo, s40
	v_and_b32_e32 v48, 0xffff0000, v49
	s_mov_b32 s40, exec_lo
                                        ; implicit-def: $vgpr97
	s_delay_alu instid0(VALU_DEP_1) | instskip(NEXT) | instid1(VALU_DEP_1)
	v_mul_f32_e32 v48, v30, v48
	v_and_b32_e32 v49, 0x7f800000, v48
	s_delay_alu instid0(VALU_DEP_1)
	v_cmpx_ne_u32_e32 0x7f800000, v49
	s_xor_b32 s40, exec_lo, s40
; %bb.1537:                             ;   in Loop: Header=BB12_1459 Depth=4
	v_bfe_u32 v49, v48, 16, 1
	s_delay_alu instid0(VALU_DEP_1)
	v_add3_u32 v97, v48, v49, 0x7fff
                                        ; implicit-def: $vgpr48
; %bb.1538:                             ;   in Loop: Header=BB12_1459 Depth=4
	s_and_not1_saveexec_b32 s40, s40
; %bb.1539:                             ;   in Loop: Header=BB12_1459 Depth=4
	v_and_b32_e32 v49, 0xffff, v48
	v_or_b32_e32 v68, 0x10000, v48
	s_delay_alu instid0(VALU_DEP_2) | instskip(NEXT) | instid1(VALU_DEP_2)
	v_cmp_eq_u32_e32 vcc_lo, 0, v49
	v_cndmask_b32_e32 v97, v68, v48, vcc_lo
; %bb.1540:                             ;   in Loop: Header=BB12_1459 Depth=4
	s_or_b32 exec_lo, exec_lo, s40
	v_lshlrev_b32_e32 v48, 16, v50
	s_mov_b32 s40, exec_lo
                                        ; implicit-def: $vgpr98
	s_delay_alu instid0(VALU_DEP_1) | instskip(NEXT) | instid1(VALU_DEP_1)
	v_mul_f32_e32 v48, v30, v48
	v_and_b32_e32 v49, 0x7f800000, v48
	s_delay_alu instid0(VALU_DEP_1)
	v_cmpx_ne_u32_e32 0x7f800000, v49
	s_xor_b32 s40, exec_lo, s40
; %bb.1541:                             ;   in Loop: Header=BB12_1459 Depth=4
	v_bfe_u32 v49, v48, 16, 1
	s_delay_alu instid0(VALU_DEP_1)
	v_add3_u32 v98, v48, v49, 0x7fff
                                        ; implicit-def: $vgpr48
; %bb.1542:                             ;   in Loop: Header=BB12_1459 Depth=4
	s_and_not1_saveexec_b32 s40, s40
; %bb.1543:                             ;   in Loop: Header=BB12_1459 Depth=4
	v_and_b32_e32 v49, 0xffff, v48
	v_or_b32_e32 v68, 0x10000, v48
	s_delay_alu instid0(VALU_DEP_2) | instskip(NEXT) | instid1(VALU_DEP_2)
	v_cmp_eq_u32_e32 vcc_lo, 0, v49
	v_cndmask_b32_e32 v98, v68, v48, vcc_lo
; %bb.1544:                             ;   in Loop: Header=BB12_1459 Depth=4
	s_or_b32 exec_lo, exec_lo, s40
	v_and_b32_e32 v48, 0xffff0000, v50
	s_mov_b32 s40, exec_lo
                                        ; implicit-def: $vgpr71
	s_delay_alu instid0(VALU_DEP_1) | instskip(NEXT) | instid1(VALU_DEP_1)
	v_mul_f32_e32 v48, v30, v48
	v_and_b32_e32 v49, 0x7f800000, v48
	s_delay_alu instid0(VALU_DEP_1)
	v_cmpx_ne_u32_e32 0x7f800000, v49
	s_xor_b32 s40, exec_lo, s40
; %bb.1545:                             ;   in Loop: Header=BB12_1459 Depth=4
	v_bfe_u32 v49, v48, 16, 1
	s_delay_alu instid0(VALU_DEP_1)
	v_add3_u32 v71, v48, v49, 0x7fff
                                        ; implicit-def: $vgpr48
; %bb.1546:                             ;   in Loop: Header=BB12_1459 Depth=4
	s_and_not1_saveexec_b32 s40, s40
; %bb.1547:                             ;   in Loop: Header=BB12_1459 Depth=4
	v_and_b32_e32 v49, 0xffff, v48
	v_or_b32_e32 v50, 0x10000, v48
	s_delay_alu instid0(VALU_DEP_2) | instskip(NEXT) | instid1(VALU_DEP_2)
	v_cmp_eq_u32_e32 vcc_lo, 0, v49
	v_cndmask_b32_e32 v71, v50, v48, vcc_lo
; %bb.1548:                             ;   in Loop: Header=BB12_1459 Depth=4
	s_or_b32 exec_lo, exec_lo, s40
	v_lshlrev_b32_e32 v48, 16, v51
	s_mov_b32 s40, exec_lo
                                        ; implicit-def: $vgpr96
	s_delay_alu instid0(VALU_DEP_1) | instskip(NEXT) | instid1(VALU_DEP_1)
	v_mul_f32_e32 v48, v30, v48
	v_and_b32_e32 v49, 0x7f800000, v48
	s_delay_alu instid0(VALU_DEP_1)
	v_cmpx_ne_u32_e32 0x7f800000, v49
	s_xor_b32 s40, exec_lo, s40
; %bb.1549:                             ;   in Loop: Header=BB12_1459 Depth=4
	v_bfe_u32 v49, v48, 16, 1
	s_delay_alu instid0(VALU_DEP_1)
	v_add3_u32 v96, v48, v49, 0x7fff
                                        ; implicit-def: $vgpr48
; %bb.1550:                             ;   in Loop: Header=BB12_1459 Depth=4
	s_and_not1_saveexec_b32 s40, s40
; %bb.1551:                             ;   in Loop: Header=BB12_1459 Depth=4
	v_and_b32_e32 v49, 0xffff, v48
	v_or_b32_e32 v50, 0x10000, v48
	s_delay_alu instid0(VALU_DEP_2) | instskip(NEXT) | instid1(VALU_DEP_2)
	v_cmp_eq_u32_e32 vcc_lo, 0, v49
	v_cndmask_b32_e32 v96, v50, v48, vcc_lo
; %bb.1552:                             ;   in Loop: Header=BB12_1459 Depth=4
	s_or_b32 exec_lo, exec_lo, s40
	v_and_b32_e32 v48, 0xffff0000, v51
	s_mov_b32 s40, exec_lo
                                        ; implicit-def: $vgpr69
	s_delay_alu instid0(VALU_DEP_1) | instskip(NEXT) | instid1(VALU_DEP_1)
	v_mul_f32_e32 v48, v30, v48
	v_and_b32_e32 v49, 0x7f800000, v48
	s_delay_alu instid0(VALU_DEP_1)
	v_cmpx_ne_u32_e32 0x7f800000, v49
	s_xor_b32 s40, exec_lo, s40
; %bb.1553:                             ;   in Loop: Header=BB12_1459 Depth=4
	v_bfe_u32 v49, v48, 16, 1
	s_delay_alu instid0(VALU_DEP_1)
	v_add3_u32 v69, v48, v49, 0x7fff
                                        ; implicit-def: $vgpr48
; %bb.1554:                             ;   in Loop: Header=BB12_1459 Depth=4
	s_and_not1_saveexec_b32 s40, s40
; %bb.1555:                             ;   in Loop: Header=BB12_1459 Depth=4
	v_and_b32_e32 v49, 0xffff, v48
	v_or_b32_e32 v50, 0x10000, v48
	s_delay_alu instid0(VALU_DEP_2) | instskip(NEXT) | instid1(VALU_DEP_2)
	v_cmp_eq_u32_e32 vcc_lo, 0, v49
	v_cndmask_b32_e32 v69, v50, v48, vcc_lo
; %bb.1556:                             ;   in Loop: Header=BB12_1459 Depth=4
	s_or_b32 exec_lo, exec_lo, s40
	v_lshlrev_b32_e32 v48, 16, v24
	s_mov_b32 s40, exec_lo
                                        ; implicit-def: $vgpr70
	s_delay_alu instid0(VALU_DEP_1) | instskip(NEXT) | instid1(VALU_DEP_1)
	v_mul_f32_e32 v48, v30, v48
	v_and_b32_e32 v49, 0x7f800000, v48
	s_delay_alu instid0(VALU_DEP_1)
	v_cmpx_ne_u32_e32 0x7f800000, v49
	s_xor_b32 s40, exec_lo, s40
; %bb.1557:                             ;   in Loop: Header=BB12_1459 Depth=4
	v_bfe_u32 v49, v48, 16, 1
	s_delay_alu instid0(VALU_DEP_1)
	v_add3_u32 v70, v48, v49, 0x7fff
                                        ; implicit-def: $vgpr48
; %bb.1558:                             ;   in Loop: Header=BB12_1459 Depth=4
	s_and_not1_saveexec_b32 s40, s40
; %bb.1559:                             ;   in Loop: Header=BB12_1459 Depth=4
	v_and_b32_e32 v49, 0xffff, v48
	v_or_b32_e32 v50, 0x10000, v48
	s_delay_alu instid0(VALU_DEP_2) | instskip(NEXT) | instid1(VALU_DEP_2)
	v_cmp_eq_u32_e32 vcc_lo, 0, v49
	v_cndmask_b32_e32 v70, v50, v48, vcc_lo
; %bb.1560:                             ;   in Loop: Header=BB12_1459 Depth=4
	s_or_b32 exec_lo, exec_lo, s40
	v_and_b32_e32 v24, 0xffff0000, v24
	s_mov_b32 s40, exec_lo
                                        ; implicit-def: $vgpr51
	s_delay_alu instid0(VALU_DEP_1) | instskip(NEXT) | instid1(VALU_DEP_1)
	v_mul_f32_e32 v24, v30, v24
	v_and_b32_e32 v48, 0x7f800000, v24
	s_delay_alu instid0(VALU_DEP_1)
	v_cmpx_ne_u32_e32 0x7f800000, v48
	s_xor_b32 s40, exec_lo, s40
; %bb.1561:                             ;   in Loop: Header=BB12_1459 Depth=4
	v_bfe_u32 v48, v24, 16, 1
	s_delay_alu instid0(VALU_DEP_1)
	v_add3_u32 v51, v24, v48, 0x7fff
                                        ; implicit-def: $vgpr24
; %bb.1562:                             ;   in Loop: Header=BB12_1459 Depth=4
	s_and_not1_saveexec_b32 s40, s40
; %bb.1563:                             ;   in Loop: Header=BB12_1459 Depth=4
	v_and_b32_e32 v48, 0xffff, v24
	v_or_b32_e32 v49, 0x10000, v24
	s_delay_alu instid0(VALU_DEP_2) | instskip(NEXT) | instid1(VALU_DEP_2)
	v_cmp_eq_u32_e32 vcc_lo, 0, v48
	v_cndmask_b32_e32 v51, v49, v24, vcc_lo
; %bb.1564:                             ;   in Loop: Header=BB12_1459 Depth=4
	s_or_b32 exec_lo, exec_lo, s40
	v_lshlrev_b32_e32 v24, 16, v25
	s_mov_b32 s40, exec_lo
                                        ; implicit-def: $vgpr68
	s_delay_alu instid0(VALU_DEP_1) | instskip(NEXT) | instid1(VALU_DEP_1)
	v_mul_f32_e32 v24, v30, v24
	v_and_b32_e32 v48, 0x7f800000, v24
	s_delay_alu instid0(VALU_DEP_1)
	v_cmpx_ne_u32_e32 0x7f800000, v48
	s_xor_b32 s40, exec_lo, s40
; %bb.1565:                             ;   in Loop: Header=BB12_1459 Depth=4
	v_bfe_u32 v48, v24, 16, 1
	s_delay_alu instid0(VALU_DEP_1)
	v_add3_u32 v68, v24, v48, 0x7fff
                                        ; implicit-def: $vgpr24
; %bb.1566:                             ;   in Loop: Header=BB12_1459 Depth=4
	s_and_not1_saveexec_b32 s40, s40
; %bb.1567:                             ;   in Loop: Header=BB12_1459 Depth=4
	v_and_b32_e32 v48, 0xffff, v24
	v_or_b32_e32 v49, 0x10000, v24
	s_delay_alu instid0(VALU_DEP_2) | instskip(NEXT) | instid1(VALU_DEP_2)
	v_cmp_eq_u32_e32 vcc_lo, 0, v48
	v_cndmask_b32_e32 v68, v49, v24, vcc_lo
; %bb.1568:                             ;   in Loop: Header=BB12_1459 Depth=4
	s_or_b32 exec_lo, exec_lo, s40
	v_and_b32_e32 v24, 0xffff0000, v25
	s_mov_b32 s40, exec_lo
                                        ; implicit-def: $vgpr49
	s_delay_alu instid0(VALU_DEP_1) | instskip(NEXT) | instid1(VALU_DEP_1)
	v_mul_f32_e32 v24, v30, v24
	v_and_b32_e32 v25, 0x7f800000, v24
	s_delay_alu instid0(VALU_DEP_1)
	v_cmpx_ne_u32_e32 0x7f800000, v25
	s_xor_b32 s40, exec_lo, s40
; %bb.1569:                             ;   in Loop: Header=BB12_1459 Depth=4
	v_bfe_u32 v25, v24, 16, 1
	s_delay_alu instid0(VALU_DEP_1)
	v_add3_u32 v49, v24, v25, 0x7fff
                                        ; implicit-def: $vgpr24
; %bb.1570:                             ;   in Loop: Header=BB12_1459 Depth=4
	s_and_not1_saveexec_b32 s40, s40
; %bb.1571:                             ;   in Loop: Header=BB12_1459 Depth=4
	v_and_b32_e32 v25, 0xffff, v24
	v_or_b32_e32 v48, 0x10000, v24
	s_delay_alu instid0(VALU_DEP_2) | instskip(NEXT) | instid1(VALU_DEP_2)
	v_cmp_eq_u32_e32 vcc_lo, 0, v25
	v_cndmask_b32_e32 v49, v48, v24, vcc_lo
; %bb.1572:                             ;   in Loop: Header=BB12_1459 Depth=4
	s_or_b32 exec_lo, exec_lo, s40
	v_lshlrev_b32_e32 v24, 16, v26
	s_mov_b32 s40, exec_lo
                                        ; implicit-def: $vgpr50
	s_delay_alu instid0(VALU_DEP_1) | instskip(NEXT) | instid1(VALU_DEP_1)
	v_mul_f32_e32 v24, v30, v24
	v_and_b32_e32 v25, 0x7f800000, v24
	s_delay_alu instid0(VALU_DEP_1)
	v_cmpx_ne_u32_e32 0x7f800000, v25
	s_xor_b32 s40, exec_lo, s40
; %bb.1573:                             ;   in Loop: Header=BB12_1459 Depth=4
	v_bfe_u32 v25, v24, 16, 1
	s_delay_alu instid0(VALU_DEP_1)
	v_add3_u32 v50, v24, v25, 0x7fff
                                        ; implicit-def: $vgpr24
; %bb.1574:                             ;   in Loop: Header=BB12_1459 Depth=4
	s_and_not1_saveexec_b32 s40, s40
; %bb.1575:                             ;   in Loop: Header=BB12_1459 Depth=4
	v_and_b32_e32 v25, 0xffff, v24
	v_or_b32_e32 v48, 0x10000, v24
	s_delay_alu instid0(VALU_DEP_2) | instskip(NEXT) | instid1(VALU_DEP_2)
	v_cmp_eq_u32_e32 vcc_lo, 0, v25
	v_cndmask_b32_e32 v50, v48, v24, vcc_lo
; %bb.1576:                             ;   in Loop: Header=BB12_1459 Depth=4
	s_or_b32 exec_lo, exec_lo, s40
	v_and_b32_e32 v24, 0xffff0000, v26
	s_mov_b32 s40, exec_lo
                                        ; implicit-def: $vgpr26
	s_delay_alu instid0(VALU_DEP_1) | instskip(NEXT) | instid1(VALU_DEP_1)
	v_mul_f32_e32 v24, v30, v24
	v_and_b32_e32 v25, 0x7f800000, v24
	s_delay_alu instid0(VALU_DEP_1)
	v_cmpx_ne_u32_e32 0x7f800000, v25
	s_xor_b32 s40, exec_lo, s40
; %bb.1577:                             ;   in Loop: Header=BB12_1459 Depth=4
	v_bfe_u32 v25, v24, 16, 1
	s_delay_alu instid0(VALU_DEP_1)
	v_add3_u32 v26, v24, v25, 0x7fff
                                        ; implicit-def: $vgpr24
; %bb.1578:                             ;   in Loop: Header=BB12_1459 Depth=4
	s_and_not1_saveexec_b32 s40, s40
; %bb.1579:                             ;   in Loop: Header=BB12_1459 Depth=4
	v_and_b32_e32 v25, 0xffff, v24
	v_or_b32_e32 v26, 0x10000, v24
	s_delay_alu instid0(VALU_DEP_2) | instskip(NEXT) | instid1(VALU_DEP_2)
	v_cmp_eq_u32_e32 vcc_lo, 0, v25
	v_cndmask_b32_e32 v26, v26, v24, vcc_lo
; %bb.1580:                             ;   in Loop: Header=BB12_1459 Depth=4
	s_or_b32 exec_lo, exec_lo, s40
	v_lshlrev_b32_e32 v24, 16, v27
	s_mov_b32 s40, exec_lo
                                        ; implicit-def: $vgpr48
	s_delay_alu instid0(VALU_DEP_1) | instskip(NEXT) | instid1(VALU_DEP_1)
	v_mul_f32_e32 v24, v30, v24
	v_and_b32_e32 v25, 0x7f800000, v24
	s_delay_alu instid0(VALU_DEP_1)
	v_cmpx_ne_u32_e32 0x7f800000, v25
	s_xor_b32 s40, exec_lo, s40
; %bb.1581:                             ;   in Loop: Header=BB12_1459 Depth=4
	v_bfe_u32 v25, v24, 16, 1
	s_delay_alu instid0(VALU_DEP_1)
	v_add3_u32 v48, v24, v25, 0x7fff
                                        ; implicit-def: $vgpr24
; %bb.1582:                             ;   in Loop: Header=BB12_1459 Depth=4
	s_and_not1_saveexec_b32 s40, s40
; %bb.1583:                             ;   in Loop: Header=BB12_1459 Depth=4
	v_and_b32_e32 v25, 0xffff, v24
	v_or_b32_e32 v48, 0x10000, v24
	s_delay_alu instid0(VALU_DEP_2) | instskip(NEXT) | instid1(VALU_DEP_2)
	v_cmp_eq_u32_e32 vcc_lo, 0, v25
	v_cndmask_b32_e32 v48, v48, v24, vcc_lo
; %bb.1584:                             ;   in Loop: Header=BB12_1459 Depth=4
	s_or_b32 exec_lo, exec_lo, s40
	v_and_b32_e32 v24, 0xffff0000, v27
	s_delay_alu instid0(VALU_DEP_1) | instskip(NEXT) | instid1(VALU_DEP_1)
	v_mul_f32_e32 v24, v30, v24
	v_and_b32_e32 v25, 0x7f800000, v24
	s_delay_alu instid0(VALU_DEP_1) | instskip(SKIP_1) | instid1(SALU_CYCLE_1)
	v_cmp_ne_u32_e32 vcc_lo, 0x7f800000, v25
                                        ; implicit-def: $vgpr25
	s_and_saveexec_b32 s40, vcc_lo
	s_xor_b32 s40, exec_lo, s40
; %bb.1585:                             ;   in Loop: Header=BB12_1459 Depth=4
	v_bfe_u32 v25, v24, 16, 1
	s_delay_alu instid0(VALU_DEP_1)
	v_add3_u32 v25, v24, v25, 0x7fff
                                        ; implicit-def: $vgpr24
; %bb.1586:                             ;   in Loop: Header=BB12_1459 Depth=4
	s_and_not1_saveexec_b32 s40, s40
; %bb.1587:                             ;   in Loop: Header=BB12_1459 Depth=4
	v_and_b32_e32 v25, 0xffff, v24
	v_or_b32_e32 v27, 0x10000, v24
	s_delay_alu instid0(VALU_DEP_2) | instskip(NEXT) | instid1(VALU_DEP_2)
	v_cmp_eq_u32_e32 vcc_lo, 0, v25
	v_cndmask_b32_e32 v25, v27, v24, vcc_lo
; %bb.1588:                             ;   in Loop: Header=BB12_1459 Depth=4
	s_or_b32 exec_lo, exec_lo, s40
	v_and_b32_e32 v1, 0xffff0000, v1
	v_lshlrev_b32_e32 v24, 16, v20
	s_delay_alu instid0(VALU_DEP_1) | instskip(NEXT) | instid1(VALU_DEP_1)
	v_add_f32_e32 v24, v24, v1
	v_and_b32_e32 v1, 0x7f800000, v24
	s_delay_alu instid0(VALU_DEP_1) | instskip(SKIP_1) | instid1(SALU_CYCLE_1)
	v_cmp_ne_u32_e32 vcc_lo, 0x7f800000, v1
                                        ; implicit-def: $vgpr1
	s_and_saveexec_b32 s40, vcc_lo
	s_xor_b32 s40, exec_lo, s40
; %bb.1589:                             ;   in Loop: Header=BB12_1459 Depth=4
	v_bfe_u32 v1, v24, 16, 1
	s_delay_alu instid0(VALU_DEP_1)
	v_add3_u32 v1, v24, v1, 0x7fff
                                        ; implicit-def: $vgpr24
; %bb.1590:                             ;   in Loop: Header=BB12_1459 Depth=4
	s_and_not1_saveexec_b32 s40, s40
; %bb.1591:                             ;   in Loop: Header=BB12_1459 Depth=4
	v_and_b32_e32 v1, 0xffff, v24
	v_or_b32_e32 v27, 0x10000, v24
	s_delay_alu instid0(VALU_DEP_2) | instskip(NEXT) | instid1(VALU_DEP_2)
	v_cmp_eq_u32_e32 vcc_lo, 0, v1
	v_cndmask_b32_e32 v1, v27, v24, vcc_lo
; %bb.1592:                             ;   in Loop: Header=BB12_1459 Depth=4
	s_or_b32 exec_lo, exec_lo, s40
	v_and_b32_e32 v24, 0xffff0000, v20
	v_and_b32_e32 v27, 0xffff0000, v118
	s_delay_alu instid0(VALU_DEP_1) | instskip(NEXT) | instid1(VALU_DEP_1)
	v_add_f32_e32 v27, v24, v27
	v_and_b32_e32 v24, 0x7f800000, v27
	s_delay_alu instid0(VALU_DEP_1) | instskip(SKIP_1) | instid1(SALU_CYCLE_1)
	v_cmp_ne_u32_e32 vcc_lo, 0x7f800000, v24
                                        ; implicit-def: $vgpr24
	s_and_saveexec_b32 s40, vcc_lo
	s_xor_b32 s40, exec_lo, s40
; %bb.1593:                             ;   in Loop: Header=BB12_1459 Depth=4
	v_bfe_u32 v24, v27, 16, 1
	s_delay_alu instid0(VALU_DEP_1)
	v_add3_u32 v24, v27, v24, 0x7fff
                                        ; implicit-def: $vgpr27
; %bb.1594:                             ;   in Loop: Header=BB12_1459 Depth=4
	s_and_not1_saveexec_b32 s40, s40
; %bb.1595:                             ;   in Loop: Header=BB12_1459 Depth=4
	v_and_b32_e32 v24, 0xffff, v27
	v_or_b32_e32 v118, 0x10000, v27
	s_delay_alu instid0(VALU_DEP_2) | instskip(NEXT) | instid1(VALU_DEP_2)
	v_cmp_eq_u32_e32 vcc_lo, 0, v24
	v_cndmask_b32_e32 v24, v118, v27, vcc_lo
; %bb.1596:                             ;   in Loop: Header=BB12_1459 Depth=4
	s_or_b32 exec_lo, exec_lo, s40
	v_and_b32_e32 v27, 0xffff0000, v119
	v_lshlrev_b32_e32 v118, 16, v21
	s_delay_alu instid0(VALU_DEP_1) | instskip(NEXT) | instid1(VALU_DEP_1)
	v_add_f32_e32 v118, v118, v27
	v_and_b32_e32 v27, 0x7f800000, v118
	s_delay_alu instid0(VALU_DEP_1) | instskip(SKIP_1) | instid1(SALU_CYCLE_1)
	v_cmp_ne_u32_e32 vcc_lo, 0x7f800000, v27
                                        ; implicit-def: $vgpr27
	s_and_saveexec_b32 s40, vcc_lo
	s_xor_b32 s40, exec_lo, s40
; %bb.1597:                             ;   in Loop: Header=BB12_1459 Depth=4
	v_bfe_u32 v27, v118, 16, 1
	s_delay_alu instid0(VALU_DEP_1)
	v_add3_u32 v27, v118, v27, 0x7fff
                                        ; implicit-def: $vgpr118
; %bb.1598:                             ;   in Loop: Header=BB12_1459 Depth=4
	s_and_not1_saveexec_b32 s40, s40
; %bb.1599:                             ;   in Loop: Header=BB12_1459 Depth=4
	v_and_b32_e32 v27, 0xffff, v118
	v_or_b32_e32 v119, 0x10000, v118
	s_delay_alu instid0(VALU_DEP_2) | instskip(NEXT) | instid1(VALU_DEP_2)
	v_cmp_eq_u32_e32 vcc_lo, 0, v27
	v_cndmask_b32_e32 v27, v119, v118, vcc_lo
; %bb.1600:                             ;   in Loop: Header=BB12_1459 Depth=4
	s_or_b32 exec_lo, exec_lo, s40
	v_and_b32_e32 v118, 0xffff0000, v21
	v_and_b32_e32 v119, 0xffff0000, v45
	s_delay_alu instid0(VALU_DEP_1) | instskip(NEXT) | instid1(VALU_DEP_1)
	v_add_f32_e32 v119, v118, v119
	v_and_b32_e32 v118, 0x7f800000, v119
	s_delay_alu instid0(VALU_DEP_1) | instskip(SKIP_1) | instid1(SALU_CYCLE_1)
	v_cmp_ne_u32_e32 vcc_lo, 0x7f800000, v118
                                        ; implicit-def: $vgpr118
	s_and_saveexec_b32 s40, vcc_lo
	s_xor_b32 s40, exec_lo, s40
; %bb.1601:                             ;   in Loop: Header=BB12_1459 Depth=4
	v_bfe_u32 v118, v119, 16, 1
	s_delay_alu instid0(VALU_DEP_1)
	v_add3_u32 v118, v119, v118, 0x7fff
                                        ; implicit-def: $vgpr119
; %bb.1602:                             ;   in Loop: Header=BB12_1459 Depth=4
	s_and_not1_saveexec_b32 s40, s40
; %bb.1603:                             ;   in Loop: Header=BB12_1459 Depth=4
	v_and_b32_e32 v118, 0xffff, v119
	v_or_b32_e32 v45, 0x10000, v119
	s_delay_alu instid0(VALU_DEP_2) | instskip(NEXT) | instid1(VALU_DEP_2)
	v_cmp_eq_u32_e32 vcc_lo, 0, v118
	v_cndmask_b32_e32 v118, v45, v119, vcc_lo
; %bb.1604:                             ;   in Loop: Header=BB12_1459 Depth=4
	s_or_b32 exec_lo, exec_lo, s40
	v_and_b32_e32 v0, 0xffff0000, v0
	v_lshlrev_b32_e32 v119, 16, v22
	s_delay_alu instid0(VALU_DEP_1) | instskip(NEXT) | instid1(VALU_DEP_1)
	v_add_f32_e32 v119, v119, v0
	v_and_b32_e32 v0, 0x7f800000, v119
	s_delay_alu instid0(VALU_DEP_1) | instskip(SKIP_1) | instid1(SALU_CYCLE_1)
	v_cmp_ne_u32_e32 vcc_lo, 0x7f800000, v0
                                        ; implicit-def: $vgpr0
	s_and_saveexec_b32 s40, vcc_lo
	s_xor_b32 s40, exec_lo, s40
; %bb.1605:                             ;   in Loop: Header=BB12_1459 Depth=4
	v_bfe_u32 v0, v119, 16, 1
	s_delay_alu instid0(VALU_DEP_1)
	v_add3_u32 v0, v119, v0, 0x7fff
                                        ; implicit-def: $vgpr119
; %bb.1606:                             ;   in Loop: Header=BB12_1459 Depth=4
	s_and_not1_saveexec_b32 s40, s40
; %bb.1607:                             ;   in Loop: Header=BB12_1459 Depth=4
	v_and_b32_e32 v0, 0xffff, v119
	v_or_b32_e32 v45, 0x10000, v119
	s_delay_alu instid0(VALU_DEP_2) | instskip(NEXT) | instid1(VALU_DEP_2)
	v_cmp_eq_u32_e32 vcc_lo, 0, v0
	v_cndmask_b32_e32 v0, v45, v119, vcc_lo
; %bb.1608:                             ;   in Loop: Header=BB12_1459 Depth=4
	s_or_b32 exec_lo, exec_lo, s40
	v_and_b32_e32 v119, 0xffff0000, v22
	v_and_b32_e32 v7, 0xffff0000, v7
	s_delay_alu instid0(VALU_DEP_1) | instskip(NEXT) | instid1(VALU_DEP_1)
	v_add_f32_e32 v119, v119, v7
	v_and_b32_e32 v7, 0x7f800000, v119
	s_delay_alu instid0(VALU_DEP_1) | instskip(SKIP_1) | instid1(SALU_CYCLE_1)
	v_cmp_ne_u32_e32 vcc_lo, 0x7f800000, v7
                                        ; implicit-def: $vgpr7
	s_and_saveexec_b32 s40, vcc_lo
	s_xor_b32 s40, exec_lo, s40
; %bb.1609:                             ;   in Loop: Header=BB12_1459 Depth=4
	v_bfe_u32 v7, v119, 16, 1
	s_delay_alu instid0(VALU_DEP_1)
	v_add3_u32 v7, v119, v7, 0x7fff
                                        ; implicit-def: $vgpr119
; %bb.1610:                             ;   in Loop: Header=BB12_1459 Depth=4
	s_and_not1_saveexec_b32 s40, s40
; %bb.1611:                             ;   in Loop: Header=BB12_1459 Depth=4
	v_and_b32_e32 v7, 0xffff, v119
	v_or_b32_e32 v45, 0x10000, v119
	s_delay_alu instid0(VALU_DEP_2) | instskip(NEXT) | instid1(VALU_DEP_2)
	v_cmp_eq_u32_e32 vcc_lo, 0, v7
	v_cndmask_b32_e32 v7, v45, v119, vcc_lo
; %bb.1612:                             ;   in Loop: Header=BB12_1459 Depth=4
	s_or_b32 exec_lo, exec_lo, s40
	v_and_b32_e32 v119, 0xffff0000, v44
	v_lshlrev_b32_e32 v44, 16, v23
	s_delay_alu instid0(VALU_DEP_1) | instskip(NEXT) | instid1(VALU_DEP_1)
	v_add_f32_e32 v44, v44, v119
	v_and_b32_e32 v119, 0x7f800000, v44
	s_delay_alu instid0(VALU_DEP_1) | instskip(SKIP_1) | instid1(SALU_CYCLE_1)
	v_cmp_ne_u32_e32 vcc_lo, 0x7f800000, v119
                                        ; implicit-def: $vgpr119
	s_and_saveexec_b32 s40, vcc_lo
	s_xor_b32 s40, exec_lo, s40
; %bb.1613:                             ;   in Loop: Header=BB12_1459 Depth=4
	v_bfe_u32 v119, v44, 16, 1
	s_delay_alu instid0(VALU_DEP_1)
	v_add3_u32 v119, v44, v119, 0x7fff
                                        ; implicit-def: $vgpr44
; %bb.1614:                             ;   in Loop: Header=BB12_1459 Depth=4
	s_and_not1_saveexec_b32 s40, s40
; %bb.1615:                             ;   in Loop: Header=BB12_1459 Depth=4
	v_and_b32_e32 v119, 0xffff, v44
	v_or_b32_e32 v45, 0x10000, v44
	s_delay_alu instid0(VALU_DEP_2) | instskip(NEXT) | instid1(VALU_DEP_2)
	v_cmp_eq_u32_e32 vcc_lo, 0, v119
	v_cndmask_b32_e32 v119, v45, v44, vcc_lo
; %bb.1616:                             ;   in Loop: Header=BB12_1459 Depth=4
	s_or_b32 exec_lo, exec_lo, s40
	v_and_b32_e32 v44, 0xffff0000, v23
	v_and_b32_e32 v45, 0xffff0000, v47
	s_delay_alu instid0(VALU_DEP_1) | instskip(NEXT) | instid1(VALU_DEP_1)
	v_add_f32_e32 v45, v44, v45
	v_and_b32_e32 v44, 0x7f800000, v45
	s_delay_alu instid0(VALU_DEP_1) | instskip(SKIP_1) | instid1(SALU_CYCLE_1)
	v_cmp_ne_u32_e32 vcc_lo, 0x7f800000, v44
                                        ; implicit-def: $vgpr44
	s_and_saveexec_b32 s40, vcc_lo
	s_xor_b32 s40, exec_lo, s40
; %bb.1617:                             ;   in Loop: Header=BB12_1459 Depth=4
	v_bfe_u32 v44, v45, 16, 1
	s_delay_alu instid0(VALU_DEP_1)
	v_add3_u32 v44, v45, v44, 0x7fff
                                        ; implicit-def: $vgpr45
; %bb.1618:                             ;   in Loop: Header=BB12_1459 Depth=4
	s_and_not1_saveexec_b32 s40, s40
; %bb.1619:                             ;   in Loop: Header=BB12_1459 Depth=4
	v_and_b32_e32 v44, 0xffff, v45
	v_or_b32_e32 v47, 0x10000, v45
	s_delay_alu instid0(VALU_DEP_2) | instskip(NEXT) | instid1(VALU_DEP_2)
	v_cmp_eq_u32_e32 vcc_lo, 0, v44
	v_cndmask_b32_e32 v44, v47, v45, vcc_lo
; %bb.1620:                             ;   in Loop: Header=BB12_1459 Depth=4
	s_or_b32 exec_lo, exec_lo, s40
	v_and_b32_e32 v6, 0xffff0000, v6
	v_lshlrev_b32_e32 v45, 16, v16
	s_delay_alu instid0(VALU_DEP_1) | instskip(NEXT) | instid1(VALU_DEP_1)
	v_add_f32_e32 v45, v45, v6
	v_and_b32_e32 v6, 0x7f800000, v45
	s_delay_alu instid0(VALU_DEP_1) | instskip(SKIP_1) | instid1(SALU_CYCLE_1)
	v_cmp_ne_u32_e32 vcc_lo, 0x7f800000, v6
                                        ; implicit-def: $vgpr6
	s_and_saveexec_b32 s40, vcc_lo
	s_xor_b32 s40, exec_lo, s40
; %bb.1621:                             ;   in Loop: Header=BB12_1459 Depth=4
	v_bfe_u32 v6, v45, 16, 1
	s_delay_alu instid0(VALU_DEP_1)
	v_add3_u32 v6, v45, v6, 0x7fff
                                        ; implicit-def: $vgpr45
; %bb.1622:                             ;   in Loop: Header=BB12_1459 Depth=4
	s_and_not1_saveexec_b32 s40, s40
; %bb.1623:                             ;   in Loop: Header=BB12_1459 Depth=4
	v_and_b32_e32 v6, 0xffff, v45
	v_or_b32_e32 v47, 0x10000, v45
	s_delay_alu instid0(VALU_DEP_2) | instskip(NEXT) | instid1(VALU_DEP_2)
	v_cmp_eq_u32_e32 vcc_lo, 0, v6
	v_cndmask_b32_e32 v6, v47, v45, vcc_lo
; %bb.1624:                             ;   in Loop: Header=BB12_1459 Depth=4
	s_or_b32 exec_lo, exec_lo, s40
	v_and_b32_e32 v45, 0xffff0000, v16
	v_and_b32_e32 v47, 0xffff0000, v107
	s_delay_alu instid0(VALU_DEP_1) | instskip(NEXT) | instid1(VALU_DEP_1)
	v_add_f32_e32 v47, v45, v47
	v_and_b32_e32 v45, 0x7f800000, v47
	s_delay_alu instid0(VALU_DEP_1) | instskip(SKIP_1) | instid1(SALU_CYCLE_1)
	v_cmp_ne_u32_e32 vcc_lo, 0x7f800000, v45
                                        ; implicit-def: $vgpr45
	s_and_saveexec_b32 s40, vcc_lo
	s_xor_b32 s40, exec_lo, s40
; %bb.1625:                             ;   in Loop: Header=BB12_1459 Depth=4
	v_bfe_u32 v45, v47, 16, 1
	s_delay_alu instid0(VALU_DEP_1)
	v_add3_u32 v45, v47, v45, 0x7fff
                                        ; implicit-def: $vgpr47
; %bb.1626:                             ;   in Loop: Header=BB12_1459 Depth=4
	s_and_not1_saveexec_b32 s40, s40
; %bb.1627:                             ;   in Loop: Header=BB12_1459 Depth=4
	v_and_b32_e32 v45, 0xffff, v47
	v_or_b32_e32 v90, 0x10000, v47
	s_delay_alu instid0(VALU_DEP_2) | instskip(NEXT) | instid1(VALU_DEP_2)
	v_cmp_eq_u32_e32 vcc_lo, 0, v45
	v_cndmask_b32_e32 v45, v90, v47, vcc_lo
; %bb.1628:                             ;   in Loop: Header=BB12_1459 Depth=4
	s_or_b32 exec_lo, exec_lo, s40
	v_and_b32_e32 v46, 0xffff0000, v46
	v_lshlrev_b32_e32 v47, 16, v17
	s_delay_alu instid0(VALU_DEP_1) | instskip(NEXT) | instid1(VALU_DEP_1)
	v_add_f32_e32 v47, v47, v46
	v_and_b32_e32 v46, 0x7f800000, v47
	s_delay_alu instid0(VALU_DEP_1) | instskip(SKIP_1) | instid1(SALU_CYCLE_1)
	v_cmp_ne_u32_e32 vcc_lo, 0x7f800000, v46
                                        ; implicit-def: $vgpr46
	s_and_saveexec_b32 s40, vcc_lo
	s_xor_b32 s40, exec_lo, s40
; %bb.1629:                             ;   in Loop: Header=BB12_1459 Depth=4
	v_bfe_u32 v46, v47, 16, 1
	s_delay_alu instid0(VALU_DEP_1)
	v_add3_u32 v46, v47, v46, 0x7fff
                                        ; implicit-def: $vgpr47
; %bb.1630:                             ;   in Loop: Header=BB12_1459 Depth=4
	s_and_not1_saveexec_b32 s40, s40
; %bb.1631:                             ;   in Loop: Header=BB12_1459 Depth=4
	v_and_b32_e32 v46, 0xffff, v47
	v_or_b32_e32 v90, 0x10000, v47
	s_delay_alu instid0(VALU_DEP_2) | instskip(NEXT) | instid1(VALU_DEP_2)
	v_cmp_eq_u32_e32 vcc_lo, 0, v46
	v_cndmask_b32_e32 v46, v90, v47, vcc_lo
; %bb.1632:                             ;   in Loop: Header=BB12_1459 Depth=4
	s_or_b32 exec_lo, exec_lo, s40
	v_and_b32_e32 v47, 0xffff0000, v17
	v_and_b32_e32 v90, 0xffff0000, v121
	s_delay_alu instid0(VALU_DEP_1) | instskip(NEXT) | instid1(VALU_DEP_1)
	v_add_f32_e32 v90, v47, v90
	v_and_b32_e32 v47, 0x7f800000, v90
	s_delay_alu instid0(VALU_DEP_1) | instskip(SKIP_1) | instid1(SALU_CYCLE_1)
	v_cmp_ne_u32_e32 vcc_lo, 0x7f800000, v47
                                        ; implicit-def: $vgpr47
	s_and_saveexec_b32 s40, vcc_lo
	s_xor_b32 s40, exec_lo, s40
; %bb.1633:                             ;   in Loop: Header=BB12_1459 Depth=4
	v_bfe_u32 v47, v90, 16, 1
	s_delay_alu instid0(VALU_DEP_1)
	v_add3_u32 v47, v90, v47, 0x7fff
                                        ; implicit-def: $vgpr90
; %bb.1634:                             ;   in Loop: Header=BB12_1459 Depth=4
	s_and_not1_saveexec_b32 s40, s40
; %bb.1635:                             ;   in Loop: Header=BB12_1459 Depth=4
	v_and_b32_e32 v47, 0xffff, v90
	v_or_b32_e32 v94, 0x10000, v90
	s_delay_alu instid0(VALU_DEP_2) | instskip(NEXT) | instid1(VALU_DEP_2)
	v_cmp_eq_u32_e32 vcc_lo, 0, v47
	v_cndmask_b32_e32 v47, v94, v90, vcc_lo
; %bb.1636:                             ;   in Loop: Header=BB12_1459 Depth=4
	s_or_b32 exec_lo, exec_lo, s40
	v_and_b32_e32 v90, 0xffff0000, v106
	v_lshlrev_b32_e32 v94, 16, v18
	s_mov_b32 s40, exec_lo
                                        ; implicit-def: $vgpr106
	s_delay_alu instid0(VALU_DEP_1) | instskip(NEXT) | instid1(VALU_DEP_1)
	v_add_f32_e32 v90, v94, v90
	v_and_b32_e32 v94, 0x7f800000, v90
	s_delay_alu instid0(VALU_DEP_1)
	v_cmpx_ne_u32_e32 0x7f800000, v94
	s_xor_b32 s40, exec_lo, s40
; %bb.1637:                             ;   in Loop: Header=BB12_1459 Depth=4
	v_bfe_u32 v94, v90, 16, 1
	s_delay_alu instid0(VALU_DEP_1)
	v_add3_u32 v106, v90, v94, 0x7fff
                                        ; implicit-def: $vgpr90
; %bb.1638:                             ;   in Loop: Header=BB12_1459 Depth=4
	s_and_not1_saveexec_b32 s40, s40
; %bb.1639:                             ;   in Loop: Header=BB12_1459 Depth=4
	v_and_b32_e32 v94, 0xffff, v90
	v_or_b32_e32 v95, 0x10000, v90
	s_delay_alu instid0(VALU_DEP_2) | instskip(NEXT) | instid1(VALU_DEP_2)
	v_cmp_eq_u32_e32 vcc_lo, 0, v94
	v_cndmask_b32_e32 v106, v95, v90, vcc_lo
; %bb.1640:                             ;   in Loop: Header=BB12_1459 Depth=4
	s_or_b32 exec_lo, exec_lo, s40
	v_and_b32_e32 v90, 0xffff0000, v18
	v_and_b32_e32 v79, 0xffff0000, v79
	s_delay_alu instid0(VALU_DEP_1) | instskip(NEXT) | instid1(VALU_DEP_1)
	v_add_f32_e32 v90, v90, v79
	v_and_b32_e32 v79, 0x7f800000, v90
	s_delay_alu instid0(VALU_DEP_1) | instskip(SKIP_1) | instid1(SALU_CYCLE_1)
	v_cmp_ne_u32_e32 vcc_lo, 0x7f800000, v79
                                        ; implicit-def: $vgpr79
	s_and_saveexec_b32 s40, vcc_lo
	s_xor_b32 s40, exec_lo, s40
; %bb.1641:                             ;   in Loop: Header=BB12_1459 Depth=4
	v_bfe_u32 v79, v90, 16, 1
	s_delay_alu instid0(VALU_DEP_1)
	v_add3_u32 v79, v90, v79, 0x7fff
                                        ; implicit-def: $vgpr90
; %bb.1642:                             ;   in Loop: Header=BB12_1459 Depth=4
	s_and_not1_saveexec_b32 s40, s40
; %bb.1643:                             ;   in Loop: Header=BB12_1459 Depth=4
	v_and_b32_e32 v79, 0xffff, v90
	v_or_b32_e32 v94, 0x10000, v90
	s_delay_alu instid0(VALU_DEP_2) | instskip(NEXT) | instid1(VALU_DEP_2)
	v_cmp_eq_u32_e32 vcc_lo, 0, v79
	v_cndmask_b32_e32 v79, v94, v90, vcc_lo
; %bb.1644:                             ;   in Loop: Header=BB12_1459 Depth=4
	s_or_b32 exec_lo, exec_lo, s40
	v_and_b32_e32 v90, 0xffff0000, v120
	v_lshlrev_b32_e32 v94, 16, v19
	s_mov_b32 s40, exec_lo
                                        ; implicit-def: $vgpr107
	s_delay_alu instid0(VALU_DEP_1) | instskip(NEXT) | instid1(VALU_DEP_1)
	v_add_f32_e32 v90, v94, v90
	v_and_b32_e32 v94, 0x7f800000, v90
	s_delay_alu instid0(VALU_DEP_1)
	v_cmpx_ne_u32_e32 0x7f800000, v94
	s_xor_b32 s40, exec_lo, s40
; %bb.1645:                             ;   in Loop: Header=BB12_1459 Depth=4
	v_bfe_u32 v94, v90, 16, 1
	s_delay_alu instid0(VALU_DEP_1)
	v_add3_u32 v107, v90, v94, 0x7fff
                                        ; implicit-def: $vgpr90
; %bb.1646:                             ;   in Loop: Header=BB12_1459 Depth=4
	s_and_not1_saveexec_b32 s40, s40
; %bb.1647:                             ;   in Loop: Header=BB12_1459 Depth=4
	v_and_b32_e32 v94, 0xffff, v90
	v_or_b32_e32 v95, 0x10000, v90
	s_delay_alu instid0(VALU_DEP_2) | instskip(NEXT) | instid1(VALU_DEP_2)
	v_cmp_eq_u32_e32 vcc_lo, 0, v94
	v_cndmask_b32_e32 v107, v95, v90, vcc_lo
; %bb.1648:                             ;   in Loop: Header=BB12_1459 Depth=4
	s_or_b32 exec_lo, exec_lo, s40
	v_and_b32_e32 v90, 0xffff0000, v19
	v_and_b32_e32 v43, 0xffff0000, v43
	s_delay_alu instid0(VALU_DEP_1) | instskip(NEXT) | instid1(VALU_DEP_1)
	v_add_f32_e32 v90, v90, v43
	v_and_b32_e32 v43, 0x7f800000, v90
	s_delay_alu instid0(VALU_DEP_1) | instskip(SKIP_1) | instid1(SALU_CYCLE_1)
	v_cmp_ne_u32_e32 vcc_lo, 0x7f800000, v43
                                        ; implicit-def: $vgpr43
	s_and_saveexec_b32 s40, vcc_lo
	s_xor_b32 s40, exec_lo, s40
; %bb.1649:                             ;   in Loop: Header=BB12_1459 Depth=4
	v_bfe_u32 v43, v90, 16, 1
	s_delay_alu instid0(VALU_DEP_1)
	v_add3_u32 v43, v90, v43, 0x7fff
                                        ; implicit-def: $vgpr90
; %bb.1650:                             ;   in Loop: Header=BB12_1459 Depth=4
	s_and_not1_saveexec_b32 s40, s40
; %bb.1651:                             ;   in Loop: Header=BB12_1459 Depth=4
	v_and_b32_e32 v43, 0xffff, v90
	v_or_b32_e32 v94, 0x10000, v90
	s_delay_alu instid0(VALU_DEP_2) | instskip(NEXT) | instid1(VALU_DEP_2)
	v_cmp_eq_u32_e32 vcc_lo, 0, v43
	v_cndmask_b32_e32 v43, v94, v90, vcc_lo
; %bb.1652:                             ;   in Loop: Header=BB12_1459 Depth=4
	s_or_b32 exec_lo, exec_lo, s40
	v_and_b32_e32 v78, 0xffff0000, v78
	v_lshlrev_b32_e32 v90, 16, v12
	s_delay_alu instid0(VALU_DEP_1) | instskip(NEXT) | instid1(VALU_DEP_1)
	v_add_f32_e32 v90, v90, v78
	v_and_b32_e32 v78, 0x7f800000, v90
	s_delay_alu instid0(VALU_DEP_1) | instskip(SKIP_1) | instid1(SALU_CYCLE_1)
	v_cmp_ne_u32_e32 vcc_lo, 0x7f800000, v78
                                        ; implicit-def: $vgpr78
	s_and_saveexec_b32 s40, vcc_lo
	s_xor_b32 s40, exec_lo, s40
; %bb.1653:                             ;   in Loop: Header=BB12_1459 Depth=4
	v_bfe_u32 v78, v90, 16, 1
	s_delay_alu instid0(VALU_DEP_1)
	v_add3_u32 v78, v90, v78, 0x7fff
                                        ; implicit-def: $vgpr90
; %bb.1654:                             ;   in Loop: Header=BB12_1459 Depth=4
	s_and_not1_saveexec_b32 s40, s40
; %bb.1655:                             ;   in Loop: Header=BB12_1459 Depth=4
	v_and_b32_e32 v78, 0xffff, v90
	v_or_b32_e32 v94, 0x10000, v90
	s_delay_alu instid0(VALU_DEP_2) | instskip(NEXT) | instid1(VALU_DEP_2)
	v_cmp_eq_u32_e32 vcc_lo, 0, v78
	v_cndmask_b32_e32 v78, v94, v90, vcc_lo
; %bb.1656:                             ;   in Loop: Header=BB12_1459 Depth=4
	s_or_b32 exec_lo, exec_lo, s40
	v_and_b32_e32 v90, 0xffff0000, v12
	v_and_b32_e32 v99, 0xffff0000, v99
	s_delay_alu instid0(VALU_DEP_1) | instskip(NEXT) | instid1(VALU_DEP_1)
	v_add_f32_e32 v90, v90, v99
	v_and_b32_e32 v99, 0x7f800000, v90
	s_delay_alu instid0(VALU_DEP_1) | instskip(SKIP_1) | instid1(SALU_CYCLE_1)
	v_cmp_ne_u32_e32 vcc_lo, 0x7f800000, v99
                                        ; implicit-def: $vgpr99
	s_and_saveexec_b32 s40, vcc_lo
	s_xor_b32 s40, exec_lo, s40
; %bb.1657:                             ;   in Loop: Header=BB12_1459 Depth=4
	v_bfe_u32 v99, v90, 16, 1
	s_delay_alu instid0(VALU_DEP_1)
	v_add3_u32 v99, v90, v99, 0x7fff
                                        ; implicit-def: $vgpr90
; %bb.1658:                             ;   in Loop: Header=BB12_1459 Depth=4
	s_and_not1_saveexec_b32 s40, s40
; %bb.1659:                             ;   in Loop: Header=BB12_1459 Depth=4
	v_and_b32_e32 v99, 0xffff, v90
	v_or_b32_e32 v94, 0x10000, v90
	s_delay_alu instid0(VALU_DEP_2) | instskip(NEXT) | instid1(VALU_DEP_2)
	v_cmp_eq_u32_e32 vcc_lo, 0, v99
	v_cndmask_b32_e32 v99, v94, v90, vcc_lo
; %bb.1660:                             ;   in Loop: Header=BB12_1459 Depth=4
	s_or_b32 exec_lo, exec_lo, s40
	v_and_b32_e32 v42, 0xffff0000, v42
	v_lshlrev_b32_e32 v90, 16, v13
	s_delay_alu instid0(VALU_DEP_1) | instskip(NEXT) | instid1(VALU_DEP_1)
	v_add_f32_e32 v90, v90, v42
	v_and_b32_e32 v42, 0x7f800000, v90
	s_delay_alu instid0(VALU_DEP_1) | instskip(SKIP_1) | instid1(SALU_CYCLE_1)
	v_cmp_ne_u32_e32 vcc_lo, 0x7f800000, v42
                                        ; implicit-def: $vgpr42
	s_and_saveexec_b32 s40, vcc_lo
	s_xor_b32 s40, exec_lo, s40
; %bb.1661:                             ;   in Loop: Header=BB12_1459 Depth=4
	v_bfe_u32 v42, v90, 16, 1
	s_delay_alu instid0(VALU_DEP_1)
	v_add3_u32 v42, v90, v42, 0x7fff
                                        ; implicit-def: $vgpr90
; %bb.1662:                             ;   in Loop: Header=BB12_1459 Depth=4
	s_and_not1_saveexec_b32 s40, s40
; %bb.1663:                             ;   in Loop: Header=BB12_1459 Depth=4
	v_and_b32_e32 v42, 0xffff, v90
	v_or_b32_e32 v94, 0x10000, v90
	s_delay_alu instid0(VALU_DEP_2) | instskip(NEXT) | instid1(VALU_DEP_2)
	v_cmp_eq_u32_e32 vcc_lo, 0, v42
	v_cndmask_b32_e32 v42, v94, v90, vcc_lo
; %bb.1664:                             ;   in Loop: Header=BB12_1459 Depth=4
	s_or_b32 exec_lo, exec_lo, s40
	v_and_b32_e32 v90, 0xffff0000, v13
	v_and_b32_e32 v97, 0xffff0000, v97
	s_delay_alu instid0(VALU_DEP_1) | instskip(NEXT) | instid1(VALU_DEP_1)
	v_add_f32_e32 v90, v90, v97
	v_and_b32_e32 v97, 0x7f800000, v90
	s_delay_alu instid0(VALU_DEP_1) | instskip(SKIP_1) | instid1(SALU_CYCLE_1)
	v_cmp_ne_u32_e32 vcc_lo, 0x7f800000, v97
                                        ; implicit-def: $vgpr97
	s_and_saveexec_b32 s40, vcc_lo
	s_xor_b32 s40, exec_lo, s40
; %bb.1665:                             ;   in Loop: Header=BB12_1459 Depth=4
	v_bfe_u32 v97, v90, 16, 1
	s_delay_alu instid0(VALU_DEP_1)
	v_add3_u32 v97, v90, v97, 0x7fff
                                        ; implicit-def: $vgpr90
; %bb.1666:                             ;   in Loop: Header=BB12_1459 Depth=4
	s_and_not1_saveexec_b32 s40, s40
; %bb.1667:                             ;   in Loop: Header=BB12_1459 Depth=4
	v_and_b32_e32 v97, 0xffff, v90
	v_or_b32_e32 v94, 0x10000, v90
	s_delay_alu instid0(VALU_DEP_2) | instskip(NEXT) | instid1(VALU_DEP_2)
	v_cmp_eq_u32_e32 vcc_lo, 0, v97
	v_cndmask_b32_e32 v97, v94, v90, vcc_lo
; %bb.1668:                             ;   in Loop: Header=BB12_1459 Depth=4
	s_or_b32 exec_lo, exec_lo, s40
	v_and_b32_e32 v98, 0xffff0000, v98
	v_lshlrev_b32_e32 v90, 16, v14
	s_delay_alu instid0(VALU_DEP_1) | instskip(NEXT) | instid1(VALU_DEP_1)
	v_add_f32_e32 v90, v90, v98
	v_and_b32_e32 v98, 0x7f800000, v90
	s_delay_alu instid0(VALU_DEP_1) | instskip(SKIP_1) | instid1(SALU_CYCLE_1)
	v_cmp_ne_u32_e32 vcc_lo, 0x7f800000, v98
                                        ; implicit-def: $vgpr98
	s_and_saveexec_b32 s40, vcc_lo
	s_xor_b32 s40, exec_lo, s40
; %bb.1669:                             ;   in Loop: Header=BB12_1459 Depth=4
	v_bfe_u32 v98, v90, 16, 1
	s_delay_alu instid0(VALU_DEP_1)
	v_add3_u32 v98, v90, v98, 0x7fff
                                        ; implicit-def: $vgpr90
; %bb.1670:                             ;   in Loop: Header=BB12_1459 Depth=4
	s_and_not1_saveexec_b32 s40, s40
; %bb.1671:                             ;   in Loop: Header=BB12_1459 Depth=4
	v_and_b32_e32 v98, 0xffff, v90
	v_or_b32_e32 v94, 0x10000, v90
	s_delay_alu instid0(VALU_DEP_2) | instskip(NEXT) | instid1(VALU_DEP_2)
	v_cmp_eq_u32_e32 vcc_lo, 0, v98
	v_cndmask_b32_e32 v98, v94, v90, vcc_lo
; %bb.1672:                             ;   in Loop: Header=BB12_1459 Depth=4
	s_or_b32 exec_lo, exec_lo, s40
	v_and_b32_e32 v90, 0xffff0000, v14
	v_and_b32_e32 v71, 0xffff0000, v71
	s_delay_alu instid0(VALU_DEP_1) | instskip(NEXT) | instid1(VALU_DEP_1)
	v_add_f32_e32 v90, v90, v71
	v_and_b32_e32 v71, 0x7f800000, v90
	s_delay_alu instid0(VALU_DEP_1) | instskip(SKIP_1) | instid1(SALU_CYCLE_1)
	v_cmp_ne_u32_e32 vcc_lo, 0x7f800000, v71
                                        ; implicit-def: $vgpr71
	s_and_saveexec_b32 s40, vcc_lo
	s_xor_b32 s40, exec_lo, s40
; %bb.1673:                             ;   in Loop: Header=BB12_1459 Depth=4
	v_bfe_u32 v71, v90, 16, 1
	s_delay_alu instid0(VALU_DEP_1)
	v_add3_u32 v71, v90, v71, 0x7fff
                                        ; implicit-def: $vgpr90
; %bb.1674:                             ;   in Loop: Header=BB12_1459 Depth=4
	s_and_not1_saveexec_b32 s40, s40
; %bb.1675:                             ;   in Loop: Header=BB12_1459 Depth=4
	v_and_b32_e32 v71, 0xffff, v90
	v_or_b32_e32 v94, 0x10000, v90
	s_delay_alu instid0(VALU_DEP_2) | instskip(NEXT) | instid1(VALU_DEP_2)
	v_cmp_eq_u32_e32 vcc_lo, 0, v71
	v_cndmask_b32_e32 v71, v94, v90, vcc_lo
; %bb.1676:                             ;   in Loop: Header=BB12_1459 Depth=4
	s_or_b32 exec_lo, exec_lo, s40
	v_and_b32_e32 v96, 0xffff0000, v96
	v_lshlrev_b32_e32 v90, 16, v15
	s_delay_alu instid0(VALU_DEP_1) | instskip(NEXT) | instid1(VALU_DEP_1)
	v_add_f32_e32 v90, v90, v96
	v_and_b32_e32 v96, 0x7f800000, v90
	s_delay_alu instid0(VALU_DEP_1) | instskip(SKIP_1) | instid1(SALU_CYCLE_1)
	v_cmp_ne_u32_e32 vcc_lo, 0x7f800000, v96
                                        ; implicit-def: $vgpr96
	s_and_saveexec_b32 s40, vcc_lo
	s_xor_b32 s40, exec_lo, s40
; %bb.1677:                             ;   in Loop: Header=BB12_1459 Depth=4
	v_bfe_u32 v96, v90, 16, 1
	s_delay_alu instid0(VALU_DEP_1)
	v_add3_u32 v96, v90, v96, 0x7fff
                                        ; implicit-def: $vgpr90
; %bb.1678:                             ;   in Loop: Header=BB12_1459 Depth=4
	s_and_not1_saveexec_b32 s40, s40
; %bb.1679:                             ;   in Loop: Header=BB12_1459 Depth=4
	v_and_b32_e32 v96, 0xffff, v90
	v_or_b32_e32 v94, 0x10000, v90
	s_delay_alu instid0(VALU_DEP_2) | instskip(NEXT) | instid1(VALU_DEP_2)
	v_cmp_eq_u32_e32 vcc_lo, 0, v96
	v_cndmask_b32_e32 v96, v94, v90, vcc_lo
; %bb.1680:                             ;   in Loop: Header=BB12_1459 Depth=4
	s_or_b32 exec_lo, exec_lo, s40
	v_and_b32_e32 v90, 0xffff0000, v15
	v_and_b32_e32 v69, 0xffff0000, v69
	s_delay_alu instid0(VALU_DEP_1) | instskip(NEXT) | instid1(VALU_DEP_1)
	v_add_f32_e32 v90, v90, v69
	v_and_b32_e32 v69, 0x7f800000, v90
	s_delay_alu instid0(VALU_DEP_1) | instskip(SKIP_1) | instid1(SALU_CYCLE_1)
	v_cmp_ne_u32_e32 vcc_lo, 0x7f800000, v69
                                        ; implicit-def: $vgpr69
	s_and_saveexec_b32 s40, vcc_lo
	s_xor_b32 s40, exec_lo, s40
; %bb.1681:                             ;   in Loop: Header=BB12_1459 Depth=4
	v_bfe_u32 v69, v90, 16, 1
	s_delay_alu instid0(VALU_DEP_1)
	v_add3_u32 v69, v90, v69, 0x7fff
                                        ; implicit-def: $vgpr90
; %bb.1682:                             ;   in Loop: Header=BB12_1459 Depth=4
	s_and_not1_saveexec_b32 s40, s40
; %bb.1683:                             ;   in Loop: Header=BB12_1459 Depth=4
	v_and_b32_e32 v69, 0xffff, v90
	v_or_b32_e32 v94, 0x10000, v90
	s_delay_alu instid0(VALU_DEP_2) | instskip(NEXT) | instid1(VALU_DEP_2)
	v_cmp_eq_u32_e32 vcc_lo, 0, v69
	v_cndmask_b32_e32 v69, v94, v90, vcc_lo
; %bb.1684:                             ;   in Loop: Header=BB12_1459 Depth=4
	s_or_b32 exec_lo, exec_lo, s40
	v_and_b32_e32 v70, 0xffff0000, v70
	v_lshlrev_b32_e32 v90, 16, v8
	s_mov_b32 s40, exec_lo
                                        ; implicit-def: $vgpr120
	s_delay_alu instid0(VALU_DEP_1) | instskip(NEXT) | instid1(VALU_DEP_1)
	v_add_f32_e32 v70, v90, v70
	v_and_b32_e32 v90, 0x7f800000, v70
	s_delay_alu instid0(VALU_DEP_1)
	v_cmpx_ne_u32_e32 0x7f800000, v90
	s_xor_b32 s40, exec_lo, s40
; %bb.1685:                             ;   in Loop: Header=BB12_1459 Depth=4
	v_bfe_u32 v90, v70, 16, 1
	s_delay_alu instid0(VALU_DEP_1)
	v_add3_u32 v120, v70, v90, 0x7fff
                                        ; implicit-def: $vgpr70
; %bb.1686:                             ;   in Loop: Header=BB12_1459 Depth=4
	s_and_not1_saveexec_b32 s40, s40
; %bb.1687:                             ;   in Loop: Header=BB12_1459 Depth=4
	v_and_b32_e32 v90, 0xffff, v70
	v_or_b32_e32 v94, 0x10000, v70
	s_delay_alu instid0(VALU_DEP_2) | instskip(NEXT) | instid1(VALU_DEP_2)
	v_cmp_eq_u32_e32 vcc_lo, 0, v90
	v_cndmask_b32_e32 v120, v94, v70, vcc_lo
; %bb.1688:                             ;   in Loop: Header=BB12_1459 Depth=4
	s_or_b32 exec_lo, exec_lo, s40
	v_and_b32_e32 v70, 0xffff0000, v8
	v_and_b32_e32 v51, 0xffff0000, v51
	s_mov_b32 s40, exec_lo
                                        ; implicit-def: $vgpr121
	s_delay_alu instid0(VALU_DEP_1) | instskip(NEXT) | instid1(VALU_DEP_1)
	v_add_f32_e32 v51, v70, v51
	v_and_b32_e32 v70, 0x7f800000, v51
	s_delay_alu instid0(VALU_DEP_1)
	v_cmpx_ne_u32_e32 0x7f800000, v70
	s_xor_b32 s40, exec_lo, s40
; %bb.1689:                             ;   in Loop: Header=BB12_1459 Depth=4
	v_bfe_u32 v70, v51, 16, 1
	s_delay_alu instid0(VALU_DEP_1)
	v_add3_u32 v121, v51, v70, 0x7fff
                                        ; implicit-def: $vgpr51
; %bb.1690:                             ;   in Loop: Header=BB12_1459 Depth=4
	s_and_not1_saveexec_b32 s40, s40
; %bb.1691:                             ;   in Loop: Header=BB12_1459 Depth=4
	v_and_b32_e32 v70, 0xffff, v51
	v_or_b32_e32 v90, 0x10000, v51
	s_delay_alu instid0(VALU_DEP_2) | instskip(NEXT) | instid1(VALU_DEP_2)
	v_cmp_eq_u32_e32 vcc_lo, 0, v70
	v_cndmask_b32_e32 v121, v90, v51, vcc_lo
; %bb.1692:                             ;   in Loop: Header=BB12_1459 Depth=4
	s_or_b32 exec_lo, exec_lo, s40
	v_and_b32_e32 v51, 0xffff0000, v68
	v_lshlrev_b32_e32 v68, 16, v9
	s_mov_b32 s40, exec_lo
                                        ; implicit-def: $vgpr122
	s_delay_alu instid0(VALU_DEP_1) | instskip(NEXT) | instid1(VALU_DEP_1)
	v_add_f32_e32 v51, v68, v51
	v_and_b32_e32 v68, 0x7f800000, v51
	s_delay_alu instid0(VALU_DEP_1)
	v_cmpx_ne_u32_e32 0x7f800000, v68
	s_xor_b32 s40, exec_lo, s40
; %bb.1693:                             ;   in Loop: Header=BB12_1459 Depth=4
	v_bfe_u32 v68, v51, 16, 1
	s_delay_alu instid0(VALU_DEP_1)
	v_add3_u32 v122, v51, v68, 0x7fff
                                        ; implicit-def: $vgpr51
; %bb.1694:                             ;   in Loop: Header=BB12_1459 Depth=4
	s_and_not1_saveexec_b32 s40, s40
; %bb.1695:                             ;   in Loop: Header=BB12_1459 Depth=4
	v_and_b32_e32 v68, 0xffff, v51
	v_or_b32_e32 v70, 0x10000, v51
	s_delay_alu instid0(VALU_DEP_2) | instskip(NEXT) | instid1(VALU_DEP_2)
	v_cmp_eq_u32_e32 vcc_lo, 0, v68
	v_cndmask_b32_e32 v122, v70, v51, vcc_lo
; %bb.1696:                             ;   in Loop: Header=BB12_1459 Depth=4
	s_or_b32 exec_lo, exec_lo, s40
	v_and_b32_e32 v51, 0xffff0000, v9
	v_and_b32_e32 v49, 0xffff0000, v49
	s_mov_b32 s40, exec_lo
                                        ; implicit-def: $vgpr90
	s_delay_alu instid0(VALU_DEP_1) | instskip(NEXT) | instid1(VALU_DEP_1)
	v_add_f32_e32 v49, v51, v49
	v_and_b32_e32 v51, 0x7f800000, v49
	s_delay_alu instid0(VALU_DEP_1)
	v_cmpx_ne_u32_e32 0x7f800000, v51
	s_xor_b32 s40, exec_lo, s40
; %bb.1697:                             ;   in Loop: Header=BB12_1459 Depth=4
	v_bfe_u32 v51, v49, 16, 1
	s_delay_alu instid0(VALU_DEP_1)
	v_add3_u32 v90, v49, v51, 0x7fff
                                        ; implicit-def: $vgpr49
; %bb.1698:                             ;   in Loop: Header=BB12_1459 Depth=4
	s_and_not1_saveexec_b32 s40, s40
; %bb.1699:                             ;   in Loop: Header=BB12_1459 Depth=4
	v_and_b32_e32 v51, 0xffff, v49
	v_or_b32_e32 v68, 0x10000, v49
	s_delay_alu instid0(VALU_DEP_2) | instskip(NEXT) | instid1(VALU_DEP_2)
	v_cmp_eq_u32_e32 vcc_lo, 0, v51
	v_cndmask_b32_e32 v90, v68, v49, vcc_lo
; %bb.1700:                             ;   in Loop: Header=BB12_1459 Depth=4
	s_or_b32 exec_lo, exec_lo, s40
	v_and_b32_e32 v49, 0xffff0000, v50
	v_lshlrev_b32_e32 v50, 16, v10
	s_mov_b32 s40, exec_lo
                                        ; implicit-def: $vgpr123
	s_delay_alu instid0(VALU_DEP_1) | instskip(NEXT) | instid1(VALU_DEP_1)
	v_add_f32_e32 v49, v50, v49
	v_and_b32_e32 v50, 0x7f800000, v49
	s_delay_alu instid0(VALU_DEP_1)
	v_cmpx_ne_u32_e32 0x7f800000, v50
	s_xor_b32 s40, exec_lo, s40
; %bb.1701:                             ;   in Loop: Header=BB12_1459 Depth=4
	v_bfe_u32 v50, v49, 16, 1
	s_delay_alu instid0(VALU_DEP_1)
	v_add3_u32 v123, v49, v50, 0x7fff
                                        ; implicit-def: $vgpr49
; %bb.1702:                             ;   in Loop: Header=BB12_1459 Depth=4
	s_and_not1_saveexec_b32 s40, s40
; %bb.1703:                             ;   in Loop: Header=BB12_1459 Depth=4
	v_and_b32_e32 v50, 0xffff, v49
	v_or_b32_e32 v51, 0x10000, v49
	s_delay_alu instid0(VALU_DEP_2) | instskip(NEXT) | instid1(VALU_DEP_2)
	v_cmp_eq_u32_e32 vcc_lo, 0, v50
	v_cndmask_b32_e32 v123, v51, v49, vcc_lo
; %bb.1704:                             ;   in Loop: Header=BB12_1459 Depth=4
	s_or_b32 exec_lo, exec_lo, s40
	v_and_b32_e32 v49, 0xffff0000, v10
	v_and_b32_e32 v26, 0xffff0000, v26
	s_delay_alu instid0(VALU_DEP_1) | instskip(NEXT) | instid1(VALU_DEP_1)
	v_add_f32_e32 v49, v49, v26
	v_and_b32_e32 v26, 0x7f800000, v49
	s_delay_alu instid0(VALU_DEP_1) | instskip(SKIP_1) | instid1(SALU_CYCLE_1)
	v_cmp_ne_u32_e32 vcc_lo, 0x7f800000, v26
                                        ; implicit-def: $vgpr26
	s_and_saveexec_b32 s40, vcc_lo
	s_xor_b32 s40, exec_lo, s40
; %bb.1705:                             ;   in Loop: Header=BB12_1459 Depth=4
	v_bfe_u32 v26, v49, 16, 1
	s_delay_alu instid0(VALU_DEP_1)
	v_add3_u32 v26, v49, v26, 0x7fff
                                        ; implicit-def: $vgpr49
; %bb.1706:                             ;   in Loop: Header=BB12_1459 Depth=4
	s_and_not1_saveexec_b32 s40, s40
; %bb.1707:                             ;   in Loop: Header=BB12_1459 Depth=4
	v_and_b32_e32 v26, 0xffff, v49
	v_or_b32_e32 v50, 0x10000, v49
	s_delay_alu instid0(VALU_DEP_2) | instskip(NEXT) | instid1(VALU_DEP_2)
	v_cmp_eq_u32_e32 vcc_lo, 0, v26
	v_cndmask_b32_e32 v26, v50, v49, vcc_lo
; %bb.1708:                             ;   in Loop: Header=BB12_1459 Depth=4
	s_or_b32 exec_lo, exec_lo, s40
	v_and_b32_e32 v48, 0xffff0000, v48
	v_lshlrev_b32_e32 v49, 16, v11
	s_mov_b32 s40, exec_lo
                                        ; implicit-def: $vgpr94
	s_delay_alu instid0(VALU_DEP_1) | instskip(NEXT) | instid1(VALU_DEP_1)
	v_add_f32_e32 v48, v49, v48
	v_and_b32_e32 v49, 0x7f800000, v48
	s_delay_alu instid0(VALU_DEP_1)
	v_cmpx_ne_u32_e32 0x7f800000, v49
	s_xor_b32 s40, exec_lo, s40
; %bb.1709:                             ;   in Loop: Header=BB12_1459 Depth=4
	v_bfe_u32 v49, v48, 16, 1
	s_delay_alu instid0(VALU_DEP_1)
	v_add3_u32 v94, v48, v49, 0x7fff
                                        ; implicit-def: $vgpr48
; %bb.1710:                             ;   in Loop: Header=BB12_1459 Depth=4
	s_and_not1_saveexec_b32 s40, s40
; %bb.1711:                             ;   in Loop: Header=BB12_1459 Depth=4
	v_and_b32_e32 v49, 0xffff, v48
	v_or_b32_e32 v50, 0x10000, v48
	s_delay_alu instid0(VALU_DEP_2) | instskip(NEXT) | instid1(VALU_DEP_2)
	v_cmp_eq_u32_e32 vcc_lo, 0, v49
	v_cndmask_b32_e32 v94, v50, v48, vcc_lo
; %bb.1712:                             ;   in Loop: Header=BB12_1459 Depth=4
	s_or_b32 exec_lo, exec_lo, s40
	v_and_b32_e32 v48, 0xffff0000, v11
	v_and_b32_e32 v25, 0xffff0000, v25
	s_mov_b32 s40, exec_lo
                                        ; implicit-def: $vgpr95
	s_delay_alu instid0(VALU_DEP_1) | instskip(NEXT) | instid1(VALU_DEP_1)
	v_add_f32_e32 v25, v48, v25
	v_and_b32_e32 v48, 0x7f800000, v25
	s_delay_alu instid0(VALU_DEP_1)
	v_cmpx_ne_u32_e32 0x7f800000, v48
	s_xor_b32 s40, exec_lo, s40
; %bb.1713:                             ;   in Loop: Header=BB12_1459 Depth=4
	v_bfe_u32 v48, v25, 16, 1
	s_delay_alu instid0(VALU_DEP_1)
	v_add3_u32 v95, v25, v48, 0x7fff
                                        ; implicit-def: $vgpr25
; %bb.1714:                             ;   in Loop: Header=BB12_1459 Depth=4
	s_and_not1_saveexec_b32 s40, s40
; %bb.1715:                             ;   in Loop: Header=BB12_1459 Depth=4
	v_and_b32_e32 v48, 0xffff, v25
	v_or_b32_e32 v49, 0x10000, v25
	s_delay_alu instid0(VALU_DEP_2) | instskip(NEXT) | instid1(VALU_DEP_2)
	v_cmp_eq_u32_e32 vcc_lo, 0, v48
	v_cndmask_b32_e32 v95, v49, v25, vcc_lo
; %bb.1716:                             ;   in Loop: Header=BB12_1459 Depth=4
	s_or_b32 exec_lo, exec_lo, s40
	v_dual_lshrrev_b32 v25, 16, v42 :: v_dual_lshrrev_b32 v51, 16, v96
	v_dual_lshrrev_b32 v68, 16, v46 :: v_dual_lshrrev_b32 v1, 16, v1
	;; [unrolled: 1-line block ×3, first 2 shown]
	v_lshrrev_b32_e32 v48, 16, v78
	v_dual_lshrrev_b32 v50, 16, v98 :: v_dual_lshrrev_b32 v27, 16, v27
	v_and_or_b32 v49, 0xffff0000, v97, v25
	v_and_or_b32 v51, 0xffff0000, v69, v51
	;; [unrolled: 1-line block ×4, first 2 shown]
	v_dual_lshrrev_b32 v6, 16, v106 :: v_dual_lshrrev_b32 v25, 16, v107
	v_and_or_b32 v96, 0xffff0000, v24, v1
	v_and_or_b32 v98, 0xffff0000, v7, v0
	v_dual_lshrrev_b32 v0, 16, v119 :: v_dual_lshrrev_b32 v1, 16, v122
	v_and_or_b32 v48, 0xffff0000, v99, v48
	v_and_or_b32 v50, 0xffff0000, v71, v50
	;; [unrolled: 1-line block ×5, first 2 shown]
	v_dual_lshrrev_b32 v6, 16, v120 :: v_dual_lshrrev_b32 v7, 16, v123
	v_lshrrev_b32_e32 v27, 16, v94
	v_and_or_b32 v99, 0xffff0000, v44, v0
	v_and_or_b32 v25, 0xffff0000, v90, v1
	v_add_nc_u64_e32 v[0:1], 0x800, v[92:93]
	v_and_or_b32 v24, 0xffff0000, v121, v6
	v_and_or_b32 v26, 0xffff0000, v26, v7
	;; [unrolled: 1-line block ×3, first 2 shown]
	s_clause 0x3
	global_store_b128 v[62:63], v[96:99], off th:TH_STORE_NT
	global_store_b128 v[62:63], v[68:71], off offset:512 th:TH_STORE_NT
	global_store_b128 v[62:63], v[48:51], off offset:1024 th:TH_STORE_NT
	;; [unrolled: 1-line block ×3, first 2 shown]
	s_wait_xcnt 0x0
	v_add_nc_u64_e32 v[62:63], v[62:63], v[0:1]
.LBB12_1717:                            ;   in Loop: Header=BB12_1459 Depth=4
	s_or_b32 exec_lo, exec_lo, s41
	v_add_nc_u64_e32 v[0:1], 0x800, v[92:93]
	v_sub_nc_u32_e32 v31, v31, v60
	s_delay_alu instid0(VALU_DEP_1) | instskip(NEXT) | instid1(VALU_DEP_3)
	v_cmp_lt_i32_e64 s40, 0, v31
	v_add_nc_u64_e32 v[76:77], v[76:77], v[0:1]
	v_add_nc_u64_e32 v[124:125], v[124:125], v[0:1]
	s_and_saveexec_b32 s41, s40
	s_cbranch_execz .LBB12_1719
; %bb.1718:                             ;   in Loop: Header=BB12_1459 Depth=4
	s_clause 0x3
	global_load_b128 v[96:99], v[76:77], off th:TH_LOAD_NT
	global_load_b128 v[68:71], v[76:77], off offset:512 th:TH_LOAD_NT
	global_load_b128 v[48:51], v[76:77], off offset:1024 th:TH_LOAD_NT
	;; [unrolled: 1-line block ×3, first 2 shown]
	s_clause 0x3
	global_load_b128 v[20:23], v[124:125], off th:TH_LOAD_NT
	global_load_b128 v[16:19], v[124:125], off offset:512 th:TH_LOAD_NT
	global_load_b128 v[12:15], v[124:125], off offset:1024 th:TH_LOAD_NT
	;; [unrolled: 1-line block ×3, first 2 shown]
	s_wait_xcnt 0x4
	v_add_nc_u64_e32 v[76:77], 0x800, v[76:77]
	s_wait_xcnt 0x0
	v_add_nc_u64_e32 v[124:125], 0x800, v[124:125]
.LBB12_1719:                            ;   in Loop: Header=BB12_1459 Depth=4
	s_or_b32 exec_lo, exec_lo, s41
	s_wait_loadcnt 0x7
	v_lshlrev_b32_e32 v0, 16, v112
	s_delay_alu instid0(VALU_DEP_1) | instskip(NEXT) | instid1(VALU_DEP_1)
	v_mul_f32_e32 v0, v30, v0
	v_and_b32_e32 v1, 0x7f800000, v0
	s_delay_alu instid0(VALU_DEP_1) | instskip(SKIP_1) | instid1(SALU_CYCLE_1)
	v_cmp_ne_u32_e32 vcc_lo, 0x7f800000, v1
                                        ; implicit-def: $vgpr1
	s_and_saveexec_b32 s41, vcc_lo
	s_xor_b32 s41, exec_lo, s41
; %bb.1720:                             ;   in Loop: Header=BB12_1459 Depth=4
	v_bfe_u32 v1, v0, 16, 1
	s_delay_alu instid0(VALU_DEP_1)
	v_add3_u32 v1, v0, v1, 0x7fff
                                        ; implicit-def: $vgpr0
; %bb.1721:                             ;   in Loop: Header=BB12_1459 Depth=4
	s_and_not1_saveexec_b32 s41, s41
; %bb.1722:                             ;   in Loop: Header=BB12_1459 Depth=4
	v_and_b32_e32 v1, 0xffff, v0
	v_or_b32_e32 v6, 0x10000, v0
	s_delay_alu instid0(VALU_DEP_2) | instskip(NEXT) | instid1(VALU_DEP_2)
	v_cmp_eq_u32_e32 vcc_lo, 0, v1
	v_cndmask_b32_e32 v1, v6, v0, vcc_lo
; %bb.1723:                             ;   in Loop: Header=BB12_1459 Depth=4
	s_or_b32 exec_lo, exec_lo, s41
	v_and_b32_e32 v0, 0xffff0000, v112
	s_mov_b32 s41, exec_lo
                                        ; implicit-def: $vgpr118
	s_delay_alu instid0(VALU_DEP_1) | instskip(NEXT) | instid1(VALU_DEP_1)
	v_mul_f32_e32 v0, v30, v0
	v_and_b32_e32 v6, 0x7f800000, v0
	s_delay_alu instid0(VALU_DEP_1)
	v_cmpx_ne_u32_e32 0x7f800000, v6
	s_xor_b32 s41, exec_lo, s41
; %bb.1724:                             ;   in Loop: Header=BB12_1459 Depth=4
	v_bfe_u32 v6, v0, 16, 1
	s_delay_alu instid0(VALU_DEP_1)
	v_add3_u32 v118, v0, v6, 0x7fff
                                        ; implicit-def: $vgpr0
; %bb.1725:                             ;   in Loop: Header=BB12_1459 Depth=4
	s_and_not1_saveexec_b32 s41, s41
; %bb.1726:                             ;   in Loop: Header=BB12_1459 Depth=4
	v_and_b32_e32 v6, 0xffff, v0
	v_or_b32_e32 v7, 0x10000, v0
	s_delay_alu instid0(VALU_DEP_2) | instskip(NEXT) | instid1(VALU_DEP_2)
	v_cmp_eq_u32_e32 vcc_lo, 0, v6
	v_cndmask_b32_e32 v118, v7, v0, vcc_lo
; %bb.1727:                             ;   in Loop: Header=BB12_1459 Depth=4
	s_or_b32 exec_lo, exec_lo, s41
	v_lshlrev_b32_e32 v0, 16, v113
	s_mov_b32 s41, exec_lo
                                        ; implicit-def: $vgpr119
	s_delay_alu instid0(VALU_DEP_1) | instskip(NEXT) | instid1(VALU_DEP_1)
	v_mul_f32_e32 v0, v30, v0
	v_and_b32_e32 v6, 0x7f800000, v0
	s_delay_alu instid0(VALU_DEP_1)
	v_cmpx_ne_u32_e32 0x7f800000, v6
	s_xor_b32 s41, exec_lo, s41
; %bb.1728:                             ;   in Loop: Header=BB12_1459 Depth=4
	v_bfe_u32 v6, v0, 16, 1
	s_delay_alu instid0(VALU_DEP_1)
	v_add3_u32 v119, v0, v6, 0x7fff
                                        ; implicit-def: $vgpr0
; %bb.1729:                             ;   in Loop: Header=BB12_1459 Depth=4
	s_and_not1_saveexec_b32 s41, s41
; %bb.1730:                             ;   in Loop: Header=BB12_1459 Depth=4
	v_and_b32_e32 v6, 0xffff, v0
	v_or_b32_e32 v7, 0x10000, v0
	s_delay_alu instid0(VALU_DEP_2) | instskip(NEXT) | instid1(VALU_DEP_2)
	v_cmp_eq_u32_e32 vcc_lo, 0, v6
	v_cndmask_b32_e32 v119, v7, v0, vcc_lo
; %bb.1731:                             ;   in Loop: Header=BB12_1459 Depth=4
	s_or_b32 exec_lo, exec_lo, s41
	v_and_b32_e32 v0, 0xffff0000, v113
	s_delay_alu instid0(VALU_DEP_1) | instskip(NEXT) | instid1(VALU_DEP_1)
	v_mul_f32_e32 v6, v30, v0
	v_and_b32_e32 v0, 0x7f800000, v6
	s_delay_alu instid0(VALU_DEP_1) | instskip(SKIP_1) | instid1(SALU_CYCLE_1)
	v_cmp_ne_u32_e32 vcc_lo, 0x7f800000, v0
                                        ; implicit-def: $vgpr0
	s_and_saveexec_b32 s41, vcc_lo
	s_xor_b32 s41, exec_lo, s41
; %bb.1732:                             ;   in Loop: Header=BB12_1459 Depth=4
	v_bfe_u32 v0, v6, 16, 1
	s_delay_alu instid0(VALU_DEP_1)
	v_add3_u32 v0, v6, v0, 0x7fff
                                        ; implicit-def: $vgpr6
; %bb.1733:                             ;   in Loop: Header=BB12_1459 Depth=4
	s_and_not1_saveexec_b32 s41, s41
; %bb.1734:                             ;   in Loop: Header=BB12_1459 Depth=4
	v_and_b32_e32 v0, 0xffff, v6
	v_or_b32_e32 v7, 0x10000, v6
	s_delay_alu instid0(VALU_DEP_2) | instskip(NEXT) | instid1(VALU_DEP_2)
	v_cmp_eq_u32_e32 vcc_lo, 0, v0
	v_cndmask_b32_e32 v0, v7, v6, vcc_lo
; %bb.1735:                             ;   in Loop: Header=BB12_1459 Depth=4
	s_or_b32 exec_lo, exec_lo, s41
	v_lshlrev_b32_e32 v6, 16, v114
	s_mov_b32 s41, exec_lo
                                        ; implicit-def: $vgpr120
	s_delay_alu instid0(VALU_DEP_1) | instskip(NEXT) | instid1(VALU_DEP_1)
	v_mul_f32_e32 v6, v30, v6
	v_and_b32_e32 v7, 0x7f800000, v6
	s_delay_alu instid0(VALU_DEP_1)
	v_cmpx_ne_u32_e32 0x7f800000, v7
	s_xor_b32 s41, exec_lo, s41
; %bb.1736:                             ;   in Loop: Header=BB12_1459 Depth=4
	v_bfe_u32 v7, v6, 16, 1
	s_delay_alu instid0(VALU_DEP_1)
	v_add3_u32 v120, v6, v7, 0x7fff
                                        ; implicit-def: $vgpr6
; %bb.1737:                             ;   in Loop: Header=BB12_1459 Depth=4
	s_and_not1_saveexec_b32 s41, s41
; %bb.1738:                             ;   in Loop: Header=BB12_1459 Depth=4
	v_and_b32_e32 v7, 0xffff, v6
	v_or_b32_e32 v112, 0x10000, v6
	s_delay_alu instid0(VALU_DEP_2) | instskip(NEXT) | instid1(VALU_DEP_2)
	v_cmp_eq_u32_e32 vcc_lo, 0, v7
	v_cndmask_b32_e32 v120, v112, v6, vcc_lo
; %bb.1739:                             ;   in Loop: Header=BB12_1459 Depth=4
	s_or_b32 exec_lo, exec_lo, s41
	v_and_b32_e32 v6, 0xffff0000, v114
	s_mov_b32 s41, exec_lo
                                        ; implicit-def: $vgpr44
	s_delay_alu instid0(VALU_DEP_1) | instskip(NEXT) | instid1(VALU_DEP_1)
	v_mul_f32_e32 v6, v30, v6
	v_and_b32_e32 v7, 0x7f800000, v6
	s_delay_alu instid0(VALU_DEP_1)
	v_cmpx_ne_u32_e32 0x7f800000, v7
	s_xor_b32 s41, exec_lo, s41
; %bb.1740:                             ;   in Loop: Header=BB12_1459 Depth=4
	v_bfe_u32 v7, v6, 16, 1
	s_delay_alu instid0(VALU_DEP_1)
	v_add3_u32 v44, v6, v7, 0x7fff
                                        ; implicit-def: $vgpr6
; %bb.1741:                             ;   in Loop: Header=BB12_1459 Depth=4
	s_and_not1_saveexec_b32 s41, s41
; %bb.1742:                             ;   in Loop: Header=BB12_1459 Depth=4
	v_and_b32_e32 v7, 0xffff, v6
	v_or_b32_e32 v112, 0x10000, v6
	s_delay_alu instid0(VALU_DEP_2) | instskip(NEXT) | instid1(VALU_DEP_2)
	v_cmp_eq_u32_e32 vcc_lo, 0, v7
	v_cndmask_b32_e32 v44, v112, v6, vcc_lo
; %bb.1743:                             ;   in Loop: Header=BB12_1459 Depth=4
	s_or_b32 exec_lo, exec_lo, s41
	v_lshlrev_b32_e32 v6, 16, v115
	s_mov_b32 s41, exec_lo
                                        ; implicit-def: $vgpr45
	s_delay_alu instid0(VALU_DEP_1) | instskip(NEXT) | instid1(VALU_DEP_1)
	v_mul_f32_e32 v6, v30, v6
	v_and_b32_e32 v7, 0x7f800000, v6
	s_delay_alu instid0(VALU_DEP_1)
	v_cmpx_ne_u32_e32 0x7f800000, v7
	s_xor_b32 s41, exec_lo, s41
; %bb.1744:                             ;   in Loop: Header=BB12_1459 Depth=4
	v_bfe_u32 v7, v6, 16, 1
	s_delay_alu instid0(VALU_DEP_1)
	v_add3_u32 v45, v6, v7, 0x7fff
                                        ; implicit-def: $vgpr6
; %bb.1745:                             ;   in Loop: Header=BB12_1459 Depth=4
	s_and_not1_saveexec_b32 s41, s41
; %bb.1746:                             ;   in Loop: Header=BB12_1459 Depth=4
	v_and_b32_e32 v7, 0xffff, v6
	v_or_b32_e32 v112, 0x10000, v6
	s_delay_alu instid0(VALU_DEP_2) | instskip(NEXT) | instid1(VALU_DEP_2)
	v_cmp_eq_u32_e32 vcc_lo, 0, v7
	v_cndmask_b32_e32 v45, v112, v6, vcc_lo
; %bb.1747:                             ;   in Loop: Header=BB12_1459 Depth=4
	s_or_b32 exec_lo, exec_lo, s41
	v_and_b32_e32 v6, 0xffff0000, v115
	s_delay_alu instid0(VALU_DEP_1) | instskip(NEXT) | instid1(VALU_DEP_1)
	v_mul_f32_e32 v7, v30, v6
	v_and_b32_e32 v6, 0x7f800000, v7
	s_delay_alu instid0(VALU_DEP_1) | instskip(SKIP_1) | instid1(SALU_CYCLE_1)
	v_cmp_ne_u32_e32 vcc_lo, 0x7f800000, v6
                                        ; implicit-def: $vgpr6
	s_and_saveexec_b32 s41, vcc_lo
	s_xor_b32 s41, exec_lo, s41
; %bb.1748:                             ;   in Loop: Header=BB12_1459 Depth=4
	v_bfe_u32 v6, v7, 16, 1
	s_delay_alu instid0(VALU_DEP_1)
	v_add3_u32 v6, v7, v6, 0x7fff
                                        ; implicit-def: $vgpr7
; %bb.1749:                             ;   in Loop: Header=BB12_1459 Depth=4
	s_and_not1_saveexec_b32 s41, s41
; %bb.1750:                             ;   in Loop: Header=BB12_1459 Depth=4
	v_and_b32_e32 v6, 0xffff, v7
	v_or_b32_e32 v112, 0x10000, v7
	s_delay_alu instid0(VALU_DEP_2) | instskip(NEXT) | instid1(VALU_DEP_2)
	v_cmp_eq_u32_e32 vcc_lo, 0, v6
	v_cndmask_b32_e32 v6, v112, v7, vcc_lo
; %bb.1751:                             ;   in Loop: Header=BB12_1459 Depth=4
	s_or_b32 exec_lo, exec_lo, s41
	s_wait_loadcnt 0x6
	v_lshlrev_b32_e32 v7, 16, v100
	s_delay_alu instid0(VALU_DEP_1) | instskip(NEXT) | instid1(VALU_DEP_1)
	v_mul_f32_e32 v112, v30, v7
	v_and_b32_e32 v7, 0x7f800000, v112
	s_delay_alu instid0(VALU_DEP_1) | instskip(SKIP_1) | instid1(SALU_CYCLE_1)
	v_cmp_ne_u32_e32 vcc_lo, 0x7f800000, v7
                                        ; implicit-def: $vgpr7
	s_and_saveexec_b32 s41, vcc_lo
	s_xor_b32 s41, exec_lo, s41
; %bb.1752:                             ;   in Loop: Header=BB12_1459 Depth=4
	v_bfe_u32 v7, v112, 16, 1
	s_delay_alu instid0(VALU_DEP_1)
	v_add3_u32 v7, v112, v7, 0x7fff
                                        ; implicit-def: $vgpr112
; %bb.1753:                             ;   in Loop: Header=BB12_1459 Depth=4
	s_and_not1_saveexec_b32 s41, s41
; %bb.1754:                             ;   in Loop: Header=BB12_1459 Depth=4
	v_and_b32_e32 v7, 0xffff, v112
	v_or_b32_e32 v113, 0x10000, v112
	s_delay_alu instid0(VALU_DEP_2) | instskip(NEXT) | instid1(VALU_DEP_2)
	v_cmp_eq_u32_e32 vcc_lo, 0, v7
	v_cndmask_b32_e32 v7, v113, v112, vcc_lo
; %bb.1755:                             ;   in Loop: Header=BB12_1459 Depth=4
	s_or_b32 exec_lo, exec_lo, s41
	v_and_b32_e32 v100, 0xffff0000, v100
	s_mov_b32 s41, exec_lo
                                        ; implicit-def: $vgpr46
	s_delay_alu instid0(VALU_DEP_1) | instskip(NEXT) | instid1(VALU_DEP_1)
	v_mul_f32_e32 v100, v30, v100
	v_and_b32_e32 v112, 0x7f800000, v100
	s_delay_alu instid0(VALU_DEP_1)
	v_cmpx_ne_u32_e32 0x7f800000, v112
	s_xor_b32 s41, exec_lo, s41
; %bb.1756:                             ;   in Loop: Header=BB12_1459 Depth=4
	v_bfe_u32 v112, v100, 16, 1
	s_delay_alu instid0(VALU_DEP_1)
	v_add3_u32 v46, v100, v112, 0x7fff
                                        ; implicit-def: $vgpr100
; %bb.1757:                             ;   in Loop: Header=BB12_1459 Depth=4
	s_and_not1_saveexec_b32 s41, s41
; %bb.1758:                             ;   in Loop: Header=BB12_1459 Depth=4
	v_and_b32_e32 v112, 0xffff, v100
	v_or_b32_e32 v113, 0x10000, v100
	s_delay_alu instid0(VALU_DEP_2) | instskip(NEXT) | instid1(VALU_DEP_2)
	v_cmp_eq_u32_e32 vcc_lo, 0, v112
	v_cndmask_b32_e32 v46, v113, v100, vcc_lo
; %bb.1759:                             ;   in Loop: Header=BB12_1459 Depth=4
	s_or_b32 exec_lo, exec_lo, s41
	v_lshlrev_b32_e32 v100, 16, v101
	s_mov_b32 s41, exec_lo
                                        ; implicit-def: $vgpr47
	s_delay_alu instid0(VALU_DEP_1) | instskip(NEXT) | instid1(VALU_DEP_1)
	v_mul_f32_e32 v100, v30, v100
	v_and_b32_e32 v112, 0x7f800000, v100
	s_delay_alu instid0(VALU_DEP_1)
	v_cmpx_ne_u32_e32 0x7f800000, v112
	s_xor_b32 s41, exec_lo, s41
; %bb.1760:                             ;   in Loop: Header=BB12_1459 Depth=4
	v_bfe_u32 v112, v100, 16, 1
	s_delay_alu instid0(VALU_DEP_1)
	v_add3_u32 v47, v100, v112, 0x7fff
                                        ; implicit-def: $vgpr100
; %bb.1761:                             ;   in Loop: Header=BB12_1459 Depth=4
	s_and_not1_saveexec_b32 s41, s41
; %bb.1762:                             ;   in Loop: Header=BB12_1459 Depth=4
	v_and_b32_e32 v112, 0xffff, v100
	v_or_b32_e32 v113, 0x10000, v100
	s_delay_alu instid0(VALU_DEP_2) | instskip(NEXT) | instid1(VALU_DEP_2)
	v_cmp_eq_u32_e32 vcc_lo, 0, v112
	v_cndmask_b32_e32 v47, v113, v100, vcc_lo
; %bb.1763:                             ;   in Loop: Header=BB12_1459 Depth=4
	s_or_b32 exec_lo, exec_lo, s41
	v_and_b32_e32 v100, 0xffff0000, v101
	s_mov_b32 s41, exec_lo
                                        ; implicit-def: $vgpr106
	s_delay_alu instid0(VALU_DEP_1) | instskip(NEXT) | instid1(VALU_DEP_1)
	v_mul_f32_e32 v100, v30, v100
	v_and_b32_e32 v101, 0x7f800000, v100
	s_delay_alu instid0(VALU_DEP_1)
	v_cmpx_ne_u32_e32 0x7f800000, v101
	s_xor_b32 s41, exec_lo, s41
; %bb.1764:                             ;   in Loop: Header=BB12_1459 Depth=4
	v_bfe_u32 v101, v100, 16, 1
	s_delay_alu instid0(VALU_DEP_1)
	v_add3_u32 v106, v100, v101, 0x7fff
                                        ; implicit-def: $vgpr100
; %bb.1765:                             ;   in Loop: Header=BB12_1459 Depth=4
	s_and_not1_saveexec_b32 s41, s41
; %bb.1766:                             ;   in Loop: Header=BB12_1459 Depth=4
	v_and_b32_e32 v101, 0xffff, v100
	v_or_b32_e32 v112, 0x10000, v100
	s_delay_alu instid0(VALU_DEP_2) | instskip(NEXT) | instid1(VALU_DEP_2)
	v_cmp_eq_u32_e32 vcc_lo, 0, v101
	v_cndmask_b32_e32 v106, v112, v100, vcc_lo
; %bb.1767:                             ;   in Loop: Header=BB12_1459 Depth=4
	s_or_b32 exec_lo, exec_lo, s41
	v_lshlrev_b32_e32 v100, 16, v102
	s_mov_b32 s41, exec_lo
                                        ; implicit-def: $vgpr107
	s_delay_alu instid0(VALU_DEP_1) | instskip(NEXT) | instid1(VALU_DEP_1)
	v_mul_f32_e32 v100, v30, v100
	v_and_b32_e32 v101, 0x7f800000, v100
	s_delay_alu instid0(VALU_DEP_1)
	v_cmpx_ne_u32_e32 0x7f800000, v101
	s_xor_b32 s41, exec_lo, s41
; %bb.1768:                             ;   in Loop: Header=BB12_1459 Depth=4
	v_bfe_u32 v101, v100, 16, 1
	s_delay_alu instid0(VALU_DEP_1)
	v_add3_u32 v107, v100, v101, 0x7fff
                                        ; implicit-def: $vgpr100
; %bb.1769:                             ;   in Loop: Header=BB12_1459 Depth=4
	s_and_not1_saveexec_b32 s41, s41
; %bb.1770:                             ;   in Loop: Header=BB12_1459 Depth=4
	v_and_b32_e32 v101, 0xffff, v100
	v_or_b32_e32 v112, 0x10000, v100
	s_delay_alu instid0(VALU_DEP_2) | instskip(NEXT) | instid1(VALU_DEP_2)
	v_cmp_eq_u32_e32 vcc_lo, 0, v101
	v_cndmask_b32_e32 v107, v112, v100, vcc_lo
; %bb.1771:                             ;   in Loop: Header=BB12_1459 Depth=4
	s_or_b32 exec_lo, exec_lo, s41
	v_and_b32_e32 v100, 0xffff0000, v102
	s_mov_b32 s41, exec_lo
                                        ; implicit-def: $vgpr78
	s_delay_alu instid0(VALU_DEP_1) | instskip(NEXT) | instid1(VALU_DEP_1)
	v_mul_f32_e32 v100, v30, v100
	v_and_b32_e32 v101, 0x7f800000, v100
	s_delay_alu instid0(VALU_DEP_1)
	v_cmpx_ne_u32_e32 0x7f800000, v101
	s_xor_b32 s41, exec_lo, s41
; %bb.1772:                             ;   in Loop: Header=BB12_1459 Depth=4
	v_bfe_u32 v101, v100, 16, 1
	s_delay_alu instid0(VALU_DEP_1)
	v_add3_u32 v78, v100, v101, 0x7fff
                                        ; implicit-def: $vgpr100
; %bb.1773:                             ;   in Loop: Header=BB12_1459 Depth=4
	s_and_not1_saveexec_b32 s41, s41
; %bb.1774:                             ;   in Loop: Header=BB12_1459 Depth=4
	v_and_b32_e32 v101, 0xffff, v100
	v_or_b32_e32 v102, 0x10000, v100
	s_delay_alu instid0(VALU_DEP_2) | instskip(NEXT) | instid1(VALU_DEP_2)
	v_cmp_eq_u32_e32 vcc_lo, 0, v101
	v_cndmask_b32_e32 v78, v102, v100, vcc_lo
; %bb.1775:                             ;   in Loop: Header=BB12_1459 Depth=4
	s_or_b32 exec_lo, exec_lo, s41
	v_lshlrev_b32_e32 v100, 16, v103
	s_mov_b32 s41, exec_lo
                                        ; implicit-def: $vgpr79
	s_delay_alu instid0(VALU_DEP_1) | instskip(NEXT) | instid1(VALU_DEP_1)
	v_mul_f32_e32 v100, v30, v100
	v_and_b32_e32 v101, 0x7f800000, v100
	s_delay_alu instid0(VALU_DEP_1)
	v_cmpx_ne_u32_e32 0x7f800000, v101
	s_xor_b32 s41, exec_lo, s41
; %bb.1776:                             ;   in Loop: Header=BB12_1459 Depth=4
	v_bfe_u32 v101, v100, 16, 1
	s_delay_alu instid0(VALU_DEP_1)
	v_add3_u32 v79, v100, v101, 0x7fff
                                        ; implicit-def: $vgpr100
; %bb.1777:                             ;   in Loop: Header=BB12_1459 Depth=4
	s_and_not1_saveexec_b32 s41, s41
; %bb.1778:                             ;   in Loop: Header=BB12_1459 Depth=4
	v_and_b32_e32 v101, 0xffff, v100
	v_or_b32_e32 v102, 0x10000, v100
	s_delay_alu instid0(VALU_DEP_2) | instskip(NEXT) | instid1(VALU_DEP_2)
	v_cmp_eq_u32_e32 vcc_lo, 0, v101
	v_cndmask_b32_e32 v79, v102, v100, vcc_lo
; %bb.1779:                             ;   in Loop: Header=BB12_1459 Depth=4
	s_or_b32 exec_lo, exec_lo, s41
	v_and_b32_e32 v100, 0xffff0000, v103
	s_mov_b32 s41, exec_lo
                                        ; implicit-def: $vgpr42
	s_delay_alu instid0(VALU_DEP_1) | instskip(NEXT) | instid1(VALU_DEP_1)
	v_mul_f32_e32 v100, v30, v100
	v_and_b32_e32 v101, 0x7f800000, v100
	s_delay_alu instid0(VALU_DEP_1)
	v_cmpx_ne_u32_e32 0x7f800000, v101
	s_xor_b32 s41, exec_lo, s41
; %bb.1780:                             ;   in Loop: Header=BB12_1459 Depth=4
	v_bfe_u32 v101, v100, 16, 1
	s_delay_alu instid0(VALU_DEP_1)
	v_add3_u32 v42, v100, v101, 0x7fff
                                        ; implicit-def: $vgpr100
; %bb.1781:                             ;   in Loop: Header=BB12_1459 Depth=4
	s_and_not1_saveexec_b32 s41, s41
; %bb.1782:                             ;   in Loop: Header=BB12_1459 Depth=4
	v_and_b32_e32 v101, 0xffff, v100
	v_or_b32_e32 v102, 0x10000, v100
	s_delay_alu instid0(VALU_DEP_2) | instskip(NEXT) | instid1(VALU_DEP_2)
	v_cmp_eq_u32_e32 vcc_lo, 0, v101
	v_cndmask_b32_e32 v42, v102, v100, vcc_lo
; %bb.1783:                             ;   in Loop: Header=BB12_1459 Depth=4
	s_or_b32 exec_lo, exec_lo, s41
	s_wait_loadcnt 0x5
	v_lshlrev_b32_e32 v100, 16, v84
	s_mov_b32 s41, exec_lo
                                        ; implicit-def: $vgpr43
	s_delay_alu instid0(VALU_DEP_1) | instskip(NEXT) | instid1(VALU_DEP_1)
	v_mul_f32_e32 v100, v30, v100
	v_and_b32_e32 v101, 0x7f800000, v100
	s_delay_alu instid0(VALU_DEP_1)
	v_cmpx_ne_u32_e32 0x7f800000, v101
	s_xor_b32 s41, exec_lo, s41
; %bb.1784:                             ;   in Loop: Header=BB12_1459 Depth=4
	v_bfe_u32 v101, v100, 16, 1
	s_delay_alu instid0(VALU_DEP_1)
	v_add3_u32 v43, v100, v101, 0x7fff
                                        ; implicit-def: $vgpr100
; %bb.1785:                             ;   in Loop: Header=BB12_1459 Depth=4
	s_and_not1_saveexec_b32 s41, s41
; %bb.1786:                             ;   in Loop: Header=BB12_1459 Depth=4
	v_and_b32_e32 v101, 0xffff, v100
	v_or_b32_e32 v102, 0x10000, v100
	s_delay_alu instid0(VALU_DEP_2) | instskip(NEXT) | instid1(VALU_DEP_2)
	v_cmp_eq_u32_e32 vcc_lo, 0, v101
	v_cndmask_b32_e32 v43, v102, v100, vcc_lo
; %bb.1787:                             ;   in Loop: Header=BB12_1459 Depth=4
	s_or_b32 exec_lo, exec_lo, s41
	v_and_b32_e32 v84, 0xffff0000, v84
	s_mov_b32 s41, exec_lo
                                        ; implicit-def: $vgpr114
	s_delay_alu instid0(VALU_DEP_1) | instskip(NEXT) | instid1(VALU_DEP_1)
	v_mul_f32_e32 v84, v30, v84
	v_and_b32_e32 v100, 0x7f800000, v84
	s_delay_alu instid0(VALU_DEP_1)
	v_cmpx_ne_u32_e32 0x7f800000, v100
	s_xor_b32 s41, exec_lo, s41
; %bb.1788:                             ;   in Loop: Header=BB12_1459 Depth=4
	v_bfe_u32 v100, v84, 16, 1
	s_delay_alu instid0(VALU_DEP_1)
	v_add3_u32 v114, v84, v100, 0x7fff
                                        ; implicit-def: $vgpr84
; %bb.1789:                             ;   in Loop: Header=BB12_1459 Depth=4
	s_and_not1_saveexec_b32 s41, s41
; %bb.1790:                             ;   in Loop: Header=BB12_1459 Depth=4
	v_and_b32_e32 v100, 0xffff, v84
	v_or_b32_e32 v101, 0x10000, v84
	s_delay_alu instid0(VALU_DEP_2) | instskip(NEXT) | instid1(VALU_DEP_2)
	v_cmp_eq_u32_e32 vcc_lo, 0, v100
	v_cndmask_b32_e32 v114, v101, v84, vcc_lo
; %bb.1791:                             ;   in Loop: Header=BB12_1459 Depth=4
	s_or_b32 exec_lo, exec_lo, s41
	v_lshlrev_b32_e32 v84, 16, v85
	s_mov_b32 s41, exec_lo
                                        ; implicit-def: $vgpr115
	s_delay_alu instid0(VALU_DEP_1) | instskip(NEXT) | instid1(VALU_DEP_1)
	v_mul_f32_e32 v84, v30, v84
	v_and_b32_e32 v100, 0x7f800000, v84
	s_delay_alu instid0(VALU_DEP_1)
	v_cmpx_ne_u32_e32 0x7f800000, v100
	s_xor_b32 s41, exec_lo, s41
; %bb.1792:                             ;   in Loop: Header=BB12_1459 Depth=4
	v_bfe_u32 v100, v84, 16, 1
	s_delay_alu instid0(VALU_DEP_1)
	v_add3_u32 v115, v84, v100, 0x7fff
                                        ; implicit-def: $vgpr84
; %bb.1793:                             ;   in Loop: Header=BB12_1459 Depth=4
	s_and_not1_saveexec_b32 s41, s41
; %bb.1794:                             ;   in Loop: Header=BB12_1459 Depth=4
	v_and_b32_e32 v100, 0xffff, v84
	v_or_b32_e32 v101, 0x10000, v84
	s_delay_alu instid0(VALU_DEP_2) | instskip(NEXT) | instid1(VALU_DEP_2)
	v_cmp_eq_u32_e32 vcc_lo, 0, v100
	v_cndmask_b32_e32 v115, v101, v84, vcc_lo
; %bb.1795:                             ;   in Loop: Header=BB12_1459 Depth=4
	s_or_b32 exec_lo, exec_lo, s41
	v_and_b32_e32 v84, 0xffff0000, v85
	s_mov_b32 s41, exec_lo
                                        ; implicit-def: $vgpr112
	s_delay_alu instid0(VALU_DEP_1) | instskip(NEXT) | instid1(VALU_DEP_1)
	v_mul_f32_e32 v84, v30, v84
	v_and_b32_e32 v85, 0x7f800000, v84
	s_delay_alu instid0(VALU_DEP_1)
	v_cmpx_ne_u32_e32 0x7f800000, v85
	s_xor_b32 s41, exec_lo, s41
; %bb.1796:                             ;   in Loop: Header=BB12_1459 Depth=4
	v_bfe_u32 v85, v84, 16, 1
	s_delay_alu instid0(VALU_DEP_1)
	v_add3_u32 v112, v84, v85, 0x7fff
                                        ; implicit-def: $vgpr84
; %bb.1797:                             ;   in Loop: Header=BB12_1459 Depth=4
	s_and_not1_saveexec_b32 s41, s41
; %bb.1798:                             ;   in Loop: Header=BB12_1459 Depth=4
	v_and_b32_e32 v85, 0xffff, v84
	v_or_b32_e32 v100, 0x10000, v84
	s_delay_alu instid0(VALU_DEP_2) | instskip(NEXT) | instid1(VALU_DEP_2)
	v_cmp_eq_u32_e32 vcc_lo, 0, v85
	v_cndmask_b32_e32 v112, v100, v84, vcc_lo
; %bb.1799:                             ;   in Loop: Header=BB12_1459 Depth=4
	s_or_b32 exec_lo, exec_lo, s41
	v_lshlrev_b32_e32 v84, 16, v86
	s_mov_b32 s41, exec_lo
                                        ; implicit-def: $vgpr113
	s_delay_alu instid0(VALU_DEP_1) | instskip(NEXT) | instid1(VALU_DEP_1)
	v_mul_f32_e32 v84, v30, v84
	v_and_b32_e32 v85, 0x7f800000, v84
	s_delay_alu instid0(VALU_DEP_1)
	v_cmpx_ne_u32_e32 0x7f800000, v85
	s_xor_b32 s41, exec_lo, s41
; %bb.1800:                             ;   in Loop: Header=BB12_1459 Depth=4
	v_bfe_u32 v85, v84, 16, 1
	s_delay_alu instid0(VALU_DEP_1)
	v_add3_u32 v113, v84, v85, 0x7fff
                                        ; implicit-def: $vgpr84
; %bb.1801:                             ;   in Loop: Header=BB12_1459 Depth=4
	s_and_not1_saveexec_b32 s41, s41
; %bb.1802:                             ;   in Loop: Header=BB12_1459 Depth=4
	v_and_b32_e32 v85, 0xffff, v84
	v_or_b32_e32 v100, 0x10000, v84
	s_delay_alu instid0(VALU_DEP_2) | instskip(NEXT) | instid1(VALU_DEP_2)
	v_cmp_eq_u32_e32 vcc_lo, 0, v85
	v_cndmask_b32_e32 v113, v100, v84, vcc_lo
; %bb.1803:                             ;   in Loop: Header=BB12_1459 Depth=4
	s_or_b32 exec_lo, exec_lo, s41
	v_and_b32_e32 v84, 0xffff0000, v86
	s_mov_b32 s41, exec_lo
                                        ; implicit-def: $vgpr102
	s_delay_alu instid0(VALU_DEP_1) | instskip(NEXT) | instid1(VALU_DEP_1)
	v_mul_f32_e32 v84, v30, v84
	v_and_b32_e32 v85, 0x7f800000, v84
	s_delay_alu instid0(VALU_DEP_1)
	v_cmpx_ne_u32_e32 0x7f800000, v85
	s_xor_b32 s41, exec_lo, s41
; %bb.1804:                             ;   in Loop: Header=BB12_1459 Depth=4
	v_bfe_u32 v85, v84, 16, 1
	s_delay_alu instid0(VALU_DEP_1)
	v_add3_u32 v102, v84, v85, 0x7fff
                                        ; implicit-def: $vgpr84
; %bb.1805:                             ;   in Loop: Header=BB12_1459 Depth=4
	s_and_not1_saveexec_b32 s41, s41
; %bb.1806:                             ;   in Loop: Header=BB12_1459 Depth=4
	v_and_b32_e32 v85, 0xffff, v84
	v_or_b32_e32 v86, 0x10000, v84
	s_delay_alu instid0(VALU_DEP_2) | instskip(NEXT) | instid1(VALU_DEP_2)
	v_cmp_eq_u32_e32 vcc_lo, 0, v85
	v_cndmask_b32_e32 v102, v86, v84, vcc_lo
; %bb.1807:                             ;   in Loop: Header=BB12_1459 Depth=4
	s_or_b32 exec_lo, exec_lo, s41
	v_lshlrev_b32_e32 v84, 16, v87
	s_mov_b32 s41, exec_lo
                                        ; implicit-def: $vgpr103
	s_delay_alu instid0(VALU_DEP_1) | instskip(NEXT) | instid1(VALU_DEP_1)
	v_mul_f32_e32 v84, v30, v84
	v_and_b32_e32 v85, 0x7f800000, v84
	s_delay_alu instid0(VALU_DEP_1)
	v_cmpx_ne_u32_e32 0x7f800000, v85
	s_xor_b32 s41, exec_lo, s41
; %bb.1808:                             ;   in Loop: Header=BB12_1459 Depth=4
	v_bfe_u32 v85, v84, 16, 1
	s_delay_alu instid0(VALU_DEP_1)
	v_add3_u32 v103, v84, v85, 0x7fff
                                        ; implicit-def: $vgpr84
; %bb.1809:                             ;   in Loop: Header=BB12_1459 Depth=4
	s_and_not1_saveexec_b32 s41, s41
; %bb.1810:                             ;   in Loop: Header=BB12_1459 Depth=4
	v_and_b32_e32 v85, 0xffff, v84
	v_or_b32_e32 v86, 0x10000, v84
	s_delay_alu instid0(VALU_DEP_2) | instskip(NEXT) | instid1(VALU_DEP_2)
	v_cmp_eq_u32_e32 vcc_lo, 0, v85
	v_cndmask_b32_e32 v103, v86, v84, vcc_lo
; %bb.1811:                             ;   in Loop: Header=BB12_1459 Depth=4
	s_or_b32 exec_lo, exec_lo, s41
	v_and_b32_e32 v84, 0xffff0000, v87
	s_mov_b32 s41, exec_lo
                                        ; implicit-def: $vgpr100
	s_delay_alu instid0(VALU_DEP_1) | instskip(NEXT) | instid1(VALU_DEP_1)
	v_mul_f32_e32 v84, v30, v84
	v_and_b32_e32 v85, 0x7f800000, v84
	s_delay_alu instid0(VALU_DEP_1)
	v_cmpx_ne_u32_e32 0x7f800000, v85
	s_xor_b32 s41, exec_lo, s41
; %bb.1812:                             ;   in Loop: Header=BB12_1459 Depth=4
	v_bfe_u32 v85, v84, 16, 1
	s_delay_alu instid0(VALU_DEP_1)
	v_add3_u32 v100, v84, v85, 0x7fff
                                        ; implicit-def: $vgpr84
; %bb.1813:                             ;   in Loop: Header=BB12_1459 Depth=4
	s_and_not1_saveexec_b32 s41, s41
; %bb.1814:                             ;   in Loop: Header=BB12_1459 Depth=4
	v_and_b32_e32 v85, 0xffff, v84
	v_or_b32_e32 v86, 0x10000, v84
	s_delay_alu instid0(VALU_DEP_2) | instskip(NEXT) | instid1(VALU_DEP_2)
	v_cmp_eq_u32_e32 vcc_lo, 0, v85
	v_cndmask_b32_e32 v100, v86, v84, vcc_lo
; %bb.1815:                             ;   in Loop: Header=BB12_1459 Depth=4
	s_or_b32 exec_lo, exec_lo, s41
	s_wait_loadcnt 0x4
	v_lshlrev_b32_e32 v84, 16, v80
	s_mov_b32 s41, exec_lo
                                        ; implicit-def: $vgpr101
	s_delay_alu instid0(VALU_DEP_1) | instskip(NEXT) | instid1(VALU_DEP_1)
	v_mul_f32_e32 v84, v30, v84
	v_and_b32_e32 v85, 0x7f800000, v84
	s_delay_alu instid0(VALU_DEP_1)
	v_cmpx_ne_u32_e32 0x7f800000, v85
	s_xor_b32 s41, exec_lo, s41
; %bb.1816:                             ;   in Loop: Header=BB12_1459 Depth=4
	v_bfe_u32 v85, v84, 16, 1
	s_delay_alu instid0(VALU_DEP_1)
	v_add3_u32 v101, v84, v85, 0x7fff
                                        ; implicit-def: $vgpr84
; %bb.1817:                             ;   in Loop: Header=BB12_1459 Depth=4
	s_and_not1_saveexec_b32 s41, s41
; %bb.1818:                             ;   in Loop: Header=BB12_1459 Depth=4
	v_and_b32_e32 v85, 0xffff, v84
	v_or_b32_e32 v86, 0x10000, v84
	s_delay_alu instid0(VALU_DEP_2) | instskip(NEXT) | instid1(VALU_DEP_2)
	v_cmp_eq_u32_e32 vcc_lo, 0, v85
	v_cndmask_b32_e32 v101, v86, v84, vcc_lo
; %bb.1819:                             ;   in Loop: Header=BB12_1459 Depth=4
	s_or_b32 exec_lo, exec_lo, s41
	v_and_b32_e32 v80, 0xffff0000, v80
	s_mov_b32 s41, exec_lo
                                        ; implicit-def: $vgpr86
	s_delay_alu instid0(VALU_DEP_1) | instskip(NEXT) | instid1(VALU_DEP_1)
	v_mul_f32_e32 v80, v30, v80
	v_and_b32_e32 v84, 0x7f800000, v80
	s_delay_alu instid0(VALU_DEP_1)
	v_cmpx_ne_u32_e32 0x7f800000, v84
	s_xor_b32 s41, exec_lo, s41
; %bb.1820:                             ;   in Loop: Header=BB12_1459 Depth=4
	v_bfe_u32 v84, v80, 16, 1
	s_delay_alu instid0(VALU_DEP_1)
	v_add3_u32 v86, v80, v84, 0x7fff
                                        ; implicit-def: $vgpr80
; %bb.1821:                             ;   in Loop: Header=BB12_1459 Depth=4
	s_and_not1_saveexec_b32 s41, s41
; %bb.1822:                             ;   in Loop: Header=BB12_1459 Depth=4
	v_and_b32_e32 v84, 0xffff, v80
	v_or_b32_e32 v85, 0x10000, v80
	s_delay_alu instid0(VALU_DEP_2) | instskip(NEXT) | instid1(VALU_DEP_2)
	v_cmp_eq_u32_e32 vcc_lo, 0, v84
	v_cndmask_b32_e32 v86, v85, v80, vcc_lo
; %bb.1823:                             ;   in Loop: Header=BB12_1459 Depth=4
	s_or_b32 exec_lo, exec_lo, s41
	v_lshlrev_b32_e32 v80, 16, v81
	s_mov_b32 s41, exec_lo
                                        ; implicit-def: $vgpr87
	s_delay_alu instid0(VALU_DEP_1) | instskip(NEXT) | instid1(VALU_DEP_1)
	v_mul_f32_e32 v80, v30, v80
	v_and_b32_e32 v84, 0x7f800000, v80
	s_delay_alu instid0(VALU_DEP_1)
	v_cmpx_ne_u32_e32 0x7f800000, v84
	s_xor_b32 s41, exec_lo, s41
; %bb.1824:                             ;   in Loop: Header=BB12_1459 Depth=4
	v_bfe_u32 v84, v80, 16, 1
	s_delay_alu instid0(VALU_DEP_1)
	v_add3_u32 v87, v80, v84, 0x7fff
                                        ; implicit-def: $vgpr80
; %bb.1825:                             ;   in Loop: Header=BB12_1459 Depth=4
	s_and_not1_saveexec_b32 s41, s41
; %bb.1826:                             ;   in Loop: Header=BB12_1459 Depth=4
	v_and_b32_e32 v84, 0xffff, v80
	v_or_b32_e32 v85, 0x10000, v80
	s_delay_alu instid0(VALU_DEP_2) | instskip(NEXT) | instid1(VALU_DEP_2)
	v_cmp_eq_u32_e32 vcc_lo, 0, v84
	v_cndmask_b32_e32 v87, v85, v80, vcc_lo
; %bb.1827:                             ;   in Loop: Header=BB12_1459 Depth=4
	s_or_b32 exec_lo, exec_lo, s41
	v_and_b32_e32 v80, 0xffff0000, v81
	s_mov_b32 s41, exec_lo
                                        ; implicit-def: $vgpr84
	s_delay_alu instid0(VALU_DEP_1) | instskip(NEXT) | instid1(VALU_DEP_1)
	v_mul_f32_e32 v80, v30, v80
	v_and_b32_e32 v81, 0x7f800000, v80
	s_delay_alu instid0(VALU_DEP_1)
	v_cmpx_ne_u32_e32 0x7f800000, v81
	s_xor_b32 s41, exec_lo, s41
; %bb.1828:                             ;   in Loop: Header=BB12_1459 Depth=4
	v_bfe_u32 v81, v80, 16, 1
	s_delay_alu instid0(VALU_DEP_1)
	v_add3_u32 v84, v80, v81, 0x7fff
                                        ; implicit-def: $vgpr80
; %bb.1829:                             ;   in Loop: Header=BB12_1459 Depth=4
	s_and_not1_saveexec_b32 s41, s41
; %bb.1830:                             ;   in Loop: Header=BB12_1459 Depth=4
	v_and_b32_e32 v81, 0xffff, v80
	v_or_b32_e32 v84, 0x10000, v80
	s_delay_alu instid0(VALU_DEP_2) | instskip(NEXT) | instid1(VALU_DEP_2)
	v_cmp_eq_u32_e32 vcc_lo, 0, v81
	v_cndmask_b32_e32 v84, v84, v80, vcc_lo
; %bb.1831:                             ;   in Loop: Header=BB12_1459 Depth=4
	s_or_b32 exec_lo, exec_lo, s41
	v_lshlrev_b32_e32 v80, 16, v82
	s_mov_b32 s41, exec_lo
                                        ; implicit-def: $vgpr85
	s_delay_alu instid0(VALU_DEP_1) | instskip(NEXT) | instid1(VALU_DEP_1)
	v_mul_f32_e32 v80, v30, v80
	v_and_b32_e32 v81, 0x7f800000, v80
	s_delay_alu instid0(VALU_DEP_1)
	v_cmpx_ne_u32_e32 0x7f800000, v81
	s_xor_b32 s41, exec_lo, s41
; %bb.1832:                             ;   in Loop: Header=BB12_1459 Depth=4
	v_bfe_u32 v81, v80, 16, 1
	s_delay_alu instid0(VALU_DEP_1)
	v_add3_u32 v85, v80, v81, 0x7fff
                                        ; implicit-def: $vgpr80
; %bb.1833:                             ;   in Loop: Header=BB12_1459 Depth=4
	s_and_not1_saveexec_b32 s41, s41
; %bb.1834:                             ;   in Loop: Header=BB12_1459 Depth=4
	v_and_b32_e32 v81, 0xffff, v80
	v_or_b32_e32 v85, 0x10000, v80
	s_delay_alu instid0(VALU_DEP_2) | instskip(NEXT) | instid1(VALU_DEP_2)
	v_cmp_eq_u32_e32 vcc_lo, 0, v81
	v_cndmask_b32_e32 v85, v85, v80, vcc_lo
; %bb.1835:                             ;   in Loop: Header=BB12_1459 Depth=4
	s_or_b32 exec_lo, exec_lo, s41
	v_and_b32_e32 v80, 0xffff0000, v82
	s_delay_alu instid0(VALU_DEP_1) | instskip(NEXT) | instid1(VALU_DEP_1)
	v_mul_f32_e32 v80, v30, v80
	v_and_b32_e32 v81, 0x7f800000, v80
	s_delay_alu instid0(VALU_DEP_1) | instskip(SKIP_1) | instid1(SALU_CYCLE_1)
	v_cmp_ne_u32_e32 vcc_lo, 0x7f800000, v81
                                        ; implicit-def: $vgpr81
	s_and_saveexec_b32 s41, vcc_lo
	s_xor_b32 s41, exec_lo, s41
; %bb.1836:                             ;   in Loop: Header=BB12_1459 Depth=4
	v_bfe_u32 v81, v80, 16, 1
	s_delay_alu instid0(VALU_DEP_1)
	v_add3_u32 v81, v80, v81, 0x7fff
                                        ; implicit-def: $vgpr80
; %bb.1837:                             ;   in Loop: Header=BB12_1459 Depth=4
	s_and_not1_saveexec_b32 s41, s41
; %bb.1838:                             ;   in Loop: Header=BB12_1459 Depth=4
	v_and_b32_e32 v81, 0xffff, v80
	v_or_b32_e32 v82, 0x10000, v80
	s_delay_alu instid0(VALU_DEP_2) | instskip(NEXT) | instid1(VALU_DEP_2)
	v_cmp_eq_u32_e32 vcc_lo, 0, v81
	v_cndmask_b32_e32 v81, v82, v80, vcc_lo
; %bb.1839:                             ;   in Loop: Header=BB12_1459 Depth=4
	s_or_b32 exec_lo, exec_lo, s41
	v_lshlrev_b32_e32 v80, 16, v83
	s_delay_alu instid0(VALU_DEP_1) | instskip(NEXT) | instid1(VALU_DEP_1)
	v_mul_f32_e32 v80, v30, v80
	v_and_b32_e32 v82, 0x7f800000, v80
	s_delay_alu instid0(VALU_DEP_1) | instskip(SKIP_1) | instid1(SALU_CYCLE_1)
	v_cmp_ne_u32_e32 vcc_lo, 0x7f800000, v82
                                        ; implicit-def: $vgpr82
	s_and_saveexec_b32 s41, vcc_lo
	s_xor_b32 s41, exec_lo, s41
; %bb.1840:                             ;   in Loop: Header=BB12_1459 Depth=4
	v_bfe_u32 v82, v80, 16, 1
	s_delay_alu instid0(VALU_DEP_1)
	v_add3_u32 v82, v80, v82, 0x7fff
                                        ; implicit-def: $vgpr80
; %bb.1841:                             ;   in Loop: Header=BB12_1459 Depth=4
	s_and_not1_saveexec_b32 s41, s41
; %bb.1842:                             ;   in Loop: Header=BB12_1459 Depth=4
	v_and_b32_e32 v82, 0xffff, v80
	v_or_b32_e32 v90, 0x10000, v80
	s_delay_alu instid0(VALU_DEP_2) | instskip(NEXT) | instid1(VALU_DEP_2)
	v_cmp_eq_u32_e32 vcc_lo, 0, v82
	v_cndmask_b32_e32 v82, v90, v80, vcc_lo
; %bb.1843:                             ;   in Loop: Header=BB12_1459 Depth=4
	s_or_b32 exec_lo, exec_lo, s41
	v_and_b32_e32 v80, 0xffff0000, v83
	s_delay_alu instid0(VALU_DEP_1) | instskip(NEXT) | instid1(VALU_DEP_1)
	v_mul_f32_e32 v83, v30, v80
	v_and_b32_e32 v80, 0x7f800000, v83
	s_delay_alu instid0(VALU_DEP_1) | instskip(SKIP_1) | instid1(SALU_CYCLE_1)
	v_cmp_ne_u32_e32 vcc_lo, 0x7f800000, v80
                                        ; implicit-def: $vgpr80
	s_and_saveexec_b32 s41, vcc_lo
	s_xor_b32 s41, exec_lo, s41
; %bb.1844:                             ;   in Loop: Header=BB12_1459 Depth=4
	v_bfe_u32 v80, v83, 16, 1
	s_delay_alu instid0(VALU_DEP_1)
	v_add3_u32 v80, v83, v80, 0x7fff
                                        ; implicit-def: $vgpr83
; %bb.1845:                             ;   in Loop: Header=BB12_1459 Depth=4
	s_and_not1_saveexec_b32 s41, s41
; %bb.1846:                             ;   in Loop: Header=BB12_1459 Depth=4
	v_and_b32_e32 v80, 0xffff, v83
	v_or_b32_e32 v90, 0x10000, v83
	s_delay_alu instid0(VALU_DEP_2) | instskip(NEXT) | instid1(VALU_DEP_2)
	v_cmp_eq_u32_e32 vcc_lo, 0, v80
	v_cndmask_b32_e32 v80, v90, v83, vcc_lo
; %bb.1847:                             ;   in Loop: Header=BB12_1459 Depth=4
	s_or_b32 exec_lo, exec_lo, s41
	v_and_b32_e32 v1, 0xffff0000, v1
	s_wait_loadcnt 0x3
	v_lshlrev_b32_e32 v83, 16, v64
	s_delay_alu instid0(VALU_DEP_1) | instskip(NEXT) | instid1(VALU_DEP_1)
	v_add_f32_e32 v83, v83, v1
	v_and_b32_e32 v1, 0x7f800000, v83
	s_delay_alu instid0(VALU_DEP_1) | instskip(SKIP_1) | instid1(SALU_CYCLE_1)
	v_cmp_ne_u32_e32 vcc_lo, 0x7f800000, v1
                                        ; implicit-def: $vgpr1
	s_and_saveexec_b32 s41, vcc_lo
	s_xor_b32 s41, exec_lo, s41
; %bb.1848:                             ;   in Loop: Header=BB12_1459 Depth=4
	v_bfe_u32 v1, v83, 16, 1
	s_delay_alu instid0(VALU_DEP_1)
	v_add3_u32 v1, v83, v1, 0x7fff
                                        ; implicit-def: $vgpr83
; %bb.1849:                             ;   in Loop: Header=BB12_1459 Depth=4
	s_and_not1_saveexec_b32 s41, s41
; %bb.1850:                             ;   in Loop: Header=BB12_1459 Depth=4
	v_and_b32_e32 v1, 0xffff, v83
	v_or_b32_e32 v90, 0x10000, v83
	s_delay_alu instid0(VALU_DEP_2) | instskip(NEXT) | instid1(VALU_DEP_2)
	v_cmp_eq_u32_e32 vcc_lo, 0, v1
	v_cndmask_b32_e32 v1, v90, v83, vcc_lo
; %bb.1851:                             ;   in Loop: Header=BB12_1459 Depth=4
	s_or_b32 exec_lo, exec_lo, s41
	v_and_b32_e32 v64, 0xffff0000, v64
	v_and_b32_e32 v83, 0xffff0000, v118
	s_delay_alu instid0(VALU_DEP_1) | instskip(NEXT) | instid1(VALU_DEP_1)
	v_add_f32_e32 v83, v64, v83
	v_and_b32_e32 v64, 0x7f800000, v83
	s_delay_alu instid0(VALU_DEP_1) | instskip(SKIP_1) | instid1(SALU_CYCLE_1)
	v_cmp_ne_u32_e32 vcc_lo, 0x7f800000, v64
                                        ; implicit-def: $vgpr64
	s_and_saveexec_b32 s41, vcc_lo
	s_xor_b32 s41, exec_lo, s41
; %bb.1852:                             ;   in Loop: Header=BB12_1459 Depth=4
	v_bfe_u32 v64, v83, 16, 1
	s_delay_alu instid0(VALU_DEP_1)
	v_add3_u32 v64, v83, v64, 0x7fff
                                        ; implicit-def: $vgpr83
; %bb.1853:                             ;   in Loop: Header=BB12_1459 Depth=4
	s_and_not1_saveexec_b32 s41, s41
; %bb.1854:                             ;   in Loop: Header=BB12_1459 Depth=4
	v_and_b32_e32 v64, 0xffff, v83
	v_or_b32_e32 v118, 0x10000, v83
	s_delay_alu instid0(VALU_DEP_2) | instskip(NEXT) | instid1(VALU_DEP_2)
	v_cmp_eq_u32_e32 vcc_lo, 0, v64
	v_cndmask_b32_e32 v64, v118, v83, vcc_lo
; %bb.1855:                             ;   in Loop: Header=BB12_1459 Depth=4
	s_or_b32 exec_lo, exec_lo, s41
	v_and_b32_e32 v83, 0xffff0000, v119
	v_lshlrev_b32_e32 v118, 16, v65
	s_delay_alu instid0(VALU_DEP_1) | instskip(NEXT) | instid1(VALU_DEP_1)
	v_add_f32_e32 v118, v118, v83
	v_and_b32_e32 v83, 0x7f800000, v118
	s_delay_alu instid0(VALU_DEP_1) | instskip(SKIP_1) | instid1(SALU_CYCLE_1)
	v_cmp_ne_u32_e32 vcc_lo, 0x7f800000, v83
                                        ; implicit-def: $vgpr83
	s_and_saveexec_b32 s41, vcc_lo
	s_xor_b32 s41, exec_lo, s41
; %bb.1856:                             ;   in Loop: Header=BB12_1459 Depth=4
	v_bfe_u32 v83, v118, 16, 1
	s_delay_alu instid0(VALU_DEP_1)
	v_add3_u32 v83, v118, v83, 0x7fff
                                        ; implicit-def: $vgpr118
; %bb.1857:                             ;   in Loop: Header=BB12_1459 Depth=4
	s_and_not1_saveexec_b32 s41, s41
; %bb.1858:                             ;   in Loop: Header=BB12_1459 Depth=4
	v_and_b32_e32 v83, 0xffff, v118
	v_or_b32_e32 v119, 0x10000, v118
	s_delay_alu instid0(VALU_DEP_2) | instskip(NEXT) | instid1(VALU_DEP_2)
	v_cmp_eq_u32_e32 vcc_lo, 0, v83
	v_cndmask_b32_e32 v83, v119, v118, vcc_lo
; %bb.1859:                             ;   in Loop: Header=BB12_1459 Depth=4
	s_or_b32 exec_lo, exec_lo, s41
	v_and_b32_e32 v65, 0xffff0000, v65
	v_and_b32_e32 v0, 0xffff0000, v0
	s_delay_alu instid0(VALU_DEP_1) | instskip(NEXT) | instid1(VALU_DEP_1)
	v_add_f32_e32 v65, v65, v0
	v_and_b32_e32 v0, 0x7f800000, v65
	s_delay_alu instid0(VALU_DEP_1) | instskip(SKIP_1) | instid1(SALU_CYCLE_1)
	v_cmp_ne_u32_e32 vcc_lo, 0x7f800000, v0
                                        ; implicit-def: $vgpr0
	s_and_saveexec_b32 s41, vcc_lo
	s_xor_b32 s41, exec_lo, s41
; %bb.1860:                             ;   in Loop: Header=BB12_1459 Depth=4
	v_bfe_u32 v0, v65, 16, 1
	s_delay_alu instid0(VALU_DEP_1)
	v_add3_u32 v0, v65, v0, 0x7fff
                                        ; implicit-def: $vgpr65
; %bb.1861:                             ;   in Loop: Header=BB12_1459 Depth=4
	s_and_not1_saveexec_b32 s41, s41
; %bb.1862:                             ;   in Loop: Header=BB12_1459 Depth=4
	v_and_b32_e32 v0, 0xffff, v65
	v_or_b32_e32 v118, 0x10000, v65
	s_delay_alu instid0(VALU_DEP_2) | instskip(NEXT) | instid1(VALU_DEP_2)
	v_cmp_eq_u32_e32 vcc_lo, 0, v0
	v_cndmask_b32_e32 v0, v118, v65, vcc_lo
; %bb.1863:                             ;   in Loop: Header=BB12_1459 Depth=4
	s_or_b32 exec_lo, exec_lo, s41
	v_and_b32_e32 v65, 0xffff0000, v120
	v_lshlrev_b32_e32 v118, 16, v66
	s_delay_alu instid0(VALU_DEP_1) | instskip(NEXT) | instid1(VALU_DEP_1)
	v_add_f32_e32 v118, v118, v65
	v_and_b32_e32 v65, 0x7f800000, v118
	s_delay_alu instid0(VALU_DEP_1) | instskip(SKIP_1) | instid1(SALU_CYCLE_1)
	v_cmp_ne_u32_e32 vcc_lo, 0x7f800000, v65
                                        ; implicit-def: $vgpr65
	s_and_saveexec_b32 s41, vcc_lo
	s_xor_b32 s41, exec_lo, s41
; %bb.1864:                             ;   in Loop: Header=BB12_1459 Depth=4
	v_bfe_u32 v65, v118, 16, 1
	s_delay_alu instid0(VALU_DEP_1)
	v_add3_u32 v65, v118, v65, 0x7fff
                                        ; implicit-def: $vgpr118
; %bb.1865:                             ;   in Loop: Header=BB12_1459 Depth=4
	s_and_not1_saveexec_b32 s41, s41
; %bb.1866:                             ;   in Loop: Header=BB12_1459 Depth=4
	v_and_b32_e32 v65, 0xffff, v118
	v_or_b32_e32 v119, 0x10000, v118
	s_delay_alu instid0(VALU_DEP_2) | instskip(NEXT) | instid1(VALU_DEP_2)
	v_cmp_eq_u32_e32 vcc_lo, 0, v65
	v_cndmask_b32_e32 v65, v119, v118, vcc_lo
; %bb.1867:                             ;   in Loop: Header=BB12_1459 Depth=4
	s_or_b32 exec_lo, exec_lo, s41
	v_and_b32_e32 v66, 0xffff0000, v66
	v_and_b32_e32 v118, 0xffff0000, v44
	s_delay_alu instid0(VALU_DEP_1) | instskip(NEXT) | instid1(VALU_DEP_1)
	v_add_f32_e32 v118, v66, v118
	v_and_b32_e32 v66, 0x7f800000, v118
	s_delay_alu instid0(VALU_DEP_1) | instskip(SKIP_1) | instid1(SALU_CYCLE_1)
	v_cmp_ne_u32_e32 vcc_lo, 0x7f800000, v66
                                        ; implicit-def: $vgpr66
	s_and_saveexec_b32 s41, vcc_lo
	s_xor_b32 s41, exec_lo, s41
; %bb.1868:                             ;   in Loop: Header=BB12_1459 Depth=4
	v_bfe_u32 v66, v118, 16, 1
	s_delay_alu instid0(VALU_DEP_1)
	v_add3_u32 v66, v118, v66, 0x7fff
                                        ; implicit-def: $vgpr118
; %bb.1869:                             ;   in Loop: Header=BB12_1459 Depth=4
	s_and_not1_saveexec_b32 s41, s41
; %bb.1870:                             ;   in Loop: Header=BB12_1459 Depth=4
	v_and_b32_e32 v66, 0xffff, v118
	v_or_b32_e32 v119, 0x10000, v118
	s_delay_alu instid0(VALU_DEP_2) | instskip(NEXT) | instid1(VALU_DEP_2)
	v_cmp_eq_u32_e32 vcc_lo, 0, v66
	v_cndmask_b32_e32 v66, v119, v118, vcc_lo
; %bb.1871:                             ;   in Loop: Header=BB12_1459 Depth=4
	s_or_b32 exec_lo, exec_lo, s41
	v_and_b32_e32 v118, 0xffff0000, v45
	v_lshlrev_b32_e32 v119, 16, v67
	s_delay_alu instid0(VALU_DEP_1) | instskip(NEXT) | instid1(VALU_DEP_1)
	v_add_f32_e32 v119, v119, v118
	v_and_b32_e32 v118, 0x7f800000, v119
	s_delay_alu instid0(VALU_DEP_1) | instskip(SKIP_1) | instid1(SALU_CYCLE_1)
	v_cmp_ne_u32_e32 vcc_lo, 0x7f800000, v118
                                        ; implicit-def: $vgpr118
	s_and_saveexec_b32 s41, vcc_lo
	s_xor_b32 s41, exec_lo, s41
; %bb.1872:                             ;   in Loop: Header=BB12_1459 Depth=4
	v_bfe_u32 v118, v119, 16, 1
	s_delay_alu instid0(VALU_DEP_1)
	v_add3_u32 v118, v119, v118, 0x7fff
                                        ; implicit-def: $vgpr119
; %bb.1873:                             ;   in Loop: Header=BB12_1459 Depth=4
	s_and_not1_saveexec_b32 s41, s41
; %bb.1874:                             ;   in Loop: Header=BB12_1459 Depth=4
	v_and_b32_e32 v118, 0xffff, v119
	v_or_b32_e32 v44, 0x10000, v119
	s_delay_alu instid0(VALU_DEP_2) | instskip(NEXT) | instid1(VALU_DEP_2)
	v_cmp_eq_u32_e32 vcc_lo, 0, v118
	v_cndmask_b32_e32 v118, v44, v119, vcc_lo
; %bb.1875:                             ;   in Loop: Header=BB12_1459 Depth=4
	s_or_b32 exec_lo, exec_lo, s41
	v_and_b32_e32 v67, 0xffff0000, v67
	v_and_b32_e32 v6, 0xffff0000, v6
	s_delay_alu instid0(VALU_DEP_1) | instskip(NEXT) | instid1(VALU_DEP_1)
	v_add_f32_e32 v67, v67, v6
	v_and_b32_e32 v6, 0x7f800000, v67
	s_delay_alu instid0(VALU_DEP_1) | instskip(SKIP_1) | instid1(SALU_CYCLE_1)
	v_cmp_ne_u32_e32 vcc_lo, 0x7f800000, v6
                                        ; implicit-def: $vgpr6
	s_and_saveexec_b32 s41, vcc_lo
	s_xor_b32 s41, exec_lo, s41
; %bb.1876:                             ;   in Loop: Header=BB12_1459 Depth=4
	v_bfe_u32 v6, v67, 16, 1
	s_delay_alu instid0(VALU_DEP_1)
	v_add3_u32 v6, v67, v6, 0x7fff
                                        ; implicit-def: $vgpr67
; %bb.1877:                             ;   in Loop: Header=BB12_1459 Depth=4
	s_and_not1_saveexec_b32 s41, s41
; %bb.1878:                             ;   in Loop: Header=BB12_1459 Depth=4
	v_and_b32_e32 v6, 0xffff, v67
	v_or_b32_e32 v119, 0x10000, v67
	s_delay_alu instid0(VALU_DEP_2) | instskip(NEXT) | instid1(VALU_DEP_2)
	v_cmp_eq_u32_e32 vcc_lo, 0, v6
	v_cndmask_b32_e32 v6, v119, v67, vcc_lo
; %bb.1879:                             ;   in Loop: Header=BB12_1459 Depth=4
	s_or_b32 exec_lo, exec_lo, s41
	v_and_b32_e32 v7, 0xffff0000, v7
	s_wait_loadcnt 0x2
	v_lshlrev_b32_e32 v67, 16, v52
	s_delay_alu instid0(VALU_DEP_1) | instskip(NEXT) | instid1(VALU_DEP_1)
	v_add_f32_e32 v67, v67, v7
	v_and_b32_e32 v7, 0x7f800000, v67
	s_delay_alu instid0(VALU_DEP_1) | instskip(SKIP_1) | instid1(SALU_CYCLE_1)
	v_cmp_ne_u32_e32 vcc_lo, 0x7f800000, v7
                                        ; implicit-def: $vgpr7
	s_and_saveexec_b32 s41, vcc_lo
	s_xor_b32 s41, exec_lo, s41
; %bb.1880:                             ;   in Loop: Header=BB12_1459 Depth=4
	v_bfe_u32 v7, v67, 16, 1
	s_delay_alu instid0(VALU_DEP_1)
	v_add3_u32 v7, v67, v7, 0x7fff
                                        ; implicit-def: $vgpr67
; %bb.1881:                             ;   in Loop: Header=BB12_1459 Depth=4
	s_and_not1_saveexec_b32 s41, s41
; %bb.1882:                             ;   in Loop: Header=BB12_1459 Depth=4
	v_and_b32_e32 v7, 0xffff, v67
	v_or_b32_e32 v119, 0x10000, v67
	s_delay_alu instid0(VALU_DEP_2) | instskip(NEXT) | instid1(VALU_DEP_2)
	v_cmp_eq_u32_e32 vcc_lo, 0, v7
	v_cndmask_b32_e32 v7, v119, v67, vcc_lo
; %bb.1883:                             ;   in Loop: Header=BB12_1459 Depth=4
	s_or_b32 exec_lo, exec_lo, s41
	v_and_b32_e32 v52, 0xffff0000, v52
	v_and_b32_e32 v67, 0xffff0000, v46
	s_delay_alu instid0(VALU_DEP_1) | instskip(NEXT) | instid1(VALU_DEP_1)
	v_add_f32_e32 v67, v52, v67
	v_and_b32_e32 v52, 0x7f800000, v67
	s_delay_alu instid0(VALU_DEP_1) | instskip(SKIP_1) | instid1(SALU_CYCLE_1)
	v_cmp_ne_u32_e32 vcc_lo, 0x7f800000, v52
                                        ; implicit-def: $vgpr52
	s_and_saveexec_b32 s41, vcc_lo
	s_xor_b32 s41, exec_lo, s41
; %bb.1884:                             ;   in Loop: Header=BB12_1459 Depth=4
	v_bfe_u32 v52, v67, 16, 1
	s_delay_alu instid0(VALU_DEP_1)
	v_add3_u32 v52, v67, v52, 0x7fff
                                        ; implicit-def: $vgpr67
; %bb.1885:                             ;   in Loop: Header=BB12_1459 Depth=4
	s_and_not1_saveexec_b32 s41, s41
; %bb.1886:                             ;   in Loop: Header=BB12_1459 Depth=4
	v_and_b32_e32 v52, 0xffff, v67
	v_or_b32_e32 v119, 0x10000, v67
	s_delay_alu instid0(VALU_DEP_2) | instskip(NEXT) | instid1(VALU_DEP_2)
	v_cmp_eq_u32_e32 vcc_lo, 0, v52
	v_cndmask_b32_e32 v52, v119, v67, vcc_lo
; %bb.1887:                             ;   in Loop: Header=BB12_1459 Depth=4
	s_or_b32 exec_lo, exec_lo, s41
	v_and_b32_e32 v67, 0xffff0000, v47
	v_lshlrev_b32_e32 v119, 16, v53
	s_delay_alu instid0(VALU_DEP_1) | instskip(NEXT) | instid1(VALU_DEP_1)
	v_add_f32_e32 v119, v119, v67
	v_and_b32_e32 v67, 0x7f800000, v119
	s_delay_alu instid0(VALU_DEP_1) | instskip(SKIP_1) | instid1(SALU_CYCLE_1)
	v_cmp_ne_u32_e32 vcc_lo, 0x7f800000, v67
                                        ; implicit-def: $vgpr67
	s_and_saveexec_b32 s41, vcc_lo
	s_xor_b32 s41, exec_lo, s41
; %bb.1888:                             ;   in Loop: Header=BB12_1459 Depth=4
	v_bfe_u32 v67, v119, 16, 1
	s_delay_alu instid0(VALU_DEP_1)
	v_add3_u32 v67, v119, v67, 0x7fff
                                        ; implicit-def: $vgpr119
; %bb.1889:                             ;   in Loop: Header=BB12_1459 Depth=4
	s_and_not1_saveexec_b32 s41, s41
; %bb.1890:                             ;   in Loop: Header=BB12_1459 Depth=4
	v_and_b32_e32 v67, 0xffff, v119
	v_or_b32_e32 v44, 0x10000, v119
	s_delay_alu instid0(VALU_DEP_2) | instskip(NEXT) | instid1(VALU_DEP_2)
	v_cmp_eq_u32_e32 vcc_lo, 0, v67
	v_cndmask_b32_e32 v67, v44, v119, vcc_lo
; %bb.1891:                             ;   in Loop: Header=BB12_1459 Depth=4
	s_or_b32 exec_lo, exec_lo, s41
	v_and_b32_e32 v53, 0xffff0000, v53
	v_and_b32_e32 v119, 0xffff0000, v106
	s_delay_alu instid0(VALU_DEP_1) | instskip(NEXT) | instid1(VALU_DEP_1)
	v_add_f32_e32 v119, v53, v119
	v_and_b32_e32 v53, 0x7f800000, v119
	s_delay_alu instid0(VALU_DEP_1) | instskip(SKIP_1) | instid1(SALU_CYCLE_1)
	v_cmp_ne_u32_e32 vcc_lo, 0x7f800000, v53
                                        ; implicit-def: $vgpr53
	s_and_saveexec_b32 s41, vcc_lo
	s_xor_b32 s41, exec_lo, s41
; %bb.1892:                             ;   in Loop: Header=BB12_1459 Depth=4
	v_bfe_u32 v53, v119, 16, 1
	s_delay_alu instid0(VALU_DEP_1)
	v_add3_u32 v53, v119, v53, 0x7fff
                                        ; implicit-def: $vgpr119
; %bb.1893:                             ;   in Loop: Header=BB12_1459 Depth=4
	s_and_not1_saveexec_b32 s41, s41
; %bb.1894:                             ;   in Loop: Header=BB12_1459 Depth=4
	v_and_b32_e32 v53, 0xffff, v119
	v_or_b32_e32 v44, 0x10000, v119
	s_delay_alu instid0(VALU_DEP_2) | instskip(NEXT) | instid1(VALU_DEP_2)
	v_cmp_eq_u32_e32 vcc_lo, 0, v53
	v_cndmask_b32_e32 v53, v44, v119, vcc_lo
; %bb.1895:                             ;   in Loop: Header=BB12_1459 Depth=4
	s_or_b32 exec_lo, exec_lo, s41
	v_and_b32_e32 v119, 0xffff0000, v107
	v_lshlrev_b32_e32 v44, 16, v54
	s_delay_alu instid0(VALU_DEP_1) | instskip(NEXT) | instid1(VALU_DEP_1)
	v_add_f32_e32 v44, v44, v119
	v_and_b32_e32 v119, 0x7f800000, v44
	s_delay_alu instid0(VALU_DEP_1) | instskip(SKIP_1) | instid1(SALU_CYCLE_1)
	v_cmp_ne_u32_e32 vcc_lo, 0x7f800000, v119
                                        ; implicit-def: $vgpr119
	s_and_saveexec_b32 s41, vcc_lo
	s_xor_b32 s41, exec_lo, s41
; %bb.1896:                             ;   in Loop: Header=BB12_1459 Depth=4
	v_bfe_u32 v119, v44, 16, 1
	s_delay_alu instid0(VALU_DEP_1)
	v_add3_u32 v119, v44, v119, 0x7fff
                                        ; implicit-def: $vgpr44
; %bb.1897:                             ;   in Loop: Header=BB12_1459 Depth=4
	s_and_not1_saveexec_b32 s41, s41
; %bb.1898:                             ;   in Loop: Header=BB12_1459 Depth=4
	v_and_b32_e32 v119, 0xffff, v44
	v_or_b32_e32 v45, 0x10000, v44
	s_delay_alu instid0(VALU_DEP_2) | instskip(NEXT) | instid1(VALU_DEP_2)
	v_cmp_eq_u32_e32 vcc_lo, 0, v119
	v_cndmask_b32_e32 v119, v45, v44, vcc_lo
; %bb.1899:                             ;   in Loop: Header=BB12_1459 Depth=4
	s_or_b32 exec_lo, exec_lo, s41
	v_and_b32_e32 v54, 0xffff0000, v54
	v_and_b32_e32 v44, 0xffff0000, v78
	s_delay_alu instid0(VALU_DEP_1) | instskip(NEXT) | instid1(VALU_DEP_1)
	v_add_f32_e32 v44, v54, v44
	v_and_b32_e32 v54, 0x7f800000, v44
	s_delay_alu instid0(VALU_DEP_1) | instskip(SKIP_1) | instid1(SALU_CYCLE_1)
	v_cmp_ne_u32_e32 vcc_lo, 0x7f800000, v54
                                        ; implicit-def: $vgpr54
	s_and_saveexec_b32 s41, vcc_lo
	s_xor_b32 s41, exec_lo, s41
; %bb.1900:                             ;   in Loop: Header=BB12_1459 Depth=4
	v_bfe_u32 v54, v44, 16, 1
	s_delay_alu instid0(VALU_DEP_1)
	v_add3_u32 v54, v44, v54, 0x7fff
                                        ; implicit-def: $vgpr44
; %bb.1901:                             ;   in Loop: Header=BB12_1459 Depth=4
	s_and_not1_saveexec_b32 s41, s41
; %bb.1902:                             ;   in Loop: Header=BB12_1459 Depth=4
	v_and_b32_e32 v54, 0xffff, v44
	v_or_b32_e32 v45, 0x10000, v44
	s_delay_alu instid0(VALU_DEP_2) | instskip(NEXT) | instid1(VALU_DEP_2)
	v_cmp_eq_u32_e32 vcc_lo, 0, v54
	v_cndmask_b32_e32 v54, v45, v44, vcc_lo
; %bb.1903:                             ;   in Loop: Header=BB12_1459 Depth=4
	s_or_b32 exec_lo, exec_lo, s41
	v_and_b32_e32 v44, 0xffff0000, v79
	v_lshlrev_b32_e32 v45, 16, v55
	s_delay_alu instid0(VALU_DEP_1) | instskip(NEXT) | instid1(VALU_DEP_1)
	v_add_f32_e32 v45, v45, v44
	v_and_b32_e32 v44, 0x7f800000, v45
	s_delay_alu instid0(VALU_DEP_1) | instskip(SKIP_1) | instid1(SALU_CYCLE_1)
	v_cmp_ne_u32_e32 vcc_lo, 0x7f800000, v44
                                        ; implicit-def: $vgpr44
	s_and_saveexec_b32 s41, vcc_lo
	s_xor_b32 s41, exec_lo, s41
; %bb.1904:                             ;   in Loop: Header=BB12_1459 Depth=4
	v_bfe_u32 v44, v45, 16, 1
	s_delay_alu instid0(VALU_DEP_1)
	v_add3_u32 v44, v45, v44, 0x7fff
                                        ; implicit-def: $vgpr45
; %bb.1905:                             ;   in Loop: Header=BB12_1459 Depth=4
	s_and_not1_saveexec_b32 s41, s41
; %bb.1906:                             ;   in Loop: Header=BB12_1459 Depth=4
	v_and_b32_e32 v44, 0xffff, v45
	v_or_b32_e32 v46, 0x10000, v45
	s_delay_alu instid0(VALU_DEP_2) | instskip(NEXT) | instid1(VALU_DEP_2)
	v_cmp_eq_u32_e32 vcc_lo, 0, v44
	v_cndmask_b32_e32 v44, v46, v45, vcc_lo
; %bb.1907:                             ;   in Loop: Header=BB12_1459 Depth=4
	s_or_b32 exec_lo, exec_lo, s41
	v_and_b32_e32 v55, 0xffff0000, v55
	v_and_b32_e32 v42, 0xffff0000, v42
	s_delay_alu instid0(VALU_DEP_1) | instskip(NEXT) | instid1(VALU_DEP_1)
	v_add_f32_e32 v42, v55, v42
	v_and_b32_e32 v55, 0x7f800000, v42
	s_delay_alu instid0(VALU_DEP_1) | instskip(SKIP_1) | instid1(SALU_CYCLE_1)
	v_cmp_ne_u32_e32 vcc_lo, 0x7f800000, v55
                                        ; implicit-def: $vgpr55
	s_and_saveexec_b32 s41, vcc_lo
	s_xor_b32 s41, exec_lo, s41
; %bb.1908:                             ;   in Loop: Header=BB12_1459 Depth=4
	v_bfe_u32 v55, v42, 16, 1
	s_delay_alu instid0(VALU_DEP_1)
	v_add3_u32 v55, v42, v55, 0x7fff
                                        ; implicit-def: $vgpr42
; %bb.1909:                             ;   in Loop: Header=BB12_1459 Depth=4
	s_and_not1_saveexec_b32 s41, s41
; %bb.1910:                             ;   in Loop: Header=BB12_1459 Depth=4
	v_and_b32_e32 v55, 0xffff, v42
	v_or_b32_e32 v45, 0x10000, v42
	s_delay_alu instid0(VALU_DEP_2) | instskip(NEXT) | instid1(VALU_DEP_2)
	v_cmp_eq_u32_e32 vcc_lo, 0, v55
	v_cndmask_b32_e32 v55, v45, v42, vcc_lo
; %bb.1911:                             ;   in Loop: Header=BB12_1459 Depth=4
	s_or_b32 exec_lo, exec_lo, s41
	v_and_b32_e32 v42, 0xffff0000, v43
	s_wait_loadcnt 0x1
	v_lshlrev_b32_e32 v43, 16, v36
	s_delay_alu instid0(VALU_DEP_1) | instskip(NEXT) | instid1(VALU_DEP_1)
	v_add_f32_e32 v43, v43, v42
	v_and_b32_e32 v42, 0x7f800000, v43
	s_delay_alu instid0(VALU_DEP_1) | instskip(SKIP_1) | instid1(SALU_CYCLE_1)
	v_cmp_ne_u32_e32 vcc_lo, 0x7f800000, v42
                                        ; implicit-def: $vgpr42
	s_and_saveexec_b32 s41, vcc_lo
	s_xor_b32 s41, exec_lo, s41
; %bb.1912:                             ;   in Loop: Header=BB12_1459 Depth=4
	v_bfe_u32 v42, v43, 16, 1
	s_delay_alu instid0(VALU_DEP_1)
	v_add3_u32 v42, v43, v42, 0x7fff
                                        ; implicit-def: $vgpr43
; %bb.1913:                             ;   in Loop: Header=BB12_1459 Depth=4
	s_and_not1_saveexec_b32 s41, s41
; %bb.1914:                             ;   in Loop: Header=BB12_1459 Depth=4
	v_and_b32_e32 v42, 0xffff, v43
	v_or_b32_e32 v45, 0x10000, v43
	s_delay_alu instid0(VALU_DEP_2) | instskip(NEXT) | instid1(VALU_DEP_2)
	v_cmp_eq_u32_e32 vcc_lo, 0, v42
	v_cndmask_b32_e32 v42, v45, v43, vcc_lo
; %bb.1915:                             ;   in Loop: Header=BB12_1459 Depth=4
	s_or_b32 exec_lo, exec_lo, s41
	v_and_b32_e32 v36, 0xffff0000, v36
	v_and_b32_e32 v114, 0xffff0000, v114
	s_delay_alu instid0(VALU_DEP_1) | instskip(NEXT) | instid1(VALU_DEP_1)
	v_add_f32_e32 v114, v36, v114
	v_and_b32_e32 v36, 0x7f800000, v114
	s_delay_alu instid0(VALU_DEP_1) | instskip(SKIP_1) | instid1(SALU_CYCLE_1)
	v_cmp_ne_u32_e32 vcc_lo, 0x7f800000, v36
                                        ; implicit-def: $vgpr36
	s_and_saveexec_b32 s41, vcc_lo
	s_xor_b32 s41, exec_lo, s41
; %bb.1916:                             ;   in Loop: Header=BB12_1459 Depth=4
	v_bfe_u32 v36, v114, 16, 1
	s_delay_alu instid0(VALU_DEP_1)
	v_add3_u32 v36, v114, v36, 0x7fff
                                        ; implicit-def: $vgpr114
; %bb.1917:                             ;   in Loop: Header=BB12_1459 Depth=4
	s_and_not1_saveexec_b32 s41, s41
; %bb.1918:                             ;   in Loop: Header=BB12_1459 Depth=4
	v_and_b32_e32 v36, 0xffff, v114
	v_or_b32_e32 v43, 0x10000, v114
	s_delay_alu instid0(VALU_DEP_2) | instskip(NEXT) | instid1(VALU_DEP_2)
	v_cmp_eq_u32_e32 vcc_lo, 0, v36
	v_cndmask_b32_e32 v36, v43, v114, vcc_lo
; %bb.1919:                             ;   in Loop: Header=BB12_1459 Depth=4
	s_or_b32 exec_lo, exec_lo, s41
	v_and_b32_e32 v114, 0xffff0000, v115
	v_lshlrev_b32_e32 v115, 16, v37
	s_delay_alu instid0(VALU_DEP_1) | instskip(NEXT) | instid1(VALU_DEP_1)
	v_add_f32_e32 v115, v115, v114
	v_and_b32_e32 v114, 0x7f800000, v115
	s_delay_alu instid0(VALU_DEP_1) | instskip(SKIP_1) | instid1(SALU_CYCLE_1)
	v_cmp_ne_u32_e32 vcc_lo, 0x7f800000, v114
                                        ; implicit-def: $vgpr114
	s_and_saveexec_b32 s41, vcc_lo
	s_xor_b32 s41, exec_lo, s41
; %bb.1920:                             ;   in Loop: Header=BB12_1459 Depth=4
	v_bfe_u32 v114, v115, 16, 1
	s_delay_alu instid0(VALU_DEP_1)
	v_add3_u32 v114, v115, v114, 0x7fff
                                        ; implicit-def: $vgpr115
; %bb.1921:                             ;   in Loop: Header=BB12_1459 Depth=4
	s_and_not1_saveexec_b32 s41, s41
; %bb.1922:                             ;   in Loop: Header=BB12_1459 Depth=4
	v_and_b32_e32 v114, 0xffff, v115
	v_or_b32_e32 v43, 0x10000, v115
	s_delay_alu instid0(VALU_DEP_2) | instskip(NEXT) | instid1(VALU_DEP_2)
	v_cmp_eq_u32_e32 vcc_lo, 0, v114
	v_cndmask_b32_e32 v114, v43, v115, vcc_lo
; %bb.1923:                             ;   in Loop: Header=BB12_1459 Depth=4
	s_or_b32 exec_lo, exec_lo, s41
	v_and_b32_e32 v37, 0xffff0000, v37
	v_and_b32_e32 v112, 0xffff0000, v112
	s_delay_alu instid0(VALU_DEP_1) | instskip(NEXT) | instid1(VALU_DEP_1)
	v_add_f32_e32 v112, v37, v112
	v_and_b32_e32 v37, 0x7f800000, v112
	s_delay_alu instid0(VALU_DEP_1) | instskip(SKIP_1) | instid1(SALU_CYCLE_1)
	v_cmp_ne_u32_e32 vcc_lo, 0x7f800000, v37
                                        ; implicit-def: $vgpr37
	s_and_saveexec_b32 s41, vcc_lo
	s_xor_b32 s41, exec_lo, s41
; %bb.1924:                             ;   in Loop: Header=BB12_1459 Depth=4
	v_bfe_u32 v37, v112, 16, 1
	s_delay_alu instid0(VALU_DEP_1)
	v_add3_u32 v37, v112, v37, 0x7fff
                                        ; implicit-def: $vgpr112
; %bb.1925:                             ;   in Loop: Header=BB12_1459 Depth=4
	s_and_not1_saveexec_b32 s41, s41
; %bb.1926:                             ;   in Loop: Header=BB12_1459 Depth=4
	v_and_b32_e32 v37, 0xffff, v112
	v_or_b32_e32 v115, 0x10000, v112
	s_delay_alu instid0(VALU_DEP_2) | instskip(NEXT) | instid1(VALU_DEP_2)
	v_cmp_eq_u32_e32 vcc_lo, 0, v37
	v_cndmask_b32_e32 v37, v115, v112, vcc_lo
; %bb.1927:                             ;   in Loop: Header=BB12_1459 Depth=4
	s_or_b32 exec_lo, exec_lo, s41
	v_and_b32_e32 v112, 0xffff0000, v113
	v_lshlrev_b32_e32 v113, 16, v38
	s_delay_alu instid0(VALU_DEP_1) | instskip(NEXT) | instid1(VALU_DEP_1)
	v_add_f32_e32 v113, v113, v112
	v_and_b32_e32 v112, 0x7f800000, v113
	s_delay_alu instid0(VALU_DEP_1) | instskip(SKIP_1) | instid1(SALU_CYCLE_1)
	v_cmp_ne_u32_e32 vcc_lo, 0x7f800000, v112
                                        ; implicit-def: $vgpr112
	s_and_saveexec_b32 s41, vcc_lo
	s_xor_b32 s41, exec_lo, s41
; %bb.1928:                             ;   in Loop: Header=BB12_1459 Depth=4
	v_bfe_u32 v112, v113, 16, 1
	s_delay_alu instid0(VALU_DEP_1)
	v_add3_u32 v112, v113, v112, 0x7fff
                                        ; implicit-def: $vgpr113
; %bb.1929:                             ;   in Loop: Header=BB12_1459 Depth=4
	s_and_not1_saveexec_b32 s41, s41
; %bb.1930:                             ;   in Loop: Header=BB12_1459 Depth=4
	v_and_b32_e32 v112, 0xffff, v113
	v_or_b32_e32 v115, 0x10000, v113
	s_delay_alu instid0(VALU_DEP_2) | instskip(NEXT) | instid1(VALU_DEP_2)
	v_cmp_eq_u32_e32 vcc_lo, 0, v112
	v_cndmask_b32_e32 v112, v115, v113, vcc_lo
; %bb.1931:                             ;   in Loop: Header=BB12_1459 Depth=4
	s_or_b32 exec_lo, exec_lo, s41
	v_and_b32_e32 v38, 0xffff0000, v38
	v_and_b32_e32 v102, 0xffff0000, v102
	s_delay_alu instid0(VALU_DEP_1) | instskip(NEXT) | instid1(VALU_DEP_1)
	v_add_f32_e32 v102, v38, v102
	v_and_b32_e32 v38, 0x7f800000, v102
	s_delay_alu instid0(VALU_DEP_1) | instskip(SKIP_1) | instid1(SALU_CYCLE_1)
	v_cmp_ne_u32_e32 vcc_lo, 0x7f800000, v38
                                        ; implicit-def: $vgpr38
	s_and_saveexec_b32 s41, vcc_lo
	s_xor_b32 s41, exec_lo, s41
; %bb.1932:                             ;   in Loop: Header=BB12_1459 Depth=4
	v_bfe_u32 v38, v102, 16, 1
	s_delay_alu instid0(VALU_DEP_1)
	v_add3_u32 v38, v102, v38, 0x7fff
                                        ; implicit-def: $vgpr102
; %bb.1933:                             ;   in Loop: Header=BB12_1459 Depth=4
	s_and_not1_saveexec_b32 s41, s41
; %bb.1934:                             ;   in Loop: Header=BB12_1459 Depth=4
	v_and_b32_e32 v38, 0xffff, v102
	v_or_b32_e32 v113, 0x10000, v102
	s_delay_alu instid0(VALU_DEP_2) | instskip(NEXT) | instid1(VALU_DEP_2)
	v_cmp_eq_u32_e32 vcc_lo, 0, v38
	v_cndmask_b32_e32 v38, v113, v102, vcc_lo
; %bb.1935:                             ;   in Loop: Header=BB12_1459 Depth=4
	s_or_b32 exec_lo, exec_lo, s41
	v_and_b32_e32 v102, 0xffff0000, v103
	v_lshlrev_b32_e32 v103, 16, v39
	s_delay_alu instid0(VALU_DEP_1) | instskip(NEXT) | instid1(VALU_DEP_1)
	v_add_f32_e32 v103, v103, v102
	v_and_b32_e32 v102, 0x7f800000, v103
	s_delay_alu instid0(VALU_DEP_1) | instskip(SKIP_1) | instid1(SALU_CYCLE_1)
	v_cmp_ne_u32_e32 vcc_lo, 0x7f800000, v102
                                        ; implicit-def: $vgpr102
	s_and_saveexec_b32 s41, vcc_lo
	s_xor_b32 s41, exec_lo, s41
; %bb.1936:                             ;   in Loop: Header=BB12_1459 Depth=4
	v_bfe_u32 v102, v103, 16, 1
	s_delay_alu instid0(VALU_DEP_1)
	v_add3_u32 v102, v103, v102, 0x7fff
                                        ; implicit-def: $vgpr103
; %bb.1937:                             ;   in Loop: Header=BB12_1459 Depth=4
	s_and_not1_saveexec_b32 s41, s41
; %bb.1938:                             ;   in Loop: Header=BB12_1459 Depth=4
	v_and_b32_e32 v102, 0xffff, v103
	v_or_b32_e32 v113, 0x10000, v103
	s_delay_alu instid0(VALU_DEP_2) | instskip(NEXT) | instid1(VALU_DEP_2)
	v_cmp_eq_u32_e32 vcc_lo, 0, v102
	v_cndmask_b32_e32 v102, v113, v103, vcc_lo
; %bb.1939:                             ;   in Loop: Header=BB12_1459 Depth=4
	s_or_b32 exec_lo, exec_lo, s41
	v_and_b32_e32 v39, 0xffff0000, v39
	v_and_b32_e32 v100, 0xffff0000, v100
	s_delay_alu instid0(VALU_DEP_1) | instskip(NEXT) | instid1(VALU_DEP_1)
	v_add_f32_e32 v100, v39, v100
	v_and_b32_e32 v39, 0x7f800000, v100
	s_delay_alu instid0(VALU_DEP_1) | instskip(SKIP_1) | instid1(SALU_CYCLE_1)
	v_cmp_ne_u32_e32 vcc_lo, 0x7f800000, v39
                                        ; implicit-def: $vgpr39
	s_and_saveexec_b32 s41, vcc_lo
	s_xor_b32 s41, exec_lo, s41
; %bb.1940:                             ;   in Loop: Header=BB12_1459 Depth=4
	v_bfe_u32 v39, v100, 16, 1
	s_delay_alu instid0(VALU_DEP_1)
	v_add3_u32 v39, v100, v39, 0x7fff
                                        ; implicit-def: $vgpr100
; %bb.1941:                             ;   in Loop: Header=BB12_1459 Depth=4
	s_and_not1_saveexec_b32 s41, s41
; %bb.1942:                             ;   in Loop: Header=BB12_1459 Depth=4
	v_and_b32_e32 v39, 0xffff, v100
	v_or_b32_e32 v103, 0x10000, v100
	s_delay_alu instid0(VALU_DEP_2) | instskip(NEXT) | instid1(VALU_DEP_2)
	v_cmp_eq_u32_e32 vcc_lo, 0, v39
	v_cndmask_b32_e32 v39, v103, v100, vcc_lo
; %bb.1943:                             ;   in Loop: Header=BB12_1459 Depth=4
	s_or_b32 exec_lo, exec_lo, s41
	v_and_b32_e32 v100, 0xffff0000, v101
	s_wait_loadcnt 0x0
	v_lshlrev_b32_e32 v101, 16, v32
	s_delay_alu instid0(VALU_DEP_1) | instskip(NEXT) | instid1(VALU_DEP_1)
	v_add_f32_e32 v101, v101, v100
	v_and_b32_e32 v100, 0x7f800000, v101
	s_delay_alu instid0(VALU_DEP_1) | instskip(SKIP_1) | instid1(SALU_CYCLE_1)
	v_cmp_ne_u32_e32 vcc_lo, 0x7f800000, v100
                                        ; implicit-def: $vgpr100
	s_and_saveexec_b32 s41, vcc_lo
	s_xor_b32 s41, exec_lo, s41
; %bb.1944:                             ;   in Loop: Header=BB12_1459 Depth=4
	v_bfe_u32 v100, v101, 16, 1
	s_delay_alu instid0(VALU_DEP_1)
	v_add3_u32 v100, v101, v100, 0x7fff
                                        ; implicit-def: $vgpr101
; %bb.1945:                             ;   in Loop: Header=BB12_1459 Depth=4
	s_and_not1_saveexec_b32 s41, s41
; %bb.1946:                             ;   in Loop: Header=BB12_1459 Depth=4
	v_and_b32_e32 v100, 0xffff, v101
	v_or_b32_e32 v103, 0x10000, v101
	s_delay_alu instid0(VALU_DEP_2) | instskip(NEXT) | instid1(VALU_DEP_2)
	v_cmp_eq_u32_e32 vcc_lo, 0, v100
	v_cndmask_b32_e32 v100, v103, v101, vcc_lo
; %bb.1947:                             ;   in Loop: Header=BB12_1459 Depth=4
	s_or_b32 exec_lo, exec_lo, s41
	v_and_b32_e32 v32, 0xffff0000, v32
	v_and_b32_e32 v86, 0xffff0000, v86
	s_delay_alu instid0(VALU_DEP_1) | instskip(NEXT) | instid1(VALU_DEP_1)
	v_add_f32_e32 v86, v32, v86
	v_and_b32_e32 v32, 0x7f800000, v86
	s_delay_alu instid0(VALU_DEP_1) | instskip(SKIP_1) | instid1(SALU_CYCLE_1)
	v_cmp_ne_u32_e32 vcc_lo, 0x7f800000, v32
                                        ; implicit-def: $vgpr32
	s_and_saveexec_b32 s41, vcc_lo
	s_xor_b32 s41, exec_lo, s41
; %bb.1948:                             ;   in Loop: Header=BB12_1459 Depth=4
	v_bfe_u32 v32, v86, 16, 1
	s_delay_alu instid0(VALU_DEP_1)
	v_add3_u32 v32, v86, v32, 0x7fff
                                        ; implicit-def: $vgpr86
; %bb.1949:                             ;   in Loop: Header=BB12_1459 Depth=4
	s_and_not1_saveexec_b32 s41, s41
; %bb.1950:                             ;   in Loop: Header=BB12_1459 Depth=4
	v_and_b32_e32 v32, 0xffff, v86
	v_or_b32_e32 v101, 0x10000, v86
	s_delay_alu instid0(VALU_DEP_2) | instskip(NEXT) | instid1(VALU_DEP_2)
	v_cmp_eq_u32_e32 vcc_lo, 0, v32
	v_cndmask_b32_e32 v32, v101, v86, vcc_lo
; %bb.1951:                             ;   in Loop: Header=BB12_1459 Depth=4
	s_or_b32 exec_lo, exec_lo, s41
	v_and_b32_e32 v86, 0xffff0000, v87
	v_lshlrev_b32_e32 v87, 16, v33
	s_delay_alu instid0(VALU_DEP_1) | instskip(NEXT) | instid1(VALU_DEP_1)
	v_add_f32_e32 v87, v87, v86
	v_and_b32_e32 v86, 0x7f800000, v87
	s_delay_alu instid0(VALU_DEP_1) | instskip(SKIP_1) | instid1(SALU_CYCLE_1)
	v_cmp_ne_u32_e32 vcc_lo, 0x7f800000, v86
                                        ; implicit-def: $vgpr86
	s_and_saveexec_b32 s41, vcc_lo
	s_xor_b32 s41, exec_lo, s41
; %bb.1952:                             ;   in Loop: Header=BB12_1459 Depth=4
	v_bfe_u32 v86, v87, 16, 1
	s_delay_alu instid0(VALU_DEP_1)
	v_add3_u32 v86, v87, v86, 0x7fff
                                        ; implicit-def: $vgpr87
; %bb.1953:                             ;   in Loop: Header=BB12_1459 Depth=4
	s_and_not1_saveexec_b32 s41, s41
; %bb.1954:                             ;   in Loop: Header=BB12_1459 Depth=4
	v_and_b32_e32 v86, 0xffff, v87
	v_or_b32_e32 v101, 0x10000, v87
	s_delay_alu instid0(VALU_DEP_2) | instskip(NEXT) | instid1(VALU_DEP_2)
	v_cmp_eq_u32_e32 vcc_lo, 0, v86
	v_cndmask_b32_e32 v86, v101, v87, vcc_lo
; %bb.1955:                             ;   in Loop: Header=BB12_1459 Depth=4
	s_or_b32 exec_lo, exec_lo, s41
	v_and_b32_e32 v33, 0xffff0000, v33
	v_and_b32_e32 v84, 0xffff0000, v84
	s_delay_alu instid0(VALU_DEP_1) | instskip(NEXT) | instid1(VALU_DEP_1)
	v_add_f32_e32 v84, v33, v84
	v_and_b32_e32 v33, 0x7f800000, v84
	s_delay_alu instid0(VALU_DEP_1) | instskip(SKIP_1) | instid1(SALU_CYCLE_1)
	v_cmp_ne_u32_e32 vcc_lo, 0x7f800000, v33
                                        ; implicit-def: $vgpr33
	s_and_saveexec_b32 s41, vcc_lo
	s_xor_b32 s41, exec_lo, s41
; %bb.1956:                             ;   in Loop: Header=BB12_1459 Depth=4
	v_bfe_u32 v33, v84, 16, 1
	s_delay_alu instid0(VALU_DEP_1)
	v_add3_u32 v33, v84, v33, 0x7fff
                                        ; implicit-def: $vgpr84
; %bb.1957:                             ;   in Loop: Header=BB12_1459 Depth=4
	s_and_not1_saveexec_b32 s41, s41
; %bb.1958:                             ;   in Loop: Header=BB12_1459 Depth=4
	v_and_b32_e32 v33, 0xffff, v84
	v_or_b32_e32 v87, 0x10000, v84
	s_delay_alu instid0(VALU_DEP_2) | instskip(NEXT) | instid1(VALU_DEP_2)
	v_cmp_eq_u32_e32 vcc_lo, 0, v33
	v_cndmask_b32_e32 v33, v87, v84, vcc_lo
; %bb.1959:                             ;   in Loop: Header=BB12_1459 Depth=4
	s_or_b32 exec_lo, exec_lo, s41
	v_and_b32_e32 v84, 0xffff0000, v85
	v_lshlrev_b32_e32 v85, 16, v34
	s_delay_alu instid0(VALU_DEP_1) | instskip(NEXT) | instid1(VALU_DEP_1)
	v_add_f32_e32 v85, v85, v84
	v_and_b32_e32 v84, 0x7f800000, v85
	s_delay_alu instid0(VALU_DEP_1) | instskip(SKIP_1) | instid1(SALU_CYCLE_1)
	v_cmp_ne_u32_e32 vcc_lo, 0x7f800000, v84
                                        ; implicit-def: $vgpr84
	s_and_saveexec_b32 s41, vcc_lo
	s_xor_b32 s41, exec_lo, s41
; %bb.1960:                             ;   in Loop: Header=BB12_1459 Depth=4
	v_bfe_u32 v84, v85, 16, 1
	s_delay_alu instid0(VALU_DEP_1)
	v_add3_u32 v84, v85, v84, 0x7fff
                                        ; implicit-def: $vgpr85
; %bb.1961:                             ;   in Loop: Header=BB12_1459 Depth=4
	s_and_not1_saveexec_b32 s41, s41
; %bb.1962:                             ;   in Loop: Header=BB12_1459 Depth=4
	v_and_b32_e32 v84, 0xffff, v85
	v_or_b32_e32 v87, 0x10000, v85
	s_delay_alu instid0(VALU_DEP_2) | instskip(NEXT) | instid1(VALU_DEP_2)
	v_cmp_eq_u32_e32 vcc_lo, 0, v84
	v_cndmask_b32_e32 v84, v87, v85, vcc_lo
; %bb.1963:                             ;   in Loop: Header=BB12_1459 Depth=4
	s_or_b32 exec_lo, exec_lo, s41
	v_and_b32_e32 v34, 0xffff0000, v34
	v_and_b32_e32 v81, 0xffff0000, v81
	s_delay_alu instid0(VALU_DEP_1) | instskip(NEXT) | instid1(VALU_DEP_1)
	v_add_f32_e32 v81, v34, v81
	v_and_b32_e32 v34, 0x7f800000, v81
	s_delay_alu instid0(VALU_DEP_1) | instskip(SKIP_1) | instid1(SALU_CYCLE_1)
	v_cmp_ne_u32_e32 vcc_lo, 0x7f800000, v34
                                        ; implicit-def: $vgpr34
	s_and_saveexec_b32 s41, vcc_lo
	s_xor_b32 s41, exec_lo, s41
; %bb.1964:                             ;   in Loop: Header=BB12_1459 Depth=4
	v_bfe_u32 v34, v81, 16, 1
	s_delay_alu instid0(VALU_DEP_1)
	v_add3_u32 v34, v81, v34, 0x7fff
                                        ; implicit-def: $vgpr81
; %bb.1965:                             ;   in Loop: Header=BB12_1459 Depth=4
	s_and_not1_saveexec_b32 s41, s41
; %bb.1966:                             ;   in Loop: Header=BB12_1459 Depth=4
	v_and_b32_e32 v34, 0xffff, v81
	v_or_b32_e32 v85, 0x10000, v81
	s_delay_alu instid0(VALU_DEP_2) | instskip(NEXT) | instid1(VALU_DEP_2)
	v_cmp_eq_u32_e32 vcc_lo, 0, v34
	v_cndmask_b32_e32 v34, v85, v81, vcc_lo
; %bb.1967:                             ;   in Loop: Header=BB12_1459 Depth=4
	s_or_b32 exec_lo, exec_lo, s41
	v_and_b32_e32 v81, 0xffff0000, v82
	v_lshlrev_b32_e32 v82, 16, v35
	s_delay_alu instid0(VALU_DEP_1) | instskip(NEXT) | instid1(VALU_DEP_1)
	v_add_f32_e32 v82, v82, v81
	v_and_b32_e32 v81, 0x7f800000, v82
	s_delay_alu instid0(VALU_DEP_1) | instskip(SKIP_1) | instid1(SALU_CYCLE_1)
	v_cmp_ne_u32_e32 vcc_lo, 0x7f800000, v81
                                        ; implicit-def: $vgpr81
	s_and_saveexec_b32 s41, vcc_lo
	s_xor_b32 s41, exec_lo, s41
; %bb.1968:                             ;   in Loop: Header=BB12_1459 Depth=4
	v_bfe_u32 v81, v82, 16, 1
	s_delay_alu instid0(VALU_DEP_1)
	v_add3_u32 v81, v82, v81, 0x7fff
                                        ; implicit-def: $vgpr82
; %bb.1969:                             ;   in Loop: Header=BB12_1459 Depth=4
	s_and_not1_saveexec_b32 s41, s41
; %bb.1970:                             ;   in Loop: Header=BB12_1459 Depth=4
	v_and_b32_e32 v81, 0xffff, v82
	v_or_b32_e32 v85, 0x10000, v82
	s_delay_alu instid0(VALU_DEP_2) | instskip(NEXT) | instid1(VALU_DEP_2)
	v_cmp_eq_u32_e32 vcc_lo, 0, v81
	v_cndmask_b32_e32 v81, v85, v82, vcc_lo
; %bb.1971:                             ;   in Loop: Header=BB12_1459 Depth=4
	s_or_b32 exec_lo, exec_lo, s41
	v_and_b32_e32 v35, 0xffff0000, v35
	v_and_b32_e32 v80, 0xffff0000, v80
	s_delay_alu instid0(VALU_DEP_1) | instskip(NEXT) | instid1(VALU_DEP_1)
	v_add_f32_e32 v80, v35, v80
	v_and_b32_e32 v35, 0x7f800000, v80
	s_delay_alu instid0(VALU_DEP_1) | instskip(SKIP_1) | instid1(SALU_CYCLE_1)
	v_cmp_ne_u32_e32 vcc_lo, 0x7f800000, v35
                                        ; implicit-def: $vgpr35
	s_and_saveexec_b32 s41, vcc_lo
	s_xor_b32 s41, exec_lo, s41
; %bb.1972:                             ;   in Loop: Header=BB12_1459 Depth=4
	v_bfe_u32 v35, v80, 16, 1
	s_delay_alu instid0(VALU_DEP_1)
	v_add3_u32 v35, v80, v35, 0x7fff
                                        ; implicit-def: $vgpr80
; %bb.1973:                             ;   in Loop: Header=BB12_1459 Depth=4
	s_and_not1_saveexec_b32 s41, s41
	s_cbranch_execz .LBB12_1458
; %bb.1974:                             ;   in Loop: Header=BB12_1459 Depth=4
	v_and_b32_e32 v35, 0xffff, v80
	v_or_b32_e32 v82, 0x10000, v80
	s_delay_alu instid0(VALU_DEP_2) | instskip(NEXT) | instid1(VALU_DEP_2)
	v_cmp_eq_u32_e32 vcc_lo, 0, v35
	v_cndmask_b32_e32 v35, v82, v80, vcc_lo
	s_branch .LBB12_1458
.LBB12_1975:                            ;   in Loop: Header=BB12_1375 Depth=3
	scratch_load_b32 v0, off, s33 offset:356 ; 4-byte Folded Reload
	s_wait_loadcnt 0x1
	scratch_load_b32 v19, off, s33 offset:328 ; 4-byte Folded Reload
	s_wait_xcnt 0x0
	s_and_saveexec_b32 s15, s77
	s_cbranch_execnz .LBB12_2447
	s_branch .LBB12_2878
.LBB12_1976:                            ;   in Loop: Header=BB12_1375 Depth=3
	s_or_b32 exec_lo, exec_lo, s14
	s_delay_alu instid0(SALU_CYCLE_1)
	s_and_b32 s14, s15, exec_lo
.LBB12_1977:                            ;   in Loop: Header=BB12_1375 Depth=3
	s_or_b32 exec_lo, exec_lo, s13
	s_and_saveexec_b32 s13, s14
	s_cbranch_execz .LBB12_2235
; %bb.1978:                             ;   in Loop: Header=BB12_1375 Depth=3
	s_trap 2
	ds_load_b32 v0, v0
	s_mov_b32 s14, exec_lo
	s_wait_dscnt 0x0
	v_lshlrev_b32_e32 v33, 16, v0
	s_delay_alu instid0(VALU_DEP_1) | instskip(NEXT) | instid1(VALU_DEP_1)
	v_dual_lshlrev_b32 v32, 16, v96 :: v_dual_mov_b32 v0, v33
	v_pk_mul_f32 v[34:35], v[0:1], v[32:33]
                                        ; implicit-def: $vgpr1
	s_delay_alu instid0(VALU_DEP_1) | instskip(NEXT) | instid1(VALU_DEP_1)
	v_and_b32_e32 v0, 0x7f800000, v34
	v_cmpx_ne_u32_e32 0x7f800000, v0
	s_xor_b32 s14, exec_lo, s14
; %bb.1979:                             ;   in Loop: Header=BB12_1375 Depth=3
	v_bfe_u32 v0, v34, 16, 1
	s_delay_alu instid0(VALU_DEP_1)
	v_add3_u32 v1, v34, v0, 0x7fff
                                        ; implicit-def: $vgpr34_vgpr35
; %bb.1980:                             ;   in Loop: Header=BB12_1375 Depth=3
	s_and_not1_saveexec_b32 s14, s14
; %bb.1981:                             ;   in Loop: Header=BB12_1375 Depth=3
	v_and_b32_e32 v0, 0xffff, v34
	v_or_b32_e32 v1, 0x10000, v34
	s_delay_alu instid0(VALU_DEP_2) | instskip(NEXT) | instid1(VALU_DEP_2)
	v_cmp_eq_u32_e32 vcc_lo, 0, v0
	v_cndmask_b32_e32 v1, v1, v34, vcc_lo
; %bb.1982:                             ;   in Loop: Header=BB12_1375 Depth=3
	s_or_b32 exec_lo, exec_lo, s14
	v_and_b32_e32 v0, 0xffff0000, v96
	s_mov_b32 s14, exec_lo
                                        ; implicit-def: $vgpr84
	s_delay_alu instid0(VALU_DEP_1) | instskip(NEXT) | instid1(VALU_DEP_1)
	v_mul_f32_e32 v0, v33, v0
	v_and_b32_e32 v6, 0x7f800000, v0
	s_delay_alu instid0(VALU_DEP_1)
	v_cmpx_ne_u32_e32 0x7f800000, v6
	s_xor_b32 s14, exec_lo, s14
; %bb.1983:                             ;   in Loop: Header=BB12_1375 Depth=3
	v_bfe_u32 v6, v0, 16, 1
	s_delay_alu instid0(VALU_DEP_1)
	v_add3_u32 v84, v0, v6, 0x7fff
                                        ; implicit-def: $vgpr0
; %bb.1984:                             ;   in Loop: Header=BB12_1375 Depth=3
	s_and_not1_saveexec_b32 s14, s14
; %bb.1985:                             ;   in Loop: Header=BB12_1375 Depth=3
	v_and_b32_e32 v6, 0xffff, v0
	v_or_b32_e32 v7, 0x10000, v0
	s_delay_alu instid0(VALU_DEP_2) | instskip(NEXT) | instid1(VALU_DEP_2)
	v_cmp_eq_u32_e32 vcc_lo, 0, v6
	v_cndmask_b32_e32 v84, v7, v0, vcc_lo
; %bb.1986:                             ;   in Loop: Header=BB12_1375 Depth=3
	s_or_b32 exec_lo, exec_lo, s14
	v_lshlrev_b32_e32 v0, 16, v97
	s_mov_b32 s14, exec_lo
                                        ; implicit-def: $vgpr85
	s_delay_alu instid0(VALU_DEP_1) | instskip(NEXT) | instid1(VALU_DEP_1)
	v_mul_f32_e32 v0, v33, v0
	v_and_b32_e32 v6, 0x7f800000, v0
	s_delay_alu instid0(VALU_DEP_1)
	v_cmpx_ne_u32_e32 0x7f800000, v6
	s_xor_b32 s14, exec_lo, s14
; %bb.1987:                             ;   in Loop: Header=BB12_1375 Depth=3
	v_bfe_u32 v6, v0, 16, 1
	s_delay_alu instid0(VALU_DEP_1)
	v_add3_u32 v85, v0, v6, 0x7fff
                                        ; implicit-def: $vgpr0
; %bb.1988:                             ;   in Loop: Header=BB12_1375 Depth=3
	s_and_not1_saveexec_b32 s14, s14
; %bb.1989:                             ;   in Loop: Header=BB12_1375 Depth=3
	v_and_b32_e32 v6, 0xffff, v0
	v_or_b32_e32 v7, 0x10000, v0
	s_delay_alu instid0(VALU_DEP_2) | instskip(NEXT) | instid1(VALU_DEP_2)
	v_cmp_eq_u32_e32 vcc_lo, 0, v6
	v_cndmask_b32_e32 v85, v7, v0, vcc_lo
; %bb.1990:                             ;   in Loop: Header=BB12_1375 Depth=3
	s_or_b32 exec_lo, exec_lo, s14
	v_and_b32_e32 v0, 0xffff0000, v97
	s_delay_alu instid0(VALU_DEP_1) | instskip(NEXT) | instid1(VALU_DEP_1)
	v_mul_f32_e32 v6, v33, v0
	v_and_b32_e32 v0, 0x7f800000, v6
	s_delay_alu instid0(VALU_DEP_1) | instskip(SKIP_1) | instid1(SALU_CYCLE_1)
	v_cmp_ne_u32_e32 vcc_lo, 0x7f800000, v0
                                        ; implicit-def: $vgpr0
	s_and_saveexec_b32 s14, vcc_lo
	s_xor_b32 s14, exec_lo, s14
; %bb.1991:                             ;   in Loop: Header=BB12_1375 Depth=3
	v_bfe_u32 v0, v6, 16, 1
	s_delay_alu instid0(VALU_DEP_1)
	v_add3_u32 v0, v6, v0, 0x7fff
                                        ; implicit-def: $vgpr6
; %bb.1992:                             ;   in Loop: Header=BB12_1375 Depth=3
	s_and_not1_saveexec_b32 s14, s14
; %bb.1993:                             ;   in Loop: Header=BB12_1375 Depth=3
	v_and_b32_e32 v0, 0xffff, v6
	v_or_b32_e32 v7, 0x10000, v6
	s_delay_alu instid0(VALU_DEP_2) | instskip(NEXT) | instid1(VALU_DEP_2)
	v_cmp_eq_u32_e32 vcc_lo, 0, v0
	v_cndmask_b32_e32 v0, v7, v6, vcc_lo
; %bb.1994:                             ;   in Loop: Header=BB12_1375 Depth=3
	s_or_b32 exec_lo, exec_lo, s14
	v_lshlrev_b32_e32 v6, 16, v98
	s_mov_b32 s14, exec_lo
                                        ; implicit-def: $vgpr83
	s_delay_alu instid0(VALU_DEP_1) | instskip(NEXT) | instid1(VALU_DEP_1)
	v_mul_f32_e32 v6, v33, v6
	v_and_b32_e32 v7, 0x7f800000, v6
	s_delay_alu instid0(VALU_DEP_1)
	v_cmpx_ne_u32_e32 0x7f800000, v7
	s_xor_b32 s14, exec_lo, s14
; %bb.1995:                             ;   in Loop: Header=BB12_1375 Depth=3
	v_bfe_u32 v7, v6, 16, 1
	s_delay_alu instid0(VALU_DEP_1)
	v_add3_u32 v83, v6, v7, 0x7fff
                                        ; implicit-def: $vgpr6
; %bb.1996:                             ;   in Loop: Header=BB12_1375 Depth=3
	s_and_not1_saveexec_b32 s14, s14
; %bb.1997:                             ;   in Loop: Header=BB12_1375 Depth=3
	v_and_b32_e32 v7, 0xffff, v6
	v_or_b32_e32 v30, 0x10000, v6
	s_delay_alu instid0(VALU_DEP_2) | instskip(NEXT) | instid1(VALU_DEP_2)
	v_cmp_eq_u32_e32 vcc_lo, 0, v7
	v_cndmask_b32_e32 v83, v30, v6, vcc_lo
; %bb.1998:                             ;   in Loop: Header=BB12_1375 Depth=3
	s_or_b32 exec_lo, exec_lo, s14
	v_and_b32_e32 v6, 0xffff0000, v98
	s_mov_b32 s14, exec_lo
                                        ; implicit-def: $vgpr81
	s_delay_alu instid0(VALU_DEP_1) | instskip(NEXT) | instid1(VALU_DEP_1)
	v_mul_f32_e32 v6, v33, v6
	v_and_b32_e32 v7, 0x7f800000, v6
	s_delay_alu instid0(VALU_DEP_1)
	v_cmpx_ne_u32_e32 0x7f800000, v7
	s_xor_b32 s14, exec_lo, s14
; %bb.1999:                             ;   in Loop: Header=BB12_1375 Depth=3
	v_bfe_u32 v7, v6, 16, 1
	s_delay_alu instid0(VALU_DEP_1)
	v_add3_u32 v81, v6, v7, 0x7fff
                                        ; implicit-def: $vgpr6
; %bb.2000:                             ;   in Loop: Header=BB12_1375 Depth=3
	s_and_not1_saveexec_b32 s14, s14
; %bb.2001:                             ;   in Loop: Header=BB12_1375 Depth=3
	v_and_b32_e32 v7, 0xffff, v6
	v_or_b32_e32 v30, 0x10000, v6
	s_delay_alu instid0(VALU_DEP_2) | instskip(NEXT) | instid1(VALU_DEP_2)
	v_cmp_eq_u32_e32 vcc_lo, 0, v7
	v_cndmask_b32_e32 v81, v30, v6, vcc_lo
; %bb.2002:                             ;   in Loop: Header=BB12_1375 Depth=3
	s_or_b32 exec_lo, exec_lo, s14
	v_lshlrev_b32_e32 v6, 16, v99
	s_mov_b32 s14, exec_lo
                                        ; implicit-def: $vgpr82
	s_delay_alu instid0(VALU_DEP_1) | instskip(NEXT) | instid1(VALU_DEP_1)
	v_mul_f32_e32 v6, v33, v6
	v_and_b32_e32 v7, 0x7f800000, v6
	s_delay_alu instid0(VALU_DEP_1)
	v_cmpx_ne_u32_e32 0x7f800000, v7
	s_xor_b32 s14, exec_lo, s14
; %bb.2003:                             ;   in Loop: Header=BB12_1375 Depth=3
	v_bfe_u32 v7, v6, 16, 1
	s_delay_alu instid0(VALU_DEP_1)
	v_add3_u32 v82, v6, v7, 0x7fff
                                        ; implicit-def: $vgpr6
; %bb.2004:                             ;   in Loop: Header=BB12_1375 Depth=3
	s_and_not1_saveexec_b32 s14, s14
; %bb.2005:                             ;   in Loop: Header=BB12_1375 Depth=3
	v_and_b32_e32 v7, 0xffff, v6
	v_or_b32_e32 v30, 0x10000, v6
	s_delay_alu instid0(VALU_DEP_2) | instskip(NEXT) | instid1(VALU_DEP_2)
	v_cmp_eq_u32_e32 vcc_lo, 0, v7
	v_cndmask_b32_e32 v82, v30, v6, vcc_lo
; %bb.2006:                             ;   in Loop: Header=BB12_1375 Depth=3
	s_or_b32 exec_lo, exec_lo, s14
	v_and_b32_e32 v6, 0xffff0000, v99
	s_delay_alu instid0(VALU_DEP_1) | instskip(NEXT) | instid1(VALU_DEP_1)
	v_mul_f32_e32 v7, v33, v6
	v_and_b32_e32 v6, 0x7f800000, v7
	s_delay_alu instid0(VALU_DEP_1) | instskip(SKIP_1) | instid1(SALU_CYCLE_1)
	v_cmp_ne_u32_e32 vcc_lo, 0x7f800000, v6
                                        ; implicit-def: $vgpr6
	s_and_saveexec_b32 s14, vcc_lo
	s_xor_b32 s14, exec_lo, s14
; %bb.2007:                             ;   in Loop: Header=BB12_1375 Depth=3
	v_bfe_u32 v6, v7, 16, 1
	s_delay_alu instid0(VALU_DEP_1)
	v_add3_u32 v6, v7, v6, 0x7fff
                                        ; implicit-def: $vgpr7
; %bb.2008:                             ;   in Loop: Header=BB12_1375 Depth=3
	s_and_not1_saveexec_b32 s14, s14
; %bb.2009:                             ;   in Loop: Header=BB12_1375 Depth=3
	v_and_b32_e32 v6, 0xffff, v7
	v_or_b32_e32 v30, 0x10000, v7
	s_delay_alu instid0(VALU_DEP_2) | instskip(NEXT) | instid1(VALU_DEP_2)
	v_cmp_eq_u32_e32 vcc_lo, 0, v6
	v_cndmask_b32_e32 v6, v30, v7, vcc_lo
; %bb.2010:                             ;   in Loop: Header=BB12_1375 Depth=3
	s_or_b32 exec_lo, exec_lo, s14
	v_lshlrev_b32_e32 v7, 16, v68
	s_delay_alu instid0(VALU_DEP_1) | instskip(NEXT) | instid1(VALU_DEP_1)
	v_mul_f32_e32 v30, v33, v7
	v_and_b32_e32 v7, 0x7f800000, v30
	s_delay_alu instid0(VALU_DEP_1) | instskip(SKIP_1) | instid1(SALU_CYCLE_1)
	v_cmp_ne_u32_e32 vcc_lo, 0x7f800000, v7
                                        ; implicit-def: $vgpr7
	s_and_saveexec_b32 s14, vcc_lo
	s_xor_b32 s14, exec_lo, s14
; %bb.2011:                             ;   in Loop: Header=BB12_1375 Depth=3
	v_bfe_u32 v7, v30, 16, 1
	s_delay_alu instid0(VALU_DEP_1)
	v_add3_u32 v7, v30, v7, 0x7fff
                                        ; implicit-def: $vgpr30
; %bb.2012:                             ;   in Loop: Header=BB12_1375 Depth=3
	s_and_not1_saveexec_b32 s14, s14
; %bb.2013:                             ;   in Loop: Header=BB12_1375 Depth=3
	v_and_b32_e32 v7, 0xffff, v30
	v_or_b32_e32 v32, 0x10000, v30
	s_delay_alu instid0(VALU_DEP_2) | instskip(NEXT) | instid1(VALU_DEP_2)
	v_cmp_eq_u32_e32 vcc_lo, 0, v7
	v_cndmask_b32_e32 v7, v32, v30, vcc_lo
; %bb.2014:                             ;   in Loop: Header=BB12_1375 Depth=3
	s_or_b32 exec_lo, exec_lo, s14
	v_and_b32_e32 v30, 0xffff0000, v68
	s_mov_b32 s14, exec_lo
                                        ; implicit-def: $vgpr68
	s_delay_alu instid0(VALU_DEP_1) | instskip(NEXT) | instid1(VALU_DEP_1)
	v_mul_f32_e32 v30, v33, v30
	v_and_b32_e32 v32, 0x7f800000, v30
	s_delay_alu instid0(VALU_DEP_1)
	v_cmpx_ne_u32_e32 0x7f800000, v32
	s_xor_b32 s14, exec_lo, s14
; %bb.2015:                             ;   in Loop: Header=BB12_1375 Depth=3
	v_bfe_u32 v32, v30, 16, 1
	s_delay_alu instid0(VALU_DEP_1)
	v_add3_u32 v68, v30, v32, 0x7fff
                                        ; implicit-def: $vgpr30
; %bb.2016:                             ;   in Loop: Header=BB12_1375 Depth=3
	s_and_not1_saveexec_b32 s14, s14
; %bb.2017:                             ;   in Loop: Header=BB12_1375 Depth=3
	v_and_b32_e32 v32, 0xffff, v30
	v_or_b32_e32 v34, 0x10000, v30
	s_delay_alu instid0(VALU_DEP_2) | instskip(NEXT) | instid1(VALU_DEP_2)
	v_cmp_eq_u32_e32 vcc_lo, 0, v32
	v_cndmask_b32_e32 v68, v34, v30, vcc_lo
; %bb.2018:                             ;   in Loop: Header=BB12_1375 Depth=3
	s_or_b32 exec_lo, exec_lo, s14
	v_lshlrev_b32_e32 v30, 16, v69
	s_mov_b32 s14, exec_lo
                                        ; implicit-def: $vgpr80
	s_delay_alu instid0(VALU_DEP_1) | instskip(NEXT) | instid1(VALU_DEP_1)
	v_mul_f32_e32 v30, v33, v30
	v_and_b32_e32 v32, 0x7f800000, v30
	s_delay_alu instid0(VALU_DEP_1)
	v_cmpx_ne_u32_e32 0x7f800000, v32
	s_xor_b32 s14, exec_lo, s14
; %bb.2019:                             ;   in Loop: Header=BB12_1375 Depth=3
	v_bfe_u32 v32, v30, 16, 1
	s_delay_alu instid0(VALU_DEP_1)
	v_add3_u32 v80, v30, v32, 0x7fff
                                        ; implicit-def: $vgpr30
; %bb.2020:                             ;   in Loop: Header=BB12_1375 Depth=3
	s_and_not1_saveexec_b32 s14, s14
; %bb.2021:                             ;   in Loop: Header=BB12_1375 Depth=3
	v_and_b32_e32 v32, 0xffff, v30
	v_or_b32_e32 v34, 0x10000, v30
	s_delay_alu instid0(VALU_DEP_2) | instskip(NEXT) | instid1(VALU_DEP_2)
	v_cmp_eq_u32_e32 vcc_lo, 0, v32
	v_cndmask_b32_e32 v80, v34, v30, vcc_lo
; %bb.2022:                             ;   in Loop: Header=BB12_1375 Depth=3
	s_or_b32 exec_lo, exec_lo, s14
	v_and_b32_e32 v30, 0xffff0000, v69
	s_mov_b32 s14, exec_lo
                                        ; implicit-def: $vgpr66
	s_delay_alu instid0(VALU_DEP_1) | instskip(NEXT) | instid1(VALU_DEP_1)
	v_mul_f32_e32 v30, v33, v30
	v_and_b32_e32 v32, 0x7f800000, v30
	s_delay_alu instid0(VALU_DEP_1)
	v_cmpx_ne_u32_e32 0x7f800000, v32
	s_xor_b32 s14, exec_lo, s14
; %bb.2023:                             ;   in Loop: Header=BB12_1375 Depth=3
	v_bfe_u32 v32, v30, 16, 1
	s_delay_alu instid0(VALU_DEP_1)
	v_add3_u32 v66, v30, v32, 0x7fff
                                        ; implicit-def: $vgpr30
; %bb.2024:                             ;   in Loop: Header=BB12_1375 Depth=3
	s_and_not1_saveexec_b32 s14, s14
; %bb.2025:                             ;   in Loop: Header=BB12_1375 Depth=3
	v_and_b32_e32 v32, 0xffff, v30
	v_or_b32_e32 v34, 0x10000, v30
	s_delay_alu instid0(VALU_DEP_2) | instskip(NEXT) | instid1(VALU_DEP_2)
	v_cmp_eq_u32_e32 vcc_lo, 0, v32
	v_cndmask_b32_e32 v66, v34, v30, vcc_lo
; %bb.2026:                             ;   in Loop: Header=BB12_1375 Depth=3
	s_or_b32 exec_lo, exec_lo, s14
	v_lshlrev_b32_e32 v30, 16, v70
	s_mov_b32 s14, exec_lo
                                        ; implicit-def: $vgpr67
	s_delay_alu instid0(VALU_DEP_1) | instskip(NEXT) | instid1(VALU_DEP_1)
	v_mul_f32_e32 v30, v33, v30
	v_and_b32_e32 v32, 0x7f800000, v30
	s_delay_alu instid0(VALU_DEP_1)
	v_cmpx_ne_u32_e32 0x7f800000, v32
	s_xor_b32 s14, exec_lo, s14
; %bb.2027:                             ;   in Loop: Header=BB12_1375 Depth=3
	v_bfe_u32 v32, v30, 16, 1
	s_delay_alu instid0(VALU_DEP_1)
	v_add3_u32 v67, v30, v32, 0x7fff
                                        ; implicit-def: $vgpr30
; %bb.2028:                             ;   in Loop: Header=BB12_1375 Depth=3
	s_and_not1_saveexec_b32 s14, s14
; %bb.2029:                             ;   in Loop: Header=BB12_1375 Depth=3
	v_and_b32_e32 v32, 0xffff, v30
	v_or_b32_e32 v34, 0x10000, v30
	s_delay_alu instid0(VALU_DEP_2) | instskip(NEXT) | instid1(VALU_DEP_2)
	v_cmp_eq_u32_e32 vcc_lo, 0, v32
	v_cndmask_b32_e32 v67, v34, v30, vcc_lo
; %bb.2030:                             ;   in Loop: Header=BB12_1375 Depth=3
	s_or_b32 exec_lo, exec_lo, s14
	v_and_b32_e32 v30, 0xffff0000, v70
	s_mov_b32 s14, exec_lo
                                        ; implicit-def: $vgpr64
	s_delay_alu instid0(VALU_DEP_1) | instskip(NEXT) | instid1(VALU_DEP_1)
	v_mul_f32_e32 v30, v33, v30
	v_and_b32_e32 v32, 0x7f800000, v30
	s_delay_alu instid0(VALU_DEP_1)
	v_cmpx_ne_u32_e32 0x7f800000, v32
	s_xor_b32 s14, exec_lo, s14
; %bb.2031:                             ;   in Loop: Header=BB12_1375 Depth=3
	v_bfe_u32 v32, v30, 16, 1
	s_delay_alu instid0(VALU_DEP_1)
	v_add3_u32 v64, v30, v32, 0x7fff
                                        ; implicit-def: $vgpr30
; %bb.2032:                             ;   in Loop: Header=BB12_1375 Depth=3
	s_and_not1_saveexec_b32 s14, s14
; %bb.2033:                             ;   in Loop: Header=BB12_1375 Depth=3
	v_and_b32_e32 v32, 0xffff, v30
	v_or_b32_e32 v34, 0x10000, v30
	s_delay_alu instid0(VALU_DEP_2) | instskip(NEXT) | instid1(VALU_DEP_2)
	v_cmp_eq_u32_e32 vcc_lo, 0, v32
	v_cndmask_b32_e32 v64, v34, v30, vcc_lo
; %bb.2034:                             ;   in Loop: Header=BB12_1375 Depth=3
	s_or_b32 exec_lo, exec_lo, s14
	v_lshlrev_b32_e32 v30, 16, v71
	s_mov_b32 s14, exec_lo
                                        ; implicit-def: $vgpr65
	s_delay_alu instid0(VALU_DEP_1) | instskip(NEXT) | instid1(VALU_DEP_1)
	v_mul_f32_e32 v30, v33, v30
	v_and_b32_e32 v32, 0x7f800000, v30
	s_delay_alu instid0(VALU_DEP_1)
	v_cmpx_ne_u32_e32 0x7f800000, v32
	s_xor_b32 s14, exec_lo, s14
; %bb.2035:                             ;   in Loop: Header=BB12_1375 Depth=3
	v_bfe_u32 v32, v30, 16, 1
	s_delay_alu instid0(VALU_DEP_1)
	v_add3_u32 v65, v30, v32, 0x7fff
                                        ; implicit-def: $vgpr30
; %bb.2036:                             ;   in Loop: Header=BB12_1375 Depth=3
	s_and_not1_saveexec_b32 s14, s14
; %bb.2037:                             ;   in Loop: Header=BB12_1375 Depth=3
	v_and_b32_e32 v32, 0xffff, v30
	v_or_b32_e32 v34, 0x10000, v30
	s_delay_alu instid0(VALU_DEP_2) | instskip(NEXT) | instid1(VALU_DEP_2)
	v_cmp_eq_u32_e32 vcc_lo, 0, v32
	v_cndmask_b32_e32 v65, v34, v30, vcc_lo
; %bb.2038:                             ;   in Loop: Header=BB12_1375 Depth=3
	s_or_b32 exec_lo, exec_lo, s14
	v_and_b32_e32 v30, 0xffff0000, v71
	s_mov_b32 s14, exec_lo
                                        ; implicit-def: $vgpr54
	s_delay_alu instid0(VALU_DEP_1) | instskip(NEXT) | instid1(VALU_DEP_1)
	v_mul_f32_e32 v30, v33, v30
	v_and_b32_e32 v32, 0x7f800000, v30
	s_delay_alu instid0(VALU_DEP_1)
	v_cmpx_ne_u32_e32 0x7f800000, v32
	s_xor_b32 s14, exec_lo, s14
; %bb.2039:                             ;   in Loop: Header=BB12_1375 Depth=3
	v_bfe_u32 v32, v30, 16, 1
	s_delay_alu instid0(VALU_DEP_1)
	v_add3_u32 v54, v30, v32, 0x7fff
                                        ; implicit-def: $vgpr30
; %bb.2040:                             ;   in Loop: Header=BB12_1375 Depth=3
	s_and_not1_saveexec_b32 s14, s14
; %bb.2041:                             ;   in Loop: Header=BB12_1375 Depth=3
	v_and_b32_e32 v32, 0xffff, v30
	v_or_b32_e32 v34, 0x10000, v30
	s_delay_alu instid0(VALU_DEP_2) | instskip(NEXT) | instid1(VALU_DEP_2)
	v_cmp_eq_u32_e32 vcc_lo, 0, v32
	v_cndmask_b32_e32 v54, v34, v30, vcc_lo
; %bb.2042:                             ;   in Loop: Header=BB12_1375 Depth=3
	s_or_b32 exec_lo, exec_lo, s14
	v_lshlrev_b32_e32 v30, 16, v48
	s_mov_b32 s14, exec_lo
                                        ; implicit-def: $vgpr55
	s_delay_alu instid0(VALU_DEP_1) | instskip(NEXT) | instid1(VALU_DEP_1)
	v_mul_f32_e32 v30, v33, v30
	v_and_b32_e32 v32, 0x7f800000, v30
	s_delay_alu instid0(VALU_DEP_1)
	v_cmpx_ne_u32_e32 0x7f800000, v32
	s_xor_b32 s14, exec_lo, s14
; %bb.2043:                             ;   in Loop: Header=BB12_1375 Depth=3
	v_bfe_u32 v32, v30, 16, 1
	s_delay_alu instid0(VALU_DEP_1)
	v_add3_u32 v55, v30, v32, 0x7fff
                                        ; implicit-def: $vgpr30
; %bb.2044:                             ;   in Loop: Header=BB12_1375 Depth=3
	s_and_not1_saveexec_b32 s14, s14
; %bb.2045:                             ;   in Loop: Header=BB12_1375 Depth=3
	v_and_b32_e32 v32, 0xffff, v30
	v_or_b32_e32 v34, 0x10000, v30
	s_delay_alu instid0(VALU_DEP_2) | instskip(NEXT) | instid1(VALU_DEP_2)
	v_cmp_eq_u32_e32 vcc_lo, 0, v32
	v_cndmask_b32_e32 v55, v34, v30, vcc_lo
; %bb.2046:                             ;   in Loop: Header=BB12_1375 Depth=3
	s_or_b32 exec_lo, exec_lo, s14
	v_and_b32_e32 v30, 0xffff0000, v48
	s_mov_b32 s14, exec_lo
                                        ; implicit-def: $vgpr52
	s_delay_alu instid0(VALU_DEP_1) | instskip(NEXT) | instid1(VALU_DEP_1)
	v_mul_f32_e32 v30, v33, v30
	v_and_b32_e32 v32, 0x7f800000, v30
	s_delay_alu instid0(VALU_DEP_1)
	v_cmpx_ne_u32_e32 0x7f800000, v32
	s_xor_b32 s14, exec_lo, s14
; %bb.2047:                             ;   in Loop: Header=BB12_1375 Depth=3
	v_bfe_u32 v32, v30, 16, 1
	s_delay_alu instid0(VALU_DEP_1)
	v_add3_u32 v52, v30, v32, 0x7fff
                                        ; implicit-def: $vgpr30
; %bb.2048:                             ;   in Loop: Header=BB12_1375 Depth=3
	s_and_not1_saveexec_b32 s14, s14
; %bb.2049:                             ;   in Loop: Header=BB12_1375 Depth=3
	v_and_b32_e32 v32, 0xffff, v30
	v_or_b32_e32 v34, 0x10000, v30
	s_delay_alu instid0(VALU_DEP_2) | instskip(NEXT) | instid1(VALU_DEP_2)
	v_cmp_eq_u32_e32 vcc_lo, 0, v32
	v_cndmask_b32_e32 v52, v34, v30, vcc_lo
; %bb.2050:                             ;   in Loop: Header=BB12_1375 Depth=3
	s_or_b32 exec_lo, exec_lo, s14
	v_lshlrev_b32_e32 v30, 16, v49
	s_mov_b32 s14, exec_lo
                                        ; implicit-def: $vgpr53
	s_delay_alu instid0(VALU_DEP_1) | instskip(NEXT) | instid1(VALU_DEP_1)
	v_mul_f32_e32 v30, v33, v30
	v_and_b32_e32 v32, 0x7f800000, v30
	s_delay_alu instid0(VALU_DEP_1)
	v_cmpx_ne_u32_e32 0x7f800000, v32
	s_xor_b32 s14, exec_lo, s14
; %bb.2051:                             ;   in Loop: Header=BB12_1375 Depth=3
	v_bfe_u32 v32, v30, 16, 1
	s_delay_alu instid0(VALU_DEP_1)
	v_add3_u32 v53, v30, v32, 0x7fff
                                        ; implicit-def: $vgpr30
; %bb.2052:                             ;   in Loop: Header=BB12_1375 Depth=3
	s_and_not1_saveexec_b32 s14, s14
; %bb.2053:                             ;   in Loop: Header=BB12_1375 Depth=3
	v_and_b32_e32 v32, 0xffff, v30
	v_or_b32_e32 v34, 0x10000, v30
	s_delay_alu instid0(VALU_DEP_2) | instskip(NEXT) | instid1(VALU_DEP_2)
	v_cmp_eq_u32_e32 vcc_lo, 0, v32
	v_cndmask_b32_e32 v53, v34, v30, vcc_lo
; %bb.2054:                             ;   in Loop: Header=BB12_1375 Depth=3
	s_or_b32 exec_lo, exec_lo, s14
	v_and_b32_e32 v30, 0xffff0000, v49
	s_mov_b32 s14, exec_lo
                                        ; implicit-def: $vgpr48
	s_delay_alu instid0(VALU_DEP_1) | instskip(NEXT) | instid1(VALU_DEP_1)
	v_mul_f32_e32 v30, v33, v30
	v_and_b32_e32 v32, 0x7f800000, v30
	s_delay_alu instid0(VALU_DEP_1)
	v_cmpx_ne_u32_e32 0x7f800000, v32
	s_xor_b32 s14, exec_lo, s14
; %bb.2055:                             ;   in Loop: Header=BB12_1375 Depth=3
	v_bfe_u32 v32, v30, 16, 1
	s_delay_alu instid0(VALU_DEP_1)
	v_add3_u32 v48, v30, v32, 0x7fff
                                        ; implicit-def: $vgpr30
; %bb.2056:                             ;   in Loop: Header=BB12_1375 Depth=3
	s_and_not1_saveexec_b32 s14, s14
; %bb.2057:                             ;   in Loop: Header=BB12_1375 Depth=3
	v_and_b32_e32 v32, 0xffff, v30
	v_or_b32_e32 v34, 0x10000, v30
	s_delay_alu instid0(VALU_DEP_2) | instskip(NEXT) | instid1(VALU_DEP_2)
	v_cmp_eq_u32_e32 vcc_lo, 0, v32
	v_cndmask_b32_e32 v48, v34, v30, vcc_lo
; %bb.2058:                             ;   in Loop: Header=BB12_1375 Depth=3
	s_or_b32 exec_lo, exec_lo, s14
	v_lshlrev_b32_e32 v30, 16, v50
	s_mov_b32 s14, exec_lo
                                        ; implicit-def: $vgpr49
	s_delay_alu instid0(VALU_DEP_1) | instskip(NEXT) | instid1(VALU_DEP_1)
	v_mul_f32_e32 v30, v33, v30
	v_and_b32_e32 v32, 0x7f800000, v30
	s_delay_alu instid0(VALU_DEP_1)
	v_cmpx_ne_u32_e32 0x7f800000, v32
	s_xor_b32 s14, exec_lo, s14
; %bb.2059:                             ;   in Loop: Header=BB12_1375 Depth=3
	v_bfe_u32 v32, v30, 16, 1
	s_delay_alu instid0(VALU_DEP_1)
	v_add3_u32 v49, v30, v32, 0x7fff
                                        ; implicit-def: $vgpr30
; %bb.2060:                             ;   in Loop: Header=BB12_1375 Depth=3
	s_and_not1_saveexec_b32 s14, s14
; %bb.2061:                             ;   in Loop: Header=BB12_1375 Depth=3
	v_and_b32_e32 v32, 0xffff, v30
	v_or_b32_e32 v34, 0x10000, v30
	s_delay_alu instid0(VALU_DEP_2) | instskip(NEXT) | instid1(VALU_DEP_2)
	v_cmp_eq_u32_e32 vcc_lo, 0, v32
	v_cndmask_b32_e32 v49, v34, v30, vcc_lo
; %bb.2062:                             ;   in Loop: Header=BB12_1375 Depth=3
	s_or_b32 exec_lo, exec_lo, s14
	v_and_b32_e32 v30, 0xffff0000, v50
	s_mov_b32 s14, exec_lo
                                        ; implicit-def: $vgpr38
	s_delay_alu instid0(VALU_DEP_1) | instskip(NEXT) | instid1(VALU_DEP_1)
	v_mul_f32_e32 v30, v33, v30
	v_and_b32_e32 v32, 0x7f800000, v30
	s_delay_alu instid0(VALU_DEP_1)
	v_cmpx_ne_u32_e32 0x7f800000, v32
	s_xor_b32 s14, exec_lo, s14
; %bb.2063:                             ;   in Loop: Header=BB12_1375 Depth=3
	v_bfe_u32 v32, v30, 16, 1
	s_delay_alu instid0(VALU_DEP_1)
	v_add3_u32 v38, v30, v32, 0x7fff
                                        ; implicit-def: $vgpr30
; %bb.2064:                             ;   in Loop: Header=BB12_1375 Depth=3
	s_and_not1_saveexec_b32 s14, s14
; %bb.2065:                             ;   in Loop: Header=BB12_1375 Depth=3
	v_and_b32_e32 v32, 0xffff, v30
	v_or_b32_e32 v34, 0x10000, v30
	s_delay_alu instid0(VALU_DEP_2) | instskip(NEXT) | instid1(VALU_DEP_2)
	v_cmp_eq_u32_e32 vcc_lo, 0, v32
	v_cndmask_b32_e32 v38, v34, v30, vcc_lo
; %bb.2066:                             ;   in Loop: Header=BB12_1375 Depth=3
	s_or_b32 exec_lo, exec_lo, s14
	v_lshlrev_b32_e32 v30, 16, v51
	s_mov_b32 s14, exec_lo
                                        ; implicit-def: $vgpr39
	s_delay_alu instid0(VALU_DEP_1) | instskip(NEXT) | instid1(VALU_DEP_1)
	v_mul_f32_e32 v30, v33, v30
	v_and_b32_e32 v32, 0x7f800000, v30
	s_delay_alu instid0(VALU_DEP_1)
	v_cmpx_ne_u32_e32 0x7f800000, v32
	s_xor_b32 s14, exec_lo, s14
; %bb.2067:                             ;   in Loop: Header=BB12_1375 Depth=3
	v_bfe_u32 v32, v30, 16, 1
	s_delay_alu instid0(VALU_DEP_1)
	v_add3_u32 v39, v30, v32, 0x7fff
                                        ; implicit-def: $vgpr30
; %bb.2068:                             ;   in Loop: Header=BB12_1375 Depth=3
	s_and_not1_saveexec_b32 s14, s14
; %bb.2069:                             ;   in Loop: Header=BB12_1375 Depth=3
	v_and_b32_e32 v32, 0xffff, v30
	v_or_b32_e32 v34, 0x10000, v30
	s_delay_alu instid0(VALU_DEP_2) | instskip(NEXT) | instid1(VALU_DEP_2)
	v_cmp_eq_u32_e32 vcc_lo, 0, v32
	v_cndmask_b32_e32 v39, v34, v30, vcc_lo
; %bb.2070:                             ;   in Loop: Header=BB12_1375 Depth=3
	s_or_b32 exec_lo, exec_lo, s14
	v_and_b32_e32 v30, 0xffff0000, v51
	s_mov_b32 s14, exec_lo
                                        ; implicit-def: $vgpr36
	s_delay_alu instid0(VALU_DEP_1) | instskip(NEXT) | instid1(VALU_DEP_1)
	v_mul_f32_e32 v30, v33, v30
	v_and_b32_e32 v32, 0x7f800000, v30
	s_delay_alu instid0(VALU_DEP_1)
	v_cmpx_ne_u32_e32 0x7f800000, v32
	s_xor_b32 s14, exec_lo, s14
; %bb.2071:                             ;   in Loop: Header=BB12_1375 Depth=3
	v_bfe_u32 v32, v30, 16, 1
	s_delay_alu instid0(VALU_DEP_1)
	v_add3_u32 v36, v30, v32, 0x7fff
                                        ; implicit-def: $vgpr30
; %bb.2072:                             ;   in Loop: Header=BB12_1375 Depth=3
	s_and_not1_saveexec_b32 s14, s14
; %bb.2073:                             ;   in Loop: Header=BB12_1375 Depth=3
	v_and_b32_e32 v32, 0xffff, v30
	v_or_b32_e32 v34, 0x10000, v30
	s_delay_alu instid0(VALU_DEP_2) | instskip(NEXT) | instid1(VALU_DEP_2)
	v_cmp_eq_u32_e32 vcc_lo, 0, v32
	v_cndmask_b32_e32 v36, v34, v30, vcc_lo
; %bb.2074:                             ;   in Loop: Header=BB12_1375 Depth=3
	s_or_b32 exec_lo, exec_lo, s14
	v_lshlrev_b32_e32 v30, 16, v24
	s_mov_b32 s14, exec_lo
                                        ; implicit-def: $vgpr37
	s_delay_alu instid0(VALU_DEP_1) | instskip(NEXT) | instid1(VALU_DEP_1)
	v_mul_f32_e32 v30, v33, v30
	v_and_b32_e32 v32, 0x7f800000, v30
	s_delay_alu instid0(VALU_DEP_1)
	v_cmpx_ne_u32_e32 0x7f800000, v32
	s_xor_b32 s14, exec_lo, s14
; %bb.2075:                             ;   in Loop: Header=BB12_1375 Depth=3
	v_bfe_u32 v32, v30, 16, 1
	s_delay_alu instid0(VALU_DEP_1)
	v_add3_u32 v37, v30, v32, 0x7fff
                                        ; implicit-def: $vgpr30
; %bb.2076:                             ;   in Loop: Header=BB12_1375 Depth=3
	s_and_not1_saveexec_b32 s14, s14
; %bb.2077:                             ;   in Loop: Header=BB12_1375 Depth=3
	v_and_b32_e32 v32, 0xffff, v30
	v_or_b32_e32 v34, 0x10000, v30
	s_delay_alu instid0(VALU_DEP_2) | instskip(NEXT) | instid1(VALU_DEP_2)
	v_cmp_eq_u32_e32 vcc_lo, 0, v32
	v_cndmask_b32_e32 v37, v34, v30, vcc_lo
; %bb.2078:                             ;   in Loop: Header=BB12_1375 Depth=3
	s_or_b32 exec_lo, exec_lo, s14
	v_and_b32_e32 v24, 0xffff0000, v24
	s_mov_b32 s14, exec_lo
                                        ; implicit-def: $vgpr34
	s_delay_alu instid0(VALU_DEP_1) | instskip(NEXT) | instid1(VALU_DEP_1)
	v_mul_f32_e32 v24, v33, v24
	v_and_b32_e32 v30, 0x7f800000, v24
	s_delay_alu instid0(VALU_DEP_1)
	v_cmpx_ne_u32_e32 0x7f800000, v30
	s_xor_b32 s14, exec_lo, s14
; %bb.2079:                             ;   in Loop: Header=BB12_1375 Depth=3
	v_bfe_u32 v30, v24, 16, 1
	s_delay_alu instid0(VALU_DEP_1)
	v_add3_u32 v34, v24, v30, 0x7fff
                                        ; implicit-def: $vgpr24
; %bb.2080:                             ;   in Loop: Header=BB12_1375 Depth=3
	s_and_not1_saveexec_b32 s14, s14
; %bb.2081:                             ;   in Loop: Header=BB12_1375 Depth=3
	v_and_b32_e32 v30, 0xffff, v24
	v_or_b32_e32 v32, 0x10000, v24
	s_delay_alu instid0(VALU_DEP_2) | instskip(NEXT) | instid1(VALU_DEP_2)
	v_cmp_eq_u32_e32 vcc_lo, 0, v30
	v_cndmask_b32_e32 v34, v32, v24, vcc_lo
; %bb.2082:                             ;   in Loop: Header=BB12_1375 Depth=3
	s_or_b32 exec_lo, exec_lo, s14
	v_lshlrev_b32_e32 v24, 16, v25
	s_mov_b32 s14, exec_lo
                                        ; implicit-def: $vgpr35
	s_delay_alu instid0(VALU_DEP_1) | instskip(NEXT) | instid1(VALU_DEP_1)
	v_mul_f32_e32 v24, v33, v24
	v_and_b32_e32 v30, 0x7f800000, v24
	s_delay_alu instid0(VALU_DEP_1)
	v_cmpx_ne_u32_e32 0x7f800000, v30
	s_xor_b32 s14, exec_lo, s14
; %bb.2083:                             ;   in Loop: Header=BB12_1375 Depth=3
	v_bfe_u32 v30, v24, 16, 1
	s_delay_alu instid0(VALU_DEP_1)
	v_add3_u32 v35, v24, v30, 0x7fff
                                        ; implicit-def: $vgpr24
; %bb.2084:                             ;   in Loop: Header=BB12_1375 Depth=3
	s_and_not1_saveexec_b32 s14, s14
; %bb.2085:                             ;   in Loop: Header=BB12_1375 Depth=3
	v_and_b32_e32 v30, 0xffff, v24
	v_or_b32_e32 v32, 0x10000, v24
	s_delay_alu instid0(VALU_DEP_2) | instskip(NEXT) | instid1(VALU_DEP_2)
	v_cmp_eq_u32_e32 vcc_lo, 0, v30
	v_cndmask_b32_e32 v35, v32, v24, vcc_lo
; %bb.2086:                             ;   in Loop: Header=BB12_1375 Depth=3
	s_or_b32 exec_lo, exec_lo, s14
	v_and_b32_e32 v24, 0xffff0000, v25
	s_mov_b32 s14, exec_lo
                                        ; implicit-def: $vgpr30
	s_delay_alu instid0(VALU_DEP_1) | instskip(NEXT) | instid1(VALU_DEP_1)
	v_mul_f32_e32 v24, v33, v24
	v_and_b32_e32 v25, 0x7f800000, v24
	s_delay_alu instid0(VALU_DEP_1)
	v_cmpx_ne_u32_e32 0x7f800000, v25
	s_xor_b32 s14, exec_lo, s14
; %bb.2087:                             ;   in Loop: Header=BB12_1375 Depth=3
	v_bfe_u32 v25, v24, 16, 1
	s_delay_alu instid0(VALU_DEP_1)
	v_add3_u32 v30, v24, v25, 0x7fff
                                        ; implicit-def: $vgpr24
; %bb.2088:                             ;   in Loop: Header=BB12_1375 Depth=3
	s_and_not1_saveexec_b32 s14, s14
; %bb.2089:                             ;   in Loop: Header=BB12_1375 Depth=3
	v_and_b32_e32 v25, 0xffff, v24
	v_or_b32_e32 v30, 0x10000, v24
	s_delay_alu instid0(VALU_DEP_2) | instskip(NEXT) | instid1(VALU_DEP_2)
	v_cmp_eq_u32_e32 vcc_lo, 0, v25
	v_cndmask_b32_e32 v30, v30, v24, vcc_lo
; %bb.2090:                             ;   in Loop: Header=BB12_1375 Depth=3
	s_or_b32 exec_lo, exec_lo, s14
	v_lshlrev_b32_e32 v24, 16, v26
	s_mov_b32 s14, exec_lo
                                        ; implicit-def: $vgpr32
	s_delay_alu instid0(VALU_DEP_1) | instskip(NEXT) | instid1(VALU_DEP_1)
	v_mul_f32_e32 v24, v33, v24
	v_and_b32_e32 v25, 0x7f800000, v24
	s_delay_alu instid0(VALU_DEP_1)
	v_cmpx_ne_u32_e32 0x7f800000, v25
	s_xor_b32 s14, exec_lo, s14
; %bb.2091:                             ;   in Loop: Header=BB12_1375 Depth=3
	v_bfe_u32 v25, v24, 16, 1
	s_delay_alu instid0(VALU_DEP_1)
	v_add3_u32 v32, v24, v25, 0x7fff
                                        ; implicit-def: $vgpr24
; %bb.2092:                             ;   in Loop: Header=BB12_1375 Depth=3
	s_and_not1_saveexec_b32 s14, s14
; %bb.2093:                             ;   in Loop: Header=BB12_1375 Depth=3
	v_and_b32_e32 v25, 0xffff, v24
	v_or_b32_e32 v32, 0x10000, v24
	s_delay_alu instid0(VALU_DEP_2) | instskip(NEXT) | instid1(VALU_DEP_2)
	v_cmp_eq_u32_e32 vcc_lo, 0, v25
	v_cndmask_b32_e32 v32, v32, v24, vcc_lo
; %bb.2094:                             ;   in Loop: Header=BB12_1375 Depth=3
	s_or_b32 exec_lo, exec_lo, s14
	v_and_b32_e32 v24, 0xffff0000, v26
	s_delay_alu instid0(VALU_DEP_1) | instskip(NEXT) | instid1(VALU_DEP_1)
	v_mul_f32_e32 v24, v33, v24
	v_and_b32_e32 v25, 0x7f800000, v24
	s_delay_alu instid0(VALU_DEP_1) | instskip(SKIP_1) | instid1(SALU_CYCLE_1)
	v_cmp_ne_u32_e32 vcc_lo, 0x7f800000, v25
                                        ; implicit-def: $vgpr25
	s_and_saveexec_b32 s14, vcc_lo
	s_xor_b32 s14, exec_lo, s14
; %bb.2095:                             ;   in Loop: Header=BB12_1375 Depth=3
	v_bfe_u32 v25, v24, 16, 1
	s_delay_alu instid0(VALU_DEP_1)
	v_add3_u32 v25, v24, v25, 0x7fff
                                        ; implicit-def: $vgpr24
; %bb.2096:                             ;   in Loop: Header=BB12_1375 Depth=3
	s_and_not1_saveexec_b32 s14, s14
; %bb.2097:                             ;   in Loop: Header=BB12_1375 Depth=3
	v_and_b32_e32 v25, 0xffff, v24
	v_or_b32_e32 v26, 0x10000, v24
	s_delay_alu instid0(VALU_DEP_2) | instskip(NEXT) | instid1(VALU_DEP_2)
	v_cmp_eq_u32_e32 vcc_lo, 0, v25
	v_cndmask_b32_e32 v25, v26, v24, vcc_lo
; %bb.2098:                             ;   in Loop: Header=BB12_1375 Depth=3
	s_or_b32 exec_lo, exec_lo, s14
	v_lshlrev_b32_e32 v24, 16, v27
	s_delay_alu instid0(VALU_DEP_1) | instskip(NEXT) | instid1(VALU_DEP_1)
	v_mul_f32_e32 v24, v33, v24
	v_and_b32_e32 v26, 0x7f800000, v24
	s_delay_alu instid0(VALU_DEP_1) | instskip(SKIP_1) | instid1(SALU_CYCLE_1)
	v_cmp_ne_u32_e32 vcc_lo, 0x7f800000, v26
                                        ; implicit-def: $vgpr26
	s_and_saveexec_b32 s14, vcc_lo
	s_xor_b32 s14, exec_lo, s14
; %bb.2099:                             ;   in Loop: Header=BB12_1375 Depth=3
	v_bfe_u32 v26, v24, 16, 1
	s_delay_alu instid0(VALU_DEP_1)
	v_add3_u32 v26, v24, v26, 0x7fff
                                        ; implicit-def: $vgpr24
; %bb.2100:                             ;   in Loop: Header=BB12_1375 Depth=3
	s_and_not1_saveexec_b32 s14, s14
; %bb.2101:                             ;   in Loop: Header=BB12_1375 Depth=3
	v_and_b32_e32 v26, 0xffff, v24
	v_or_b32_e32 v50, 0x10000, v24
	s_delay_alu instid0(VALU_DEP_2) | instskip(NEXT) | instid1(VALU_DEP_2)
	v_cmp_eq_u32_e32 vcc_lo, 0, v26
	v_cndmask_b32_e32 v26, v50, v24, vcc_lo
; %bb.2102:                             ;   in Loop: Header=BB12_1375 Depth=3
	s_or_b32 exec_lo, exec_lo, s14
	v_and_b32_e32 v24, 0xffff0000, v27
	s_delay_alu instid0(VALU_DEP_1) | instskip(NEXT) | instid1(VALU_DEP_1)
	v_mul_f32_e32 v27, v33, v24
	v_and_b32_e32 v24, 0x7f800000, v27
	s_delay_alu instid0(VALU_DEP_1) | instskip(SKIP_1) | instid1(SALU_CYCLE_1)
	v_cmp_ne_u32_e32 vcc_lo, 0x7f800000, v24
                                        ; implicit-def: $vgpr24
	s_and_saveexec_b32 s14, vcc_lo
	s_xor_b32 s14, exec_lo, s14
; %bb.2103:                             ;   in Loop: Header=BB12_1375 Depth=3
	v_bfe_u32 v24, v27, 16, 1
	s_delay_alu instid0(VALU_DEP_1)
	v_add3_u32 v24, v27, v24, 0x7fff
                                        ; implicit-def: $vgpr27
; %bb.2104:                             ;   in Loop: Header=BB12_1375 Depth=3
	s_and_not1_saveexec_b32 s14, s14
; %bb.2105:                             ;   in Loop: Header=BB12_1375 Depth=3
	v_and_b32_e32 v24, 0xffff, v27
	v_or_b32_e32 v33, 0x10000, v27
	s_delay_alu instid0(VALU_DEP_2) | instskip(NEXT) | instid1(VALU_DEP_2)
	v_cmp_eq_u32_e32 vcc_lo, 0, v24
	v_cndmask_b32_e32 v24, v33, v27, vcc_lo
; %bb.2106:                             ;   in Loop: Header=BB12_1375 Depth=3
	s_or_b32 exec_lo, exec_lo, s14
	v_and_b32_e32 v1, 0xffff0000, v1
	v_lshlrev_b32_e32 v27, 16, v20
	s_delay_alu instid0(VALU_DEP_1) | instskip(NEXT) | instid1(VALU_DEP_1)
	v_add_f32_e32 v27, v27, v1
	v_and_b32_e32 v1, 0x7f800000, v27
	s_delay_alu instid0(VALU_DEP_1) | instskip(SKIP_1) | instid1(SALU_CYCLE_1)
	v_cmp_ne_u32_e32 vcc_lo, 0x7f800000, v1
                                        ; implicit-def: $vgpr1
	s_and_saveexec_b32 s14, vcc_lo
	s_xor_b32 s14, exec_lo, s14
; %bb.2107:                             ;   in Loop: Header=BB12_1375 Depth=3
	v_bfe_u32 v1, v27, 16, 1
	s_delay_alu instid0(VALU_DEP_1)
	v_add3_u32 v1, v27, v1, 0x7fff
                                        ; implicit-def: $vgpr27
; %bb.2108:                             ;   in Loop: Header=BB12_1375 Depth=3
	s_and_not1_saveexec_b32 s14, s14
; %bb.2109:                             ;   in Loop: Header=BB12_1375 Depth=3
	v_and_b32_e32 v1, 0xffff, v27
	v_or_b32_e32 v33, 0x10000, v27
	s_delay_alu instid0(VALU_DEP_2) | instskip(NEXT) | instid1(VALU_DEP_2)
	v_cmp_eq_u32_e32 vcc_lo, 0, v1
	v_cndmask_b32_e32 v1, v33, v27, vcc_lo
; %bb.2110:                             ;   in Loop: Header=BB12_1375 Depth=3
	s_or_b32 exec_lo, exec_lo, s14
	v_and_b32_e32 v20, 0xffff0000, v20
	v_and_b32_e32 v27, 0xffff0000, v84
	s_delay_alu instid0(VALU_DEP_1) | instskip(NEXT) | instid1(VALU_DEP_1)
	v_add_f32_e32 v27, v20, v27
	v_and_b32_e32 v20, 0x7f800000, v27
	s_delay_alu instid0(VALU_DEP_1) | instskip(SKIP_1) | instid1(SALU_CYCLE_1)
	v_cmp_ne_u32_e32 vcc_lo, 0x7f800000, v20
                                        ; implicit-def: $vgpr20
	s_and_saveexec_b32 s14, vcc_lo
	s_xor_b32 s14, exec_lo, s14
; %bb.2111:                             ;   in Loop: Header=BB12_1375 Depth=3
	v_bfe_u32 v20, v27, 16, 1
	s_delay_alu instid0(VALU_DEP_1)
	v_add3_u32 v20, v27, v20, 0x7fff
                                        ; implicit-def: $vgpr27
; %bb.2112:                             ;   in Loop: Header=BB12_1375 Depth=3
	s_and_not1_saveexec_b32 s14, s14
; %bb.2113:                             ;   in Loop: Header=BB12_1375 Depth=3
	v_and_b32_e32 v20, 0xffff, v27
	v_or_b32_e32 v33, 0x10000, v27
	s_delay_alu instid0(VALU_DEP_2) | instskip(NEXT) | instid1(VALU_DEP_2)
	v_cmp_eq_u32_e32 vcc_lo, 0, v20
	v_cndmask_b32_e32 v20, v33, v27, vcc_lo
; %bb.2114:                             ;   in Loop: Header=BB12_1375 Depth=3
	s_or_b32 exec_lo, exec_lo, s14
	v_and_b32_e32 v27, 0xffff0000, v85
	v_lshlrev_b32_e32 v33, 16, v21
	s_delay_alu instid0(VALU_DEP_1) | instskip(NEXT) | instid1(VALU_DEP_1)
	v_add_f32_e32 v33, v33, v27
	v_and_b32_e32 v27, 0x7f800000, v33
	s_delay_alu instid0(VALU_DEP_1) | instskip(SKIP_1) | instid1(SALU_CYCLE_1)
	v_cmp_ne_u32_e32 vcc_lo, 0x7f800000, v27
                                        ; implicit-def: $vgpr27
	s_and_saveexec_b32 s14, vcc_lo
	s_xor_b32 s14, exec_lo, s14
; %bb.2115:                             ;   in Loop: Header=BB12_1375 Depth=3
	v_bfe_u32 v27, v33, 16, 1
	s_delay_alu instid0(VALU_DEP_1)
	v_add3_u32 v27, v33, v27, 0x7fff
                                        ; implicit-def: $vgpr33
; %bb.2116:                             ;   in Loop: Header=BB12_1375 Depth=3
	s_and_not1_saveexec_b32 s14, s14
; %bb.2117:                             ;   in Loop: Header=BB12_1375 Depth=3
	v_and_b32_e32 v27, 0xffff, v33
	v_or_b32_e32 v50, 0x10000, v33
	s_delay_alu instid0(VALU_DEP_2) | instskip(NEXT) | instid1(VALU_DEP_2)
	v_cmp_eq_u32_e32 vcc_lo, 0, v27
	v_cndmask_b32_e32 v27, v50, v33, vcc_lo
; %bb.2118:                             ;   in Loop: Header=BB12_1375 Depth=3
	s_or_b32 exec_lo, exec_lo, s14
	v_and_b32_e32 v21, 0xffff0000, v21
	v_and_b32_e32 v0, 0xffff0000, v0
	s_delay_alu instid0(VALU_DEP_1) | instskip(NEXT) | instid1(VALU_DEP_1)
	v_add_f32_e32 v21, v21, v0
	v_and_b32_e32 v0, 0x7f800000, v21
	s_delay_alu instid0(VALU_DEP_1) | instskip(SKIP_1) | instid1(SALU_CYCLE_1)
	v_cmp_ne_u32_e32 vcc_lo, 0x7f800000, v0
                                        ; implicit-def: $vgpr0
	s_and_saveexec_b32 s14, vcc_lo
	s_xor_b32 s14, exec_lo, s14
; %bb.2119:                             ;   in Loop: Header=BB12_1375 Depth=3
	v_bfe_u32 v0, v21, 16, 1
	s_delay_alu instid0(VALU_DEP_1)
	v_add3_u32 v0, v21, v0, 0x7fff
                                        ; implicit-def: $vgpr21
; %bb.2120:                             ;   in Loop: Header=BB12_1375 Depth=3
	s_and_not1_saveexec_b32 s14, s14
; %bb.2121:                             ;   in Loop: Header=BB12_1375 Depth=3
	v_and_b32_e32 v0, 0xffff, v21
	v_or_b32_e32 v33, 0x10000, v21
	s_delay_alu instid0(VALU_DEP_2) | instskip(NEXT) | instid1(VALU_DEP_2)
	v_cmp_eq_u32_e32 vcc_lo, 0, v0
	v_cndmask_b32_e32 v0, v33, v21, vcc_lo
; %bb.2122:                             ;   in Loop: Header=BB12_1375 Depth=3
	s_or_b32 exec_lo, exec_lo, s14
	v_and_b32_e32 v21, 0xffff0000, v83
	v_lshlrev_b32_e32 v33, 16, v22
	s_delay_alu instid0(VALU_DEP_1) | instskip(NEXT) | instid1(VALU_DEP_1)
	v_add_f32_e32 v33, v33, v21
	v_and_b32_e32 v21, 0x7f800000, v33
	s_delay_alu instid0(VALU_DEP_1) | instskip(SKIP_1) | instid1(SALU_CYCLE_1)
	v_cmp_ne_u32_e32 vcc_lo, 0x7f800000, v21
                                        ; implicit-def: $vgpr21
	s_and_saveexec_b32 s14, vcc_lo
	s_xor_b32 s14, exec_lo, s14
; %bb.2123:                             ;   in Loop: Header=BB12_1375 Depth=3
	v_bfe_u32 v21, v33, 16, 1
	s_delay_alu instid0(VALU_DEP_1)
	v_add3_u32 v21, v33, v21, 0x7fff
                                        ; implicit-def: $vgpr33
; %bb.2124:                             ;   in Loop: Header=BB12_1375 Depth=3
	s_and_not1_saveexec_b32 s14, s14
; %bb.2125:                             ;   in Loop: Header=BB12_1375 Depth=3
	v_and_b32_e32 v21, 0xffff, v33
	v_or_b32_e32 v50, 0x10000, v33
	s_delay_alu instid0(VALU_DEP_2) | instskip(NEXT) | instid1(VALU_DEP_2)
	v_cmp_eq_u32_e32 vcc_lo, 0, v21
	v_cndmask_b32_e32 v21, v50, v33, vcc_lo
; %bb.2126:                             ;   in Loop: Header=BB12_1375 Depth=3
	s_or_b32 exec_lo, exec_lo, s14
	v_and_b32_e32 v22, 0xffff0000, v22
	v_and_b32_e32 v33, 0xffff0000, v81
	s_delay_alu instid0(VALU_DEP_1) | instskip(NEXT) | instid1(VALU_DEP_1)
	v_add_f32_e32 v33, v22, v33
	v_and_b32_e32 v22, 0x7f800000, v33
	s_delay_alu instid0(VALU_DEP_1) | instskip(SKIP_1) | instid1(SALU_CYCLE_1)
	v_cmp_ne_u32_e32 vcc_lo, 0x7f800000, v22
                                        ; implicit-def: $vgpr22
	s_and_saveexec_b32 s14, vcc_lo
	s_xor_b32 s14, exec_lo, s14
; %bb.2127:                             ;   in Loop: Header=BB12_1375 Depth=3
	v_bfe_u32 v22, v33, 16, 1
	s_delay_alu instid0(VALU_DEP_1)
	v_add3_u32 v22, v33, v22, 0x7fff
                                        ; implicit-def: $vgpr33
; %bb.2128:                             ;   in Loop: Header=BB12_1375 Depth=3
	s_and_not1_saveexec_b32 s14, s14
; %bb.2129:                             ;   in Loop: Header=BB12_1375 Depth=3
	v_and_b32_e32 v22, 0xffff, v33
	v_or_b32_e32 v50, 0x10000, v33
	s_delay_alu instid0(VALU_DEP_2) | instskip(NEXT) | instid1(VALU_DEP_2)
	v_cmp_eq_u32_e32 vcc_lo, 0, v22
	v_cndmask_b32_e32 v22, v50, v33, vcc_lo
; %bb.2130:                             ;   in Loop: Header=BB12_1375 Depth=3
	s_or_b32 exec_lo, exec_lo, s14
	v_and_b32_e32 v33, 0xffff0000, v82
	v_lshlrev_b32_e32 v50, 16, v23
	s_delay_alu instid0(VALU_DEP_1) | instskip(NEXT) | instid1(VALU_DEP_1)
	v_add_f32_e32 v50, v50, v33
	v_and_b32_e32 v33, 0x7f800000, v50
	s_delay_alu instid0(VALU_DEP_1) | instskip(SKIP_1) | instid1(SALU_CYCLE_1)
	v_cmp_ne_u32_e32 vcc_lo, 0x7f800000, v33
                                        ; implicit-def: $vgpr33
	s_and_saveexec_b32 s14, vcc_lo
	s_xor_b32 s14, exec_lo, s14
; %bb.2131:                             ;   in Loop: Header=BB12_1375 Depth=3
	v_bfe_u32 v33, v50, 16, 1
	s_delay_alu instid0(VALU_DEP_1)
	v_add3_u32 v33, v50, v33, 0x7fff
                                        ; implicit-def: $vgpr50
; %bb.2132:                             ;   in Loop: Header=BB12_1375 Depth=3
	s_and_not1_saveexec_b32 s14, s14
; %bb.2133:                             ;   in Loop: Header=BB12_1375 Depth=3
	v_and_b32_e32 v33, 0xffff, v50
	v_or_b32_e32 v51, 0x10000, v50
	s_delay_alu instid0(VALU_DEP_2) | instskip(NEXT) | instid1(VALU_DEP_2)
	v_cmp_eq_u32_e32 vcc_lo, 0, v33
	v_cndmask_b32_e32 v33, v51, v50, vcc_lo
; %bb.2134:                             ;   in Loop: Header=BB12_1375 Depth=3
	s_or_b32 exec_lo, exec_lo, s14
	v_and_b32_e32 v23, 0xffff0000, v23
	v_and_b32_e32 v6, 0xffff0000, v6
	s_delay_alu instid0(VALU_DEP_1) | instskip(NEXT) | instid1(VALU_DEP_1)
	v_add_f32_e32 v23, v23, v6
	v_and_b32_e32 v6, 0x7f800000, v23
	s_delay_alu instid0(VALU_DEP_1) | instskip(SKIP_1) | instid1(SALU_CYCLE_1)
	v_cmp_ne_u32_e32 vcc_lo, 0x7f800000, v6
                                        ; implicit-def: $vgpr6
	s_and_saveexec_b32 s14, vcc_lo
	s_xor_b32 s14, exec_lo, s14
; %bb.2135:                             ;   in Loop: Header=BB12_1375 Depth=3
	v_bfe_u32 v6, v23, 16, 1
	s_delay_alu instid0(VALU_DEP_1)
	v_add3_u32 v6, v23, v6, 0x7fff
                                        ; implicit-def: $vgpr23
; %bb.2136:                             ;   in Loop: Header=BB12_1375 Depth=3
	s_and_not1_saveexec_b32 s14, s14
; %bb.2137:                             ;   in Loop: Header=BB12_1375 Depth=3
	v_and_b32_e32 v6, 0xffff, v23
	v_or_b32_e32 v50, 0x10000, v23
	s_delay_alu instid0(VALU_DEP_2) | instskip(NEXT) | instid1(VALU_DEP_2)
	v_cmp_eq_u32_e32 vcc_lo, 0, v6
	v_cndmask_b32_e32 v6, v50, v23, vcc_lo
; %bb.2138:                             ;   in Loop: Header=BB12_1375 Depth=3
	s_or_b32 exec_lo, exec_lo, s14
	v_and_b32_e32 v7, 0xffff0000, v7
	v_lshlrev_b32_e32 v23, 16, v16
	s_delay_alu instid0(VALU_DEP_1) | instskip(NEXT) | instid1(VALU_DEP_1)
	v_add_f32_e32 v23, v23, v7
	v_and_b32_e32 v7, 0x7f800000, v23
	s_delay_alu instid0(VALU_DEP_1) | instskip(SKIP_1) | instid1(SALU_CYCLE_1)
	v_cmp_ne_u32_e32 vcc_lo, 0x7f800000, v7
                                        ; implicit-def: $vgpr7
	s_and_saveexec_b32 s14, vcc_lo
	s_xor_b32 s14, exec_lo, s14
; %bb.2139:                             ;   in Loop: Header=BB12_1375 Depth=3
	v_bfe_u32 v7, v23, 16, 1
	s_delay_alu instid0(VALU_DEP_1)
	v_add3_u32 v7, v23, v7, 0x7fff
                                        ; implicit-def: $vgpr23
; %bb.2140:                             ;   in Loop: Header=BB12_1375 Depth=3
	s_and_not1_saveexec_b32 s14, s14
; %bb.2141:                             ;   in Loop: Header=BB12_1375 Depth=3
	v_and_b32_e32 v7, 0xffff, v23
	v_or_b32_e32 v50, 0x10000, v23
	s_delay_alu instid0(VALU_DEP_2) | instskip(NEXT) | instid1(VALU_DEP_2)
	v_cmp_eq_u32_e32 vcc_lo, 0, v7
	v_cndmask_b32_e32 v7, v50, v23, vcc_lo
; %bb.2142:                             ;   in Loop: Header=BB12_1375 Depth=3
	s_or_b32 exec_lo, exec_lo, s14
	v_and_b32_e32 v16, 0xffff0000, v16
	v_and_b32_e32 v23, 0xffff0000, v68
	s_delay_alu instid0(VALU_DEP_1) | instskip(NEXT) | instid1(VALU_DEP_1)
	v_add_f32_e32 v23, v16, v23
	v_and_b32_e32 v16, 0x7f800000, v23
	s_delay_alu instid0(VALU_DEP_1) | instskip(SKIP_1) | instid1(SALU_CYCLE_1)
	v_cmp_ne_u32_e32 vcc_lo, 0x7f800000, v16
                                        ; implicit-def: $vgpr16
	s_and_saveexec_b32 s14, vcc_lo
	s_xor_b32 s14, exec_lo, s14
; %bb.2143:                             ;   in Loop: Header=BB12_1375 Depth=3
	v_bfe_u32 v16, v23, 16, 1
	s_delay_alu instid0(VALU_DEP_1)
	v_add3_u32 v16, v23, v16, 0x7fff
                                        ; implicit-def: $vgpr23
; %bb.2144:                             ;   in Loop: Header=BB12_1375 Depth=3
	s_and_not1_saveexec_b32 s14, s14
; %bb.2145:                             ;   in Loop: Header=BB12_1375 Depth=3
	v_and_b32_e32 v16, 0xffff, v23
	v_or_b32_e32 v50, 0x10000, v23
	s_delay_alu instid0(VALU_DEP_2) | instskip(NEXT) | instid1(VALU_DEP_2)
	v_cmp_eq_u32_e32 vcc_lo, 0, v16
	v_cndmask_b32_e32 v16, v50, v23, vcc_lo
; %bb.2146:                             ;   in Loop: Header=BB12_1375 Depth=3
	s_or_b32 exec_lo, exec_lo, s14
	v_and_b32_e32 v23, 0xffff0000, v80
	v_lshlrev_b32_e32 v50, 16, v17
	s_delay_alu instid0(VALU_DEP_1) | instskip(NEXT) | instid1(VALU_DEP_1)
	v_add_f32_e32 v50, v50, v23
	v_and_b32_e32 v23, 0x7f800000, v50
	s_delay_alu instid0(VALU_DEP_1) | instskip(SKIP_1) | instid1(SALU_CYCLE_1)
	v_cmp_ne_u32_e32 vcc_lo, 0x7f800000, v23
                                        ; implicit-def: $vgpr23
	s_and_saveexec_b32 s14, vcc_lo
	s_xor_b32 s14, exec_lo, s14
; %bb.2147:                             ;   in Loop: Header=BB12_1375 Depth=3
	v_bfe_u32 v23, v50, 16, 1
	s_delay_alu instid0(VALU_DEP_1)
	v_add3_u32 v23, v50, v23, 0x7fff
                                        ; implicit-def: $vgpr50
; %bb.2148:                             ;   in Loop: Header=BB12_1375 Depth=3
	s_and_not1_saveexec_b32 s14, s14
; %bb.2149:                             ;   in Loop: Header=BB12_1375 Depth=3
	v_and_b32_e32 v23, 0xffff, v50
	v_or_b32_e32 v51, 0x10000, v50
	s_delay_alu instid0(VALU_DEP_2) | instskip(NEXT) | instid1(VALU_DEP_2)
	v_cmp_eq_u32_e32 vcc_lo, 0, v23
	v_cndmask_b32_e32 v23, v51, v50, vcc_lo
; %bb.2150:                             ;   in Loop: Header=BB12_1375 Depth=3
	s_or_b32 exec_lo, exec_lo, s14
	v_and_b32_e32 v17, 0xffff0000, v17
	v_and_b32_e32 v50, 0xffff0000, v66
	s_delay_alu instid0(VALU_DEP_1) | instskip(NEXT) | instid1(VALU_DEP_1)
	v_add_f32_e32 v50, v17, v50
	v_and_b32_e32 v17, 0x7f800000, v50
	s_delay_alu instid0(VALU_DEP_1) | instskip(SKIP_1) | instid1(SALU_CYCLE_1)
	v_cmp_ne_u32_e32 vcc_lo, 0x7f800000, v17
                                        ; implicit-def: $vgpr17
	s_and_saveexec_b32 s14, vcc_lo
	s_xor_b32 s14, exec_lo, s14
; %bb.2151:                             ;   in Loop: Header=BB12_1375 Depth=3
	v_bfe_u32 v17, v50, 16, 1
	s_delay_alu instid0(VALU_DEP_1)
	v_add3_u32 v17, v50, v17, 0x7fff
                                        ; implicit-def: $vgpr50
; %bb.2152:                             ;   in Loop: Header=BB12_1375 Depth=3
	s_and_not1_saveexec_b32 s14, s14
; %bb.2153:                             ;   in Loop: Header=BB12_1375 Depth=3
	v_and_b32_e32 v17, 0xffff, v50
	v_or_b32_e32 v51, 0x10000, v50
	s_delay_alu instid0(VALU_DEP_2) | instskip(NEXT) | instid1(VALU_DEP_2)
	v_cmp_eq_u32_e32 vcc_lo, 0, v17
	v_cndmask_b32_e32 v17, v51, v50, vcc_lo
; %bb.2154:                             ;   in Loop: Header=BB12_1375 Depth=3
	s_or_b32 exec_lo, exec_lo, s14
	v_and_b32_e32 v50, 0xffff0000, v67
	v_lshlrev_b32_e32 v51, 16, v18
	s_delay_alu instid0(VALU_DEP_1) | instskip(NEXT) | instid1(VALU_DEP_1)
	v_add_f32_e32 v51, v51, v50
	v_and_b32_e32 v50, 0x7f800000, v51
	s_delay_alu instid0(VALU_DEP_1) | instskip(SKIP_1) | instid1(SALU_CYCLE_1)
	v_cmp_ne_u32_e32 vcc_lo, 0x7f800000, v50
                                        ; implicit-def: $vgpr50
	s_and_saveexec_b32 s14, vcc_lo
	s_xor_b32 s14, exec_lo, s14
; %bb.2155:                             ;   in Loop: Header=BB12_1375 Depth=3
	v_bfe_u32 v50, v51, 16, 1
	s_delay_alu instid0(VALU_DEP_1)
	v_add3_u32 v50, v51, v50, 0x7fff
                                        ; implicit-def: $vgpr51
; %bb.2156:                             ;   in Loop: Header=BB12_1375 Depth=3
	s_and_not1_saveexec_b32 s14, s14
; %bb.2157:                             ;   in Loop: Header=BB12_1375 Depth=3
	v_and_b32_e32 v50, 0xffff, v51
	v_or_b32_e32 v66, 0x10000, v51
	s_delay_alu instid0(VALU_DEP_2) | instskip(NEXT) | instid1(VALU_DEP_2)
	v_cmp_eq_u32_e32 vcc_lo, 0, v50
	v_cndmask_b32_e32 v50, v66, v51, vcc_lo
; %bb.2158:                             ;   in Loop: Header=BB12_1375 Depth=3
	s_or_b32 exec_lo, exec_lo, s14
	v_and_b32_e32 v18, 0xffff0000, v18
	v_and_b32_e32 v51, 0xffff0000, v64
	s_delay_alu instid0(VALU_DEP_1) | instskip(NEXT) | instid1(VALU_DEP_1)
	v_add_f32_e32 v51, v18, v51
	v_and_b32_e32 v18, 0x7f800000, v51
	s_delay_alu instid0(VALU_DEP_1) | instskip(SKIP_1) | instid1(SALU_CYCLE_1)
	v_cmp_ne_u32_e32 vcc_lo, 0x7f800000, v18
                                        ; implicit-def: $vgpr18
	s_and_saveexec_b32 s14, vcc_lo
	s_xor_b32 s14, exec_lo, s14
; %bb.2159:                             ;   in Loop: Header=BB12_1375 Depth=3
	v_bfe_u32 v18, v51, 16, 1
	s_delay_alu instid0(VALU_DEP_1)
	v_add3_u32 v18, v51, v18, 0x7fff
                                        ; implicit-def: $vgpr51
; %bb.2160:                             ;   in Loop: Header=BB12_1375 Depth=3
	s_and_not1_saveexec_b32 s14, s14
; %bb.2161:                             ;   in Loop: Header=BB12_1375 Depth=3
	v_and_b32_e32 v18, 0xffff, v51
	v_or_b32_e32 v64, 0x10000, v51
	s_delay_alu instid0(VALU_DEP_2) | instskip(NEXT) | instid1(VALU_DEP_2)
	v_cmp_eq_u32_e32 vcc_lo, 0, v18
	v_cndmask_b32_e32 v18, v64, v51, vcc_lo
; %bb.2162:                             ;   in Loop: Header=BB12_1375 Depth=3
	s_or_b32 exec_lo, exec_lo, s14
	v_and_b32_e32 v51, 0xffff0000, v65
	v_lshlrev_b32_e32 v64, 16, v19
	s_delay_alu instid0(VALU_DEP_1) | instskip(NEXT) | instid1(VALU_DEP_1)
	v_add_f32_e32 v64, v64, v51
	v_and_b32_e32 v51, 0x7f800000, v64
	s_delay_alu instid0(VALU_DEP_1) | instskip(SKIP_1) | instid1(SALU_CYCLE_1)
	v_cmp_ne_u32_e32 vcc_lo, 0x7f800000, v51
                                        ; implicit-def: $vgpr51
	s_and_saveexec_b32 s14, vcc_lo
	s_xor_b32 s14, exec_lo, s14
; %bb.2163:                             ;   in Loop: Header=BB12_1375 Depth=3
	v_bfe_u32 v51, v64, 16, 1
	s_delay_alu instid0(VALU_DEP_1)
	v_add3_u32 v51, v64, v51, 0x7fff
                                        ; implicit-def: $vgpr64
; %bb.2164:                             ;   in Loop: Header=BB12_1375 Depth=3
	s_and_not1_saveexec_b32 s14, s14
; %bb.2165:                             ;   in Loop: Header=BB12_1375 Depth=3
	v_and_b32_e32 v51, 0xffff, v64
	v_or_b32_e32 v65, 0x10000, v64
	s_delay_alu instid0(VALU_DEP_2) | instskip(NEXT) | instid1(VALU_DEP_2)
	v_cmp_eq_u32_e32 vcc_lo, 0, v51
	v_cndmask_b32_e32 v51, v65, v64, vcc_lo
; %bb.2166:                             ;   in Loop: Header=BB12_1375 Depth=3
	s_or_b32 exec_lo, exec_lo, s14
	v_and_b32_e32 v19, 0xffff0000, v19
	v_and_b32_e32 v54, 0xffff0000, v54
	s_delay_alu instid0(VALU_DEP_1) | instskip(NEXT) | instid1(VALU_DEP_1)
	v_add_f32_e32 v54, v19, v54
	v_and_b32_e32 v19, 0x7f800000, v54
	s_delay_alu instid0(VALU_DEP_1) | instskip(SKIP_1) | instid1(SALU_CYCLE_1)
	v_cmp_ne_u32_e32 vcc_lo, 0x7f800000, v19
                                        ; implicit-def: $vgpr19
	s_and_saveexec_b32 s14, vcc_lo
	s_xor_b32 s14, exec_lo, s14
; %bb.2167:                             ;   in Loop: Header=BB12_1375 Depth=3
	v_bfe_u32 v19, v54, 16, 1
	s_delay_alu instid0(VALU_DEP_1)
	v_add3_u32 v19, v54, v19, 0x7fff
                                        ; implicit-def: $vgpr54
; %bb.2168:                             ;   in Loop: Header=BB12_1375 Depth=3
	s_and_not1_saveexec_b32 s14, s14
; %bb.2169:                             ;   in Loop: Header=BB12_1375 Depth=3
	v_and_b32_e32 v19, 0xffff, v54
	v_or_b32_e32 v64, 0x10000, v54
	s_delay_alu instid0(VALU_DEP_2) | instskip(NEXT) | instid1(VALU_DEP_2)
	v_cmp_eq_u32_e32 vcc_lo, 0, v19
	v_cndmask_b32_e32 v19, v64, v54, vcc_lo
; %bb.2170:                             ;   in Loop: Header=BB12_1375 Depth=3
	s_or_b32 exec_lo, exec_lo, s14
	v_and_b32_e32 v54, 0xffff0000, v55
	v_lshlrev_b32_e32 v55, 16, v12
	s_delay_alu instid0(VALU_DEP_1) | instskip(NEXT) | instid1(VALU_DEP_1)
	v_add_f32_e32 v55, v55, v54
	v_and_b32_e32 v54, 0x7f800000, v55
	s_delay_alu instid0(VALU_DEP_1) | instskip(SKIP_1) | instid1(SALU_CYCLE_1)
	v_cmp_ne_u32_e32 vcc_lo, 0x7f800000, v54
                                        ; implicit-def: $vgpr54
	s_and_saveexec_b32 s14, vcc_lo
	s_xor_b32 s14, exec_lo, s14
; %bb.2171:                             ;   in Loop: Header=BB12_1375 Depth=3
	v_bfe_u32 v54, v55, 16, 1
	s_delay_alu instid0(VALU_DEP_1)
	v_add3_u32 v54, v55, v54, 0x7fff
                                        ; implicit-def: $vgpr55
; %bb.2172:                             ;   in Loop: Header=BB12_1375 Depth=3
	s_and_not1_saveexec_b32 s14, s14
; %bb.2173:                             ;   in Loop: Header=BB12_1375 Depth=3
	v_and_b32_e32 v54, 0xffff, v55
	v_or_b32_e32 v64, 0x10000, v55
	s_delay_alu instid0(VALU_DEP_2) | instskip(NEXT) | instid1(VALU_DEP_2)
	v_cmp_eq_u32_e32 vcc_lo, 0, v54
	v_cndmask_b32_e32 v54, v64, v55, vcc_lo
; %bb.2174:                             ;   in Loop: Header=BB12_1375 Depth=3
	s_or_b32 exec_lo, exec_lo, s14
	v_and_b32_e32 v12, 0xffff0000, v12
	v_and_b32_e32 v52, 0xffff0000, v52
	s_delay_alu instid0(VALU_DEP_1) | instskip(NEXT) | instid1(VALU_DEP_1)
	v_add_f32_e32 v52, v12, v52
	v_and_b32_e32 v12, 0x7f800000, v52
	s_delay_alu instid0(VALU_DEP_1) | instskip(SKIP_1) | instid1(SALU_CYCLE_1)
	v_cmp_ne_u32_e32 vcc_lo, 0x7f800000, v12
                                        ; implicit-def: $vgpr12
	s_and_saveexec_b32 s14, vcc_lo
	s_xor_b32 s14, exec_lo, s14
; %bb.2175:                             ;   in Loop: Header=BB12_1375 Depth=3
	v_bfe_u32 v12, v52, 16, 1
	s_delay_alu instid0(VALU_DEP_1)
	v_add3_u32 v12, v52, v12, 0x7fff
                                        ; implicit-def: $vgpr52
; %bb.2176:                             ;   in Loop: Header=BB12_1375 Depth=3
	s_and_not1_saveexec_b32 s14, s14
; %bb.2177:                             ;   in Loop: Header=BB12_1375 Depth=3
	v_and_b32_e32 v12, 0xffff, v52
	v_or_b32_e32 v55, 0x10000, v52
	s_delay_alu instid0(VALU_DEP_2) | instskip(NEXT) | instid1(VALU_DEP_2)
	v_cmp_eq_u32_e32 vcc_lo, 0, v12
	v_cndmask_b32_e32 v12, v55, v52, vcc_lo
; %bb.2178:                             ;   in Loop: Header=BB12_1375 Depth=3
	s_or_b32 exec_lo, exec_lo, s14
	v_and_b32_e32 v52, 0xffff0000, v53
	v_lshlrev_b32_e32 v53, 16, v13
	s_delay_alu instid0(VALU_DEP_1) | instskip(NEXT) | instid1(VALU_DEP_1)
	v_add_f32_e32 v53, v53, v52
	v_and_b32_e32 v52, 0x7f800000, v53
	s_delay_alu instid0(VALU_DEP_1) | instskip(SKIP_1) | instid1(SALU_CYCLE_1)
	v_cmp_ne_u32_e32 vcc_lo, 0x7f800000, v52
                                        ; implicit-def: $vgpr52
	s_and_saveexec_b32 s14, vcc_lo
	s_xor_b32 s14, exec_lo, s14
; %bb.2179:                             ;   in Loop: Header=BB12_1375 Depth=3
	v_bfe_u32 v52, v53, 16, 1
	s_delay_alu instid0(VALU_DEP_1)
	v_add3_u32 v52, v53, v52, 0x7fff
                                        ; implicit-def: $vgpr53
; %bb.2180:                             ;   in Loop: Header=BB12_1375 Depth=3
	s_and_not1_saveexec_b32 s14, s14
; %bb.2181:                             ;   in Loop: Header=BB12_1375 Depth=3
	v_and_b32_e32 v52, 0xffff, v53
	v_or_b32_e32 v55, 0x10000, v53
	s_delay_alu instid0(VALU_DEP_2) | instskip(NEXT) | instid1(VALU_DEP_2)
	v_cmp_eq_u32_e32 vcc_lo, 0, v52
	v_cndmask_b32_e32 v52, v55, v53, vcc_lo
; %bb.2182:                             ;   in Loop: Header=BB12_1375 Depth=3
	s_or_b32 exec_lo, exec_lo, s14
	v_and_b32_e32 v13, 0xffff0000, v13
	v_and_b32_e32 v48, 0xffff0000, v48
	s_delay_alu instid0(VALU_DEP_1) | instskip(NEXT) | instid1(VALU_DEP_1)
	v_add_f32_e32 v48, v13, v48
	v_and_b32_e32 v13, 0x7f800000, v48
	s_delay_alu instid0(VALU_DEP_1) | instskip(SKIP_1) | instid1(SALU_CYCLE_1)
	v_cmp_ne_u32_e32 vcc_lo, 0x7f800000, v13
                                        ; implicit-def: $vgpr13
	s_and_saveexec_b32 s14, vcc_lo
	s_xor_b32 s14, exec_lo, s14
; %bb.2183:                             ;   in Loop: Header=BB12_1375 Depth=3
	v_bfe_u32 v13, v48, 16, 1
	s_delay_alu instid0(VALU_DEP_1)
	v_add3_u32 v13, v48, v13, 0x7fff
                                        ; implicit-def: $vgpr48
; %bb.2184:                             ;   in Loop: Header=BB12_1375 Depth=3
	s_and_not1_saveexec_b32 s14, s14
; %bb.2185:                             ;   in Loop: Header=BB12_1375 Depth=3
	v_and_b32_e32 v13, 0xffff, v48
	v_or_b32_e32 v53, 0x10000, v48
	s_delay_alu instid0(VALU_DEP_2) | instskip(NEXT) | instid1(VALU_DEP_2)
	v_cmp_eq_u32_e32 vcc_lo, 0, v13
	v_cndmask_b32_e32 v13, v53, v48, vcc_lo
; %bb.2186:                             ;   in Loop: Header=BB12_1375 Depth=3
	s_or_b32 exec_lo, exec_lo, s14
	v_and_b32_e32 v48, 0xffff0000, v49
	v_lshlrev_b32_e32 v49, 16, v14
	s_delay_alu instid0(VALU_DEP_1) | instskip(NEXT) | instid1(VALU_DEP_1)
	v_add_f32_e32 v49, v49, v48
	v_and_b32_e32 v48, 0x7f800000, v49
	s_delay_alu instid0(VALU_DEP_1) | instskip(SKIP_1) | instid1(SALU_CYCLE_1)
	v_cmp_ne_u32_e32 vcc_lo, 0x7f800000, v48
                                        ; implicit-def: $vgpr48
	s_and_saveexec_b32 s14, vcc_lo
	s_xor_b32 s14, exec_lo, s14
; %bb.2187:                             ;   in Loop: Header=BB12_1375 Depth=3
	v_bfe_u32 v48, v49, 16, 1
	s_delay_alu instid0(VALU_DEP_1)
	v_add3_u32 v48, v49, v48, 0x7fff
                                        ; implicit-def: $vgpr49
; %bb.2188:                             ;   in Loop: Header=BB12_1375 Depth=3
	s_and_not1_saveexec_b32 s14, s14
; %bb.2189:                             ;   in Loop: Header=BB12_1375 Depth=3
	v_and_b32_e32 v48, 0xffff, v49
	v_or_b32_e32 v53, 0x10000, v49
	s_delay_alu instid0(VALU_DEP_2) | instskip(NEXT) | instid1(VALU_DEP_2)
	v_cmp_eq_u32_e32 vcc_lo, 0, v48
	v_cndmask_b32_e32 v48, v53, v49, vcc_lo
; %bb.2190:                             ;   in Loop: Header=BB12_1375 Depth=3
	s_or_b32 exec_lo, exec_lo, s14
	v_and_b32_e32 v14, 0xffff0000, v14
	v_and_b32_e32 v38, 0xffff0000, v38
	s_delay_alu instid0(VALU_DEP_1) | instskip(NEXT) | instid1(VALU_DEP_1)
	v_add_f32_e32 v38, v14, v38
	v_and_b32_e32 v14, 0x7f800000, v38
	s_delay_alu instid0(VALU_DEP_1) | instskip(SKIP_1) | instid1(SALU_CYCLE_1)
	v_cmp_ne_u32_e32 vcc_lo, 0x7f800000, v14
                                        ; implicit-def: $vgpr14
	s_and_saveexec_b32 s14, vcc_lo
	s_xor_b32 s14, exec_lo, s14
; %bb.2191:                             ;   in Loop: Header=BB12_1375 Depth=3
	v_bfe_u32 v14, v38, 16, 1
	s_delay_alu instid0(VALU_DEP_1)
	v_add3_u32 v14, v38, v14, 0x7fff
                                        ; implicit-def: $vgpr38
; %bb.2192:                             ;   in Loop: Header=BB12_1375 Depth=3
	s_and_not1_saveexec_b32 s14, s14
; %bb.2193:                             ;   in Loop: Header=BB12_1375 Depth=3
	v_and_b32_e32 v14, 0xffff, v38
	v_or_b32_e32 v49, 0x10000, v38
	s_delay_alu instid0(VALU_DEP_2) | instskip(NEXT) | instid1(VALU_DEP_2)
	v_cmp_eq_u32_e32 vcc_lo, 0, v14
	v_cndmask_b32_e32 v14, v49, v38, vcc_lo
; %bb.2194:                             ;   in Loop: Header=BB12_1375 Depth=3
	s_or_b32 exec_lo, exec_lo, s14
	v_and_b32_e32 v38, 0xffff0000, v39
	v_lshlrev_b32_e32 v39, 16, v15
	s_delay_alu instid0(VALU_DEP_1) | instskip(NEXT) | instid1(VALU_DEP_1)
	v_add_f32_e32 v39, v39, v38
	v_and_b32_e32 v38, 0x7f800000, v39
	s_delay_alu instid0(VALU_DEP_1) | instskip(SKIP_1) | instid1(SALU_CYCLE_1)
	v_cmp_ne_u32_e32 vcc_lo, 0x7f800000, v38
                                        ; implicit-def: $vgpr38
	s_and_saveexec_b32 s14, vcc_lo
	s_xor_b32 s14, exec_lo, s14
; %bb.2195:                             ;   in Loop: Header=BB12_1375 Depth=3
	v_bfe_u32 v38, v39, 16, 1
	s_delay_alu instid0(VALU_DEP_1)
	v_add3_u32 v38, v39, v38, 0x7fff
                                        ; implicit-def: $vgpr39
; %bb.2196:                             ;   in Loop: Header=BB12_1375 Depth=3
	s_and_not1_saveexec_b32 s14, s14
; %bb.2197:                             ;   in Loop: Header=BB12_1375 Depth=3
	v_and_b32_e32 v38, 0xffff, v39
	v_or_b32_e32 v49, 0x10000, v39
	s_delay_alu instid0(VALU_DEP_2) | instskip(NEXT) | instid1(VALU_DEP_2)
	v_cmp_eq_u32_e32 vcc_lo, 0, v38
	v_cndmask_b32_e32 v38, v49, v39, vcc_lo
; %bb.2198:                             ;   in Loop: Header=BB12_1375 Depth=3
	s_or_b32 exec_lo, exec_lo, s14
	v_and_b32_e32 v15, 0xffff0000, v15
	v_and_b32_e32 v36, 0xffff0000, v36
	s_delay_alu instid0(VALU_DEP_1) | instskip(NEXT) | instid1(VALU_DEP_1)
	v_add_f32_e32 v36, v15, v36
	v_and_b32_e32 v15, 0x7f800000, v36
	s_delay_alu instid0(VALU_DEP_1) | instskip(SKIP_1) | instid1(SALU_CYCLE_1)
	v_cmp_ne_u32_e32 vcc_lo, 0x7f800000, v15
                                        ; implicit-def: $vgpr15
	s_and_saveexec_b32 s14, vcc_lo
	s_xor_b32 s14, exec_lo, s14
; %bb.2199:                             ;   in Loop: Header=BB12_1375 Depth=3
	v_bfe_u32 v15, v36, 16, 1
	s_delay_alu instid0(VALU_DEP_1)
	v_add3_u32 v15, v36, v15, 0x7fff
                                        ; implicit-def: $vgpr36
; %bb.2200:                             ;   in Loop: Header=BB12_1375 Depth=3
	s_and_not1_saveexec_b32 s14, s14
; %bb.2201:                             ;   in Loop: Header=BB12_1375 Depth=3
	v_and_b32_e32 v15, 0xffff, v36
	v_or_b32_e32 v39, 0x10000, v36
	s_delay_alu instid0(VALU_DEP_2) | instskip(NEXT) | instid1(VALU_DEP_2)
	v_cmp_eq_u32_e32 vcc_lo, 0, v15
	v_cndmask_b32_e32 v15, v39, v36, vcc_lo
; %bb.2202:                             ;   in Loop: Header=BB12_1375 Depth=3
	s_or_b32 exec_lo, exec_lo, s14
	v_and_b32_e32 v36, 0xffff0000, v37
	v_lshlrev_b32_e32 v37, 16, v8
	s_delay_alu instid0(VALU_DEP_1) | instskip(NEXT) | instid1(VALU_DEP_1)
	v_add_f32_e32 v37, v37, v36
	v_and_b32_e32 v36, 0x7f800000, v37
	s_delay_alu instid0(VALU_DEP_1) | instskip(SKIP_1) | instid1(SALU_CYCLE_1)
	v_cmp_ne_u32_e32 vcc_lo, 0x7f800000, v36
                                        ; implicit-def: $vgpr36
	s_and_saveexec_b32 s14, vcc_lo
	s_xor_b32 s14, exec_lo, s14
; %bb.2203:                             ;   in Loop: Header=BB12_1375 Depth=3
	v_bfe_u32 v36, v37, 16, 1
	s_delay_alu instid0(VALU_DEP_1)
	v_add3_u32 v36, v37, v36, 0x7fff
                                        ; implicit-def: $vgpr37
; %bb.2204:                             ;   in Loop: Header=BB12_1375 Depth=3
	s_and_not1_saveexec_b32 s14, s14
; %bb.2205:                             ;   in Loop: Header=BB12_1375 Depth=3
	v_and_b32_e32 v36, 0xffff, v37
	v_or_b32_e32 v39, 0x10000, v37
	s_delay_alu instid0(VALU_DEP_2) | instskip(NEXT) | instid1(VALU_DEP_2)
	v_cmp_eq_u32_e32 vcc_lo, 0, v36
	v_cndmask_b32_e32 v36, v39, v37, vcc_lo
; %bb.2206:                             ;   in Loop: Header=BB12_1375 Depth=3
	s_or_b32 exec_lo, exec_lo, s14
	v_and_b32_e32 v8, 0xffff0000, v8
	v_and_b32_e32 v34, 0xffff0000, v34
	s_delay_alu instid0(VALU_DEP_1) | instskip(NEXT) | instid1(VALU_DEP_1)
	v_add_f32_e32 v34, v8, v34
	v_and_b32_e32 v8, 0x7f800000, v34
	s_delay_alu instid0(VALU_DEP_1) | instskip(SKIP_1) | instid1(SALU_CYCLE_1)
	v_cmp_ne_u32_e32 vcc_lo, 0x7f800000, v8
                                        ; implicit-def: $vgpr8
	s_and_saveexec_b32 s14, vcc_lo
	s_xor_b32 s14, exec_lo, s14
; %bb.2207:                             ;   in Loop: Header=BB12_1375 Depth=3
	v_bfe_u32 v8, v34, 16, 1
	s_delay_alu instid0(VALU_DEP_1)
	v_add3_u32 v8, v34, v8, 0x7fff
                                        ; implicit-def: $vgpr34
; %bb.2208:                             ;   in Loop: Header=BB12_1375 Depth=3
	s_and_not1_saveexec_b32 s14, s14
; %bb.2209:                             ;   in Loop: Header=BB12_1375 Depth=3
	v_and_b32_e32 v8, 0xffff, v34
	v_or_b32_e32 v37, 0x10000, v34
	s_delay_alu instid0(VALU_DEP_2) | instskip(NEXT) | instid1(VALU_DEP_2)
	v_cmp_eq_u32_e32 vcc_lo, 0, v8
	v_cndmask_b32_e32 v8, v37, v34, vcc_lo
; %bb.2210:                             ;   in Loop: Header=BB12_1375 Depth=3
	s_or_b32 exec_lo, exec_lo, s14
	v_and_b32_e32 v34, 0xffff0000, v35
	v_lshlrev_b32_e32 v35, 16, v9
	s_delay_alu instid0(VALU_DEP_1) | instskip(NEXT) | instid1(VALU_DEP_1)
	v_add_f32_e32 v35, v35, v34
	v_and_b32_e32 v34, 0x7f800000, v35
	s_delay_alu instid0(VALU_DEP_1) | instskip(SKIP_1) | instid1(SALU_CYCLE_1)
	v_cmp_ne_u32_e32 vcc_lo, 0x7f800000, v34
                                        ; implicit-def: $vgpr34
	s_and_saveexec_b32 s14, vcc_lo
	s_xor_b32 s14, exec_lo, s14
; %bb.2211:                             ;   in Loop: Header=BB12_1375 Depth=3
	v_bfe_u32 v34, v35, 16, 1
	s_delay_alu instid0(VALU_DEP_1)
	v_add3_u32 v34, v35, v34, 0x7fff
                                        ; implicit-def: $vgpr35
; %bb.2212:                             ;   in Loop: Header=BB12_1375 Depth=3
	s_and_not1_saveexec_b32 s14, s14
; %bb.2213:                             ;   in Loop: Header=BB12_1375 Depth=3
	v_and_b32_e32 v34, 0xffff, v35
	v_or_b32_e32 v37, 0x10000, v35
	s_delay_alu instid0(VALU_DEP_2) | instskip(NEXT) | instid1(VALU_DEP_2)
	v_cmp_eq_u32_e32 vcc_lo, 0, v34
	v_cndmask_b32_e32 v34, v37, v35, vcc_lo
; %bb.2214:                             ;   in Loop: Header=BB12_1375 Depth=3
	s_or_b32 exec_lo, exec_lo, s14
	v_and_b32_e32 v9, 0xffff0000, v9
	v_and_b32_e32 v30, 0xffff0000, v30
	s_delay_alu instid0(VALU_DEP_1) | instskip(NEXT) | instid1(VALU_DEP_1)
	v_add_f32_e32 v30, v9, v30
	v_and_b32_e32 v9, 0x7f800000, v30
	s_delay_alu instid0(VALU_DEP_1) | instskip(SKIP_1) | instid1(SALU_CYCLE_1)
	v_cmp_ne_u32_e32 vcc_lo, 0x7f800000, v9
                                        ; implicit-def: $vgpr9
	s_and_saveexec_b32 s14, vcc_lo
	s_xor_b32 s14, exec_lo, s14
; %bb.2215:                             ;   in Loop: Header=BB12_1375 Depth=3
	v_bfe_u32 v9, v30, 16, 1
	s_delay_alu instid0(VALU_DEP_1)
	v_add3_u32 v9, v30, v9, 0x7fff
                                        ; implicit-def: $vgpr30
; %bb.2216:                             ;   in Loop: Header=BB12_1375 Depth=3
	s_and_not1_saveexec_b32 s14, s14
; %bb.2217:                             ;   in Loop: Header=BB12_1375 Depth=3
	v_and_b32_e32 v9, 0xffff, v30
	v_or_b32_e32 v35, 0x10000, v30
	s_delay_alu instid0(VALU_DEP_2) | instskip(NEXT) | instid1(VALU_DEP_2)
	v_cmp_eq_u32_e32 vcc_lo, 0, v9
	v_cndmask_b32_e32 v9, v35, v30, vcc_lo
; %bb.2218:                             ;   in Loop: Header=BB12_1375 Depth=3
	s_or_b32 exec_lo, exec_lo, s14
	v_and_b32_e32 v30, 0xffff0000, v32
	v_lshlrev_b32_e32 v32, 16, v10
	s_delay_alu instid0(VALU_DEP_1) | instskip(NEXT) | instid1(VALU_DEP_1)
	v_add_f32_e32 v32, v32, v30
	v_and_b32_e32 v30, 0x7f800000, v32
	s_delay_alu instid0(VALU_DEP_1) | instskip(SKIP_1) | instid1(SALU_CYCLE_1)
	v_cmp_ne_u32_e32 vcc_lo, 0x7f800000, v30
                                        ; implicit-def: $vgpr30
	s_and_saveexec_b32 s14, vcc_lo
	s_xor_b32 s14, exec_lo, s14
; %bb.2219:                             ;   in Loop: Header=BB12_1375 Depth=3
	v_bfe_u32 v30, v32, 16, 1
	s_delay_alu instid0(VALU_DEP_1)
	v_add3_u32 v30, v32, v30, 0x7fff
                                        ; implicit-def: $vgpr32
; %bb.2220:                             ;   in Loop: Header=BB12_1375 Depth=3
	s_and_not1_saveexec_b32 s14, s14
; %bb.2221:                             ;   in Loop: Header=BB12_1375 Depth=3
	v_and_b32_e32 v30, 0xffff, v32
	v_or_b32_e32 v35, 0x10000, v32
	s_delay_alu instid0(VALU_DEP_2) | instskip(NEXT) | instid1(VALU_DEP_2)
	v_cmp_eq_u32_e32 vcc_lo, 0, v30
	v_cndmask_b32_e32 v30, v35, v32, vcc_lo
; %bb.2222:                             ;   in Loop: Header=BB12_1375 Depth=3
	s_or_b32 exec_lo, exec_lo, s14
	v_and_b32_e32 v10, 0xffff0000, v10
	v_and_b32_e32 v25, 0xffff0000, v25
	s_delay_alu instid0(VALU_DEP_1) | instskip(NEXT) | instid1(VALU_DEP_1)
	v_add_f32_e32 v25, v10, v25
	v_and_b32_e32 v10, 0x7f800000, v25
	s_delay_alu instid0(VALU_DEP_1) | instskip(SKIP_1) | instid1(SALU_CYCLE_1)
	v_cmp_ne_u32_e32 vcc_lo, 0x7f800000, v10
                                        ; implicit-def: $vgpr10
	s_and_saveexec_b32 s14, vcc_lo
	s_xor_b32 s14, exec_lo, s14
; %bb.2223:                             ;   in Loop: Header=BB12_1375 Depth=3
	v_bfe_u32 v10, v25, 16, 1
	s_delay_alu instid0(VALU_DEP_1)
	v_add3_u32 v10, v25, v10, 0x7fff
                                        ; implicit-def: $vgpr25
; %bb.2224:                             ;   in Loop: Header=BB12_1375 Depth=3
	s_and_not1_saveexec_b32 s14, s14
; %bb.2225:                             ;   in Loop: Header=BB12_1375 Depth=3
	v_and_b32_e32 v10, 0xffff, v25
	v_or_b32_e32 v32, 0x10000, v25
	s_delay_alu instid0(VALU_DEP_2) | instskip(NEXT) | instid1(VALU_DEP_2)
	v_cmp_eq_u32_e32 vcc_lo, 0, v10
	v_cndmask_b32_e32 v10, v32, v25, vcc_lo
; %bb.2226:                             ;   in Loop: Header=BB12_1375 Depth=3
	s_or_b32 exec_lo, exec_lo, s14
	v_and_b32_e32 v25, 0xffff0000, v26
	v_lshlrev_b32_e32 v26, 16, v11
	s_delay_alu instid0(VALU_DEP_1) | instskip(NEXT) | instid1(VALU_DEP_1)
	v_add_f32_e32 v26, v26, v25
	v_and_b32_e32 v25, 0x7f800000, v26
	s_delay_alu instid0(VALU_DEP_1) | instskip(SKIP_1) | instid1(SALU_CYCLE_1)
	v_cmp_ne_u32_e32 vcc_lo, 0x7f800000, v25
                                        ; implicit-def: $vgpr25
	s_and_saveexec_b32 s14, vcc_lo
	s_xor_b32 s14, exec_lo, s14
; %bb.2227:                             ;   in Loop: Header=BB12_1375 Depth=3
	v_bfe_u32 v25, v26, 16, 1
	s_delay_alu instid0(VALU_DEP_1)
	v_add3_u32 v25, v26, v25, 0x7fff
                                        ; implicit-def: $vgpr26
; %bb.2228:                             ;   in Loop: Header=BB12_1375 Depth=3
	s_and_not1_saveexec_b32 s14, s14
; %bb.2229:                             ;   in Loop: Header=BB12_1375 Depth=3
	v_and_b32_e32 v25, 0xffff, v26
	v_or_b32_e32 v32, 0x10000, v26
	s_delay_alu instid0(VALU_DEP_2) | instskip(NEXT) | instid1(VALU_DEP_2)
	v_cmp_eq_u32_e32 vcc_lo, 0, v25
	v_cndmask_b32_e32 v25, v32, v26, vcc_lo
; %bb.2230:                             ;   in Loop: Header=BB12_1375 Depth=3
	s_or_b32 exec_lo, exec_lo, s14
	v_and_b32_e32 v11, 0xffff0000, v11
	v_and_b32_e32 v24, 0xffff0000, v24
	s_delay_alu instid0(VALU_DEP_1) | instskip(NEXT) | instid1(VALU_DEP_1)
	v_add_f32_e32 v24, v11, v24
	v_and_b32_e32 v11, 0x7f800000, v24
	s_delay_alu instid0(VALU_DEP_1) | instskip(SKIP_1) | instid1(SALU_CYCLE_1)
	v_cmp_ne_u32_e32 vcc_lo, 0x7f800000, v11
                                        ; implicit-def: $vgpr11
	s_and_saveexec_b32 s14, vcc_lo
	s_xor_b32 s14, exec_lo, s14
; %bb.2231:                             ;   in Loop: Header=BB12_1375 Depth=3
	v_bfe_u32 v11, v24, 16, 1
	s_delay_alu instid0(VALU_DEP_1)
	v_add3_u32 v11, v24, v11, 0x7fff
                                        ; implicit-def: $vgpr24
; %bb.2232:                             ;   in Loop: Header=BB12_1375 Depth=3
	s_and_not1_saveexec_b32 s14, s14
; %bb.2233:                             ;   in Loop: Header=BB12_1375 Depth=3
	v_and_b32_e32 v11, 0xffff, v24
	v_or_b32_e32 v26, 0x10000, v24
	s_delay_alu instid0(VALU_DEP_2) | instskip(NEXT) | instid1(VALU_DEP_2)
	v_cmp_eq_u32_e32 vcc_lo, 0, v11
	v_cndmask_b32_e32 v11, v26, v24, vcc_lo
; %bb.2234:                             ;   in Loop: Header=BB12_1375 Depth=3
	s_or_b32 exec_lo, exec_lo, s14
	v_dual_lshrrev_b32 v24, 16, v52 :: v_dual_lshrrev_b32 v26, 16, v54
	v_lshrrev_b32_e32 v23, 16, v23
	v_dual_lshrrev_b32 v7, 16, v7 :: v_dual_lshrrev_b32 v1, 16, v1
	s_delay_alu instid0(VALU_DEP_3) | instskip(SKIP_2) | instid1(VALU_DEP_4)
	v_and_or_b32 v13, 0xffff0000, v13, v24
	v_lshrrev_b32_e32 v24, 16, v27
	v_and_or_b32 v12, 0xffff0000, v12, v26
	v_and_or_b32 v16, 0xffff0000, v16, v7
	v_lshrrev_b32_e32 v7, 16, v50
	v_and_or_b32 v17, 0xffff0000, v17, v23
	v_dual_lshrrev_b32 v23, 16, v51 :: v_dual_lshrrev_b32 v26, 16, v21
	v_and_or_b32 v21, 0xffff0000, v0, v24
	v_dual_lshrrev_b32 v0, 16, v33 :: v_dual_lshrrev_b32 v32, 16, v48
	v_lshrrev_b32_e32 v35, 16, v38
	v_and_or_b32 v20, 0xffff0000, v20, v1
	v_and_or_b32 v22, 0xffff0000, v22, v26
	v_dual_lshrrev_b32 v1, 16, v34 :: v_dual_lshrrev_b32 v24, 16, v36
	v_dual_lshrrev_b32 v26, 16, v30 :: v_dual_lshrrev_b32 v25, 16, v25
	v_and_or_b32 v19, 0xffff0000, v19, v23
	v_and_or_b32 v23, 0xffff0000, v6, v0
	;; [unrolled: 1-line block ×9, first 2 shown]
	s_clause 0x3
	global_store_b128 v[62:63], v[20:23], off th:TH_STORE_NT
	global_store_b128 v[62:63], v[16:19], off offset:512 th:TH_STORE_NT
	global_store_b128 v[62:63], v[12:15], off offset:1024 th:TH_STORE_NT
	;; [unrolled: 1-line block ×3, first 2 shown]
.LBB12_2235:                            ;   in Loop: Header=BB12_1375 Depth=3
	s_wait_xcnt 0x0
	s_or_b32 exec_lo, exec_lo, s13
	v_lshlrev_b32_e32 v20, 11, v29
	s_mov_b32 s78, exec_lo
                                        ; implicit-def: $vgpr18
                                        ; implicit-def: $vgpr0
                                        ; implicit-def: $vgpr19
	s_delay_alu instid0(VALU_DEP_1)
	v_cmpx_ne_u32_e64 v5, v20
	s_cbranch_execz .LBB12_2446
; %bb.2236:                             ;   in Loop: Header=BB12_1375 Depth=3
	scratch_load_b32 v1, off, s33 offset:328 ; 4-byte Folded Reload
	v_dual_lshlrev_b32 v0, 5, v31 :: v_dual_sub_nc_u32 v6, v5, v20
	s_mov_b32 s15, 0
	s_mov_b32 s79, exec_lo
	s_wait_loadcnt 0x0
	s_delay_alu instid0(VALU_DEP_1) | instskip(NEXT) | instid1(VALU_DEP_1)
	v_dual_ashrrev_i32 v8, 31, v6 :: v_dual_sub_nc_u32 v0, v1, v0
	v_ashrrev_i32_e32 v1, 31, v0
	s_delay_alu instid0(VALU_DEP_1) | instskip(NEXT) | instid1(VALU_DEP_1)
	v_lshrrev_b32_e32 v1, 27, v1
	v_add_nc_u32_e32 v1, v0, v1
	s_delay_alu instid0(VALU_DEP_1) | instskip(NEXT) | instid1(VALU_DEP_1)
	v_and_b32_e32 v7, 0xffffffe0, v1
	v_dual_sub_nc_u32 v21, v0, v7 :: v_dual_lshrrev_b32 v0, 23, v8
	v_ashrrev_i32_e32 v7, 5, v1
	s_delay_alu instid0(VALU_DEP_2) | instskip(NEXT) | instid1(VALU_DEP_1)
	v_dual_lshlrev_b32 v1, 4, v21 :: v_dual_add_nc_u32 v0, v6, v0
	v_lshl_add_u32 v1, v7, 9, v1
	s_delay_alu instid0(VALU_DEP_2) | instskip(SKIP_1) | instid1(VALU_DEP_2)
	v_and_b32_e32 v22, 0xfffffe00, v0
	v_ashrrev_i32_e32 v0, 9, v0
	v_dual_add_nc_u32 v8, v1, v20 :: v_dual_sub_nc_u32 v23, v6, v22
	v_sub_nc_u32_e32 v1, v6, v1
	s_delay_alu instid0(VALU_DEP_2) | instskip(NEXT) | instid1(VALU_DEP_1)
	v_cmp_lt_i32_e64 s13, 15, v23
	v_add_co_ci_u32_e64 v0, null, 0, v0, s13
	s_delay_alu instid0(VALU_DEP_1) | instskip(NEXT) | instid1(VALU_DEP_1)
	v_dual_ashrrev_i32 v9, 31, v8 :: v_dual_sub_nc_u32 v24, v0, v7
	v_add_nc_u64_e32 v[12:13], v[8:9], v[74:75]
	s_wait_xcnt 0x0
	v_cmpx_lt_i32_e32 15, v1
	s_cbranch_execz .LBB12_2377
; %bb.2237:                             ;   in Loop: Header=BB12_1375 Depth=3
	s_trap 2
	ds_load_b64 v[6:7], v0
	ds_load_b32 v0, v0
	v_add_nc_u64_e32 v[14:15], v[8:9], v[72:73]
	s_mov_b32 s90, 0
	s_mov_b32 s88, 0
                                        ; implicit-def: $sgpr89
	s_wait_dscnt 0x1
	v_add_nc_u64_e32 v[16:17], v[6:7], v[8:9]
	s_wait_dscnt 0x0
	v_lshlrev_b32_e32 v25, 16, v0
	s_branch .LBB12_2239
.LBB12_2238:                            ;   in Loop: Header=BB12_2239 Depth=4
	s_wait_xcnt 0x0
	s_or_b32 exec_lo, exec_lo, s14
	v_cmp_gt_i32_e32 vcc_lo, 16, v1
	s_or_b32 s88, vcc_lo, s88
	s_and_not1_b32 s14, s89, exec_lo
	s_and_b32 s15, s90, exec_lo
	s_delay_alu instid0(SALU_CYCLE_1)
	s_or_b32 s89, s14, s15
	s_and_not1_b32 exec_lo, exec_lo, s88
	s_cbranch_execz .LBB12_2376
.LBB12_2239:                            ;   Parent Loop BB12_47 Depth=1
                                        ;     Parent Loop BB12_1372 Depth=2
                                        ;       Parent Loop BB12_1375 Depth=3
                                        ; =>      This Loop Header: Depth=4
                                        ;           Child Loop BB12_2240 Depth 5
                                        ;           Child Loop BB12_2309 Depth 5
	s_add_co_i32 s14, s33, 0xc0
	s_mov_b64 s[40:41], 0
	s_mov_b32 s91, s14
	s_mov_b32 s92, -1
.LBB12_2240:                            ;   Parent Loop BB12_47 Depth=1
                                        ;     Parent Loop BB12_1372 Depth=2
                                        ;       Parent Loop BB12_1375 Depth=3
                                        ;         Parent Loop BB12_2239 Depth=4
                                        ; =>        This Inner Loop Header: Depth=5
	s_cmp_eq_u32 s40, 1
	s_cselect_b32 vcc_lo, -1, 0
	s_cmp_eq_u32 s40, 0
	v_dual_cndmask_b32 v11, v15, v17 :: v_dual_cndmask_b32 v10, v14, v16
	s_cselect_b32 s14, -1, 0
	s_and_b32 s15, exec_lo, s92
	s_mov_b64 s[40:41], 1
	s_mov_b32 s92, 0
	global_load_b128 v[6:9], v[10:11], off th:TH_LOAD_NT
	s_wait_xcnt 0x0
	v_add_nc_u64_e32 v[10:11], 0x200, v[10:11]
	s_delay_alu instid0(VALU_DEP_1)
	v_dual_cndmask_b32 v15, v15, v11, s14 :: v_dual_cndmask_b32 v14, v14, v10, s14
	v_dual_cndmask_b32 v17, v17, v11 :: v_dual_cndmask_b32 v16, v16, v10
	s_mov_b32 vcc_lo, s15
	s_wait_loadcnt 0x0
	scratch_store_b128 off, v[6:9], s91
	s_wait_xcnt 0x0
	s_mov_b32 s91, s56
	s_cbranch_vccnz .LBB12_2240
; %bb.2241:                             ;   in Loop: Header=BB12_2239 Depth=4
	s_and_saveexec_b32 s14, s90
	s_cbranch_execz .LBB12_2307
; %bb.2242:                             ;   in Loop: Header=BB12_2239 Depth=4
	scratch_load_b128 v[8:11], off, s33 offset:224
	s_wait_loadcnt 0x0
	v_lshlrev_b32_e32 v0, 16, v8
	s_delay_alu instid0(VALU_DEP_1) | instskip(NEXT) | instid1(VALU_DEP_1)
	v_mul_f32_e32 v0, v25, v0
	v_and_b32_e32 v6, 0x7f800000, v0
	s_delay_alu instid0(VALU_DEP_1) | instskip(SKIP_2) | instid1(SALU_CYCLE_1)
	v_cmp_ne_u32_e32 vcc_lo, 0x7f800000, v6
                                        ; implicit-def: $vgpr6
	s_wait_xcnt 0x0
	s_and_saveexec_b32 s15, vcc_lo
	s_xor_b32 s15, exec_lo, s15
; %bb.2243:                             ;   in Loop: Header=BB12_2239 Depth=4
	v_bfe_u32 v6, v0, 16, 1
	s_delay_alu instid0(VALU_DEP_1)
	v_add3_u32 v6, v0, v6, 0x7fff
                                        ; implicit-def: $vgpr0
; %bb.2244:                             ;   in Loop: Header=BB12_2239 Depth=4
	s_and_not1_saveexec_b32 s15, s15
; %bb.2245:                             ;   in Loop: Header=BB12_2239 Depth=4
	v_and_b32_e32 v6, 0xffff, v0
	v_or_b32_e32 v7, 0x10000, v0
	s_delay_alu instid0(VALU_DEP_2) | instskip(NEXT) | instid1(VALU_DEP_2)
	v_cmp_eq_u32_e32 vcc_lo, 0, v6
	v_cndmask_b32_e32 v6, v7, v0, vcc_lo
; %bb.2246:                             ;   in Loop: Header=BB12_2239 Depth=4
	s_or_b32 exec_lo, exec_lo, s15
	v_and_b32_e32 v0, 0xffff0000, v8
	s_mov_b32 s15, exec_lo
                                        ; implicit-def: $vgpr18
	s_delay_alu instid0(VALU_DEP_1) | instskip(NEXT) | instid1(VALU_DEP_1)
	v_mul_f32_e32 v0, v25, v0
	v_and_b32_e32 v7, 0x7f800000, v0
	s_delay_alu instid0(VALU_DEP_1)
	v_cmpx_ne_u32_e32 0x7f800000, v7
	s_xor_b32 s15, exec_lo, s15
; %bb.2247:                             ;   in Loop: Header=BB12_2239 Depth=4
	v_bfe_u32 v7, v0, 16, 1
	s_delay_alu instid0(VALU_DEP_1)
	v_add3_u32 v18, v0, v7, 0x7fff
                                        ; implicit-def: $vgpr0
; %bb.2248:                             ;   in Loop: Header=BB12_2239 Depth=4
	s_and_not1_saveexec_b32 s15, s15
; %bb.2249:                             ;   in Loop: Header=BB12_2239 Depth=4
	v_and_b32_e32 v7, 0xffff, v0
	v_or_b32_e32 v8, 0x10000, v0
	s_delay_alu instid0(VALU_DEP_2) | instskip(NEXT) | instid1(VALU_DEP_2)
	v_cmp_eq_u32_e32 vcc_lo, 0, v7
	v_cndmask_b32_e32 v18, v8, v0, vcc_lo
; %bb.2250:                             ;   in Loop: Header=BB12_2239 Depth=4
	s_or_b32 exec_lo, exec_lo, s15
	v_lshlrev_b32_e32 v0, 16, v9
	s_mov_b32 s15, exec_lo
                                        ; implicit-def: $vgpr30
	s_delay_alu instid0(VALU_DEP_1) | instskip(NEXT) | instid1(VALU_DEP_1)
	v_mul_f32_e32 v0, v25, v0
	v_and_b32_e32 v7, 0x7f800000, v0
	s_delay_alu instid0(VALU_DEP_1)
	v_cmpx_ne_u32_e32 0x7f800000, v7
	s_xor_b32 s15, exec_lo, s15
; %bb.2251:                             ;   in Loop: Header=BB12_2239 Depth=4
	v_bfe_u32 v7, v0, 16, 1
	s_delay_alu instid0(VALU_DEP_1)
	v_add3_u32 v30, v0, v7, 0x7fff
                                        ; implicit-def: $vgpr0
; %bb.2252:                             ;   in Loop: Header=BB12_2239 Depth=4
	s_and_not1_saveexec_b32 s15, s15
; %bb.2253:                             ;   in Loop: Header=BB12_2239 Depth=4
	v_and_b32_e32 v7, 0xffff, v0
	v_or_b32_e32 v8, 0x10000, v0
	s_delay_alu instid0(VALU_DEP_2) | instskip(NEXT) | instid1(VALU_DEP_2)
	v_cmp_eq_u32_e32 vcc_lo, 0, v7
	v_cndmask_b32_e32 v30, v8, v0, vcc_lo
; %bb.2254:                             ;   in Loop: Header=BB12_2239 Depth=4
	s_or_b32 exec_lo, exec_lo, s15
	v_and_b32_e32 v0, 0xffff0000, v9
	s_mov_b32 s15, exec_lo
                                        ; implicit-def: $vgpr27
	s_delay_alu instid0(VALU_DEP_1) | instskip(NEXT) | instid1(VALU_DEP_1)
	v_mul_f32_e32 v0, v25, v0
	v_and_b32_e32 v7, 0x7f800000, v0
	s_delay_alu instid0(VALU_DEP_1)
	v_cmpx_ne_u32_e32 0x7f800000, v7
	s_xor_b32 s15, exec_lo, s15
; %bb.2255:                             ;   in Loop: Header=BB12_2239 Depth=4
	v_bfe_u32 v7, v0, 16, 1
	s_delay_alu instid0(VALU_DEP_1)
	v_add3_u32 v27, v0, v7, 0x7fff
                                        ; implicit-def: $vgpr0
; %bb.2256:                             ;   in Loop: Header=BB12_2239 Depth=4
	s_and_not1_saveexec_b32 s15, s15
; %bb.2257:                             ;   in Loop: Header=BB12_2239 Depth=4
	v_and_b32_e32 v7, 0xffff, v0
	v_or_b32_e32 v8, 0x10000, v0
	s_delay_alu instid0(VALU_DEP_2) | instskip(NEXT) | instid1(VALU_DEP_2)
	v_cmp_eq_u32_e32 vcc_lo, 0, v7
	v_cndmask_b32_e32 v27, v8, v0, vcc_lo
; %bb.2258:                             ;   in Loop: Header=BB12_2239 Depth=4
	s_or_b32 exec_lo, exec_lo, s15
	v_lshlrev_b32_e32 v0, 16, v10
	s_mov_b32 s15, exec_lo
                                        ; implicit-def: $vgpr29
	s_delay_alu instid0(VALU_DEP_1) | instskip(NEXT) | instid1(VALU_DEP_1)
	v_mul_f32_e32 v0, v25, v0
	v_and_b32_e32 v7, 0x7f800000, v0
	s_delay_alu instid0(VALU_DEP_1)
	v_cmpx_ne_u32_e32 0x7f800000, v7
	s_xor_b32 s15, exec_lo, s15
; %bb.2259:                             ;   in Loop: Header=BB12_2239 Depth=4
	v_bfe_u32 v7, v0, 16, 1
	s_delay_alu instid0(VALU_DEP_1)
	v_add3_u32 v29, v0, v7, 0x7fff
                                        ; implicit-def: $vgpr0
; %bb.2260:                             ;   in Loop: Header=BB12_2239 Depth=4
	s_and_not1_saveexec_b32 s15, s15
; %bb.2261:                             ;   in Loop: Header=BB12_2239 Depth=4
	v_and_b32_e32 v7, 0xffff, v0
	v_or_b32_e32 v8, 0x10000, v0
	s_delay_alu instid0(VALU_DEP_2) | instskip(NEXT) | instid1(VALU_DEP_2)
	v_cmp_eq_u32_e32 vcc_lo, 0, v7
	v_cndmask_b32_e32 v29, v8, v0, vcc_lo
; %bb.2262:                             ;   in Loop: Header=BB12_2239 Depth=4
	s_or_b32 exec_lo, exec_lo, s15
	v_and_b32_e32 v0, 0xffff0000, v10
	s_delay_alu instid0(VALU_DEP_1) | instskip(NEXT) | instid1(VALU_DEP_1)
	v_mul_f32_e32 v0, v25, v0
	v_and_b32_e32 v7, 0x7f800000, v0
	s_delay_alu instid0(VALU_DEP_1) | instskip(SKIP_1) | instid1(SALU_CYCLE_1)
	v_cmp_ne_u32_e32 vcc_lo, 0x7f800000, v7
                                        ; implicit-def: $vgpr7
	s_and_saveexec_b32 s15, vcc_lo
	s_xor_b32 s15, exec_lo, s15
; %bb.2263:                             ;   in Loop: Header=BB12_2239 Depth=4
	v_bfe_u32 v7, v0, 16, 1
	s_delay_alu instid0(VALU_DEP_1)
	v_add3_u32 v7, v0, v7, 0x7fff
                                        ; implicit-def: $vgpr0
; %bb.2264:                             ;   in Loop: Header=BB12_2239 Depth=4
	s_and_not1_saveexec_b32 s15, s15
; %bb.2265:                             ;   in Loop: Header=BB12_2239 Depth=4
	v_and_b32_e32 v7, 0xffff, v0
	v_or_b32_e32 v8, 0x10000, v0
	s_delay_alu instid0(VALU_DEP_2) | instskip(NEXT) | instid1(VALU_DEP_2)
	v_cmp_eq_u32_e32 vcc_lo, 0, v7
	v_cndmask_b32_e32 v7, v8, v0, vcc_lo
; %bb.2266:                             ;   in Loop: Header=BB12_2239 Depth=4
	s_or_b32 exec_lo, exec_lo, s15
	v_lshlrev_b32_e32 v0, 16, v11
	s_mov_b32 s15, exec_lo
                                        ; implicit-def: $vgpr26
	s_delay_alu instid0(VALU_DEP_1) | instskip(NEXT) | instid1(VALU_DEP_1)
	v_mul_f32_e32 v0, v25, v0
	v_and_b32_e32 v8, 0x7f800000, v0
	s_delay_alu instid0(VALU_DEP_1)
	v_cmpx_ne_u32_e32 0x7f800000, v8
	s_xor_b32 s15, exec_lo, s15
; %bb.2267:                             ;   in Loop: Header=BB12_2239 Depth=4
	v_bfe_u32 v8, v0, 16, 1
	s_delay_alu instid0(VALU_DEP_1)
	v_add3_u32 v26, v0, v8, 0x7fff
                                        ; implicit-def: $vgpr0
; %bb.2268:                             ;   in Loop: Header=BB12_2239 Depth=4
	s_and_not1_saveexec_b32 s15, s15
; %bb.2269:                             ;   in Loop: Header=BB12_2239 Depth=4
	v_and_b32_e32 v8, 0xffff, v0
	v_or_b32_e32 v9, 0x10000, v0
	s_delay_alu instid0(VALU_DEP_2) | instskip(NEXT) | instid1(VALU_DEP_2)
	v_cmp_eq_u32_e32 vcc_lo, 0, v8
	v_cndmask_b32_e32 v26, v9, v0, vcc_lo
; %bb.2270:                             ;   in Loop: Header=BB12_2239 Depth=4
	s_or_b32 exec_lo, exec_lo, s15
	v_and_b32_e32 v0, 0xffff0000, v11
	s_delay_alu instid0(VALU_DEP_1) | instskip(NEXT) | instid1(VALU_DEP_1)
	v_mul_f32_e32 v8, v25, v0
	v_and_b32_e32 v0, 0x7f800000, v8
	s_delay_alu instid0(VALU_DEP_1) | instskip(SKIP_1) | instid1(SALU_CYCLE_1)
	v_cmp_ne_u32_e32 vcc_lo, 0x7f800000, v0
                                        ; implicit-def: $vgpr0
	s_and_saveexec_b32 s15, vcc_lo
	s_xor_b32 s15, exec_lo, s15
; %bb.2271:                             ;   in Loop: Header=BB12_2239 Depth=4
	v_bfe_u32 v0, v8, 16, 1
	s_delay_alu instid0(VALU_DEP_1)
	v_add3_u32 v0, v8, v0, 0x7fff
                                        ; implicit-def: $vgpr8
; %bb.2272:                             ;   in Loop: Header=BB12_2239 Depth=4
	s_and_not1_saveexec_b32 s15, s15
; %bb.2273:                             ;   in Loop: Header=BB12_2239 Depth=4
	v_and_b32_e32 v0, 0xffff, v8
	v_or_b32_e32 v9, 0x10000, v8
	s_delay_alu instid0(VALU_DEP_2) | instskip(NEXT) | instid1(VALU_DEP_2)
	v_cmp_eq_u32_e32 vcc_lo, 0, v0
	v_cndmask_b32_e32 v0, v9, v8, vcc_lo
; %bb.2274:                             ;   in Loop: Header=BB12_2239 Depth=4
	s_or_b32 exec_lo, exec_lo, s15
	scratch_load_b128 v[8:11], off, s33 offset:240
	v_and_b32_e32 v6, 0xffff0000, v6
	s_wait_loadcnt 0x0
	v_lshlrev_b32_e32 v19, 16, v8
	s_delay_alu instid0(VALU_DEP_1) | instskip(NEXT) | instid1(VALU_DEP_1)
	v_add_f32_e32 v19, v6, v19
	v_and_b32_e32 v6, 0x7f800000, v19
	s_delay_alu instid0(VALU_DEP_1) | instskip(SKIP_2) | instid1(SALU_CYCLE_1)
	v_cmp_ne_u32_e32 vcc_lo, 0x7f800000, v6
                                        ; implicit-def: $vgpr6
	s_wait_xcnt 0x0
	s_and_saveexec_b32 s15, vcc_lo
	s_xor_b32 s15, exec_lo, s15
; %bb.2275:                             ;   in Loop: Header=BB12_2239 Depth=4
	v_bfe_u32 v6, v19, 16, 1
	s_delay_alu instid0(VALU_DEP_1)
	v_add3_u32 v6, v19, v6, 0x7fff
                                        ; implicit-def: $vgpr19
; %bb.2276:                             ;   in Loop: Header=BB12_2239 Depth=4
	s_and_not1_saveexec_b32 s15, s15
; %bb.2277:                             ;   in Loop: Header=BB12_2239 Depth=4
	v_and_b32_e32 v6, 0xffff, v19
	v_or_b32_e32 v31, 0x10000, v19
	s_delay_alu instid0(VALU_DEP_2) | instskip(NEXT) | instid1(VALU_DEP_2)
	v_cmp_eq_u32_e32 vcc_lo, 0, v6
	v_cndmask_b32_e32 v6, v31, v19, vcc_lo
; %bb.2278:                             ;   in Loop: Header=BB12_2239 Depth=4
	s_or_b32 exec_lo, exec_lo, s15
	v_and_b32_e32 v19, 0xffff0000, v8
	v_and_b32_e32 v18, 0xffff0000, v18
	s_delay_alu instid0(VALU_DEP_2) | instskip(NEXT) | instid1(VALU_DEP_1)
	v_mov_b32_e32 v8, v19
	v_pk_add_f32 v[18:19], v[8:9], v[18:19]
	s_delay_alu instid0(VALU_DEP_1) | instskip(NEXT) | instid1(VALU_DEP_1)
	v_and_b32_e32 v8, 0x7f800000, v18
	v_cmp_ne_u32_e32 vcc_lo, 0x7f800000, v8
                                        ; implicit-def: $vgpr8
	s_and_saveexec_b32 s15, vcc_lo
	s_delay_alu instid0(SALU_CYCLE_1)
	s_xor_b32 s15, exec_lo, s15
; %bb.2279:                             ;   in Loop: Header=BB12_2239 Depth=4
	v_bfe_u32 v8, v18, 16, 1
	s_delay_alu instid0(VALU_DEP_1)
	v_add3_u32 v8, v18, v8, 0x7fff
                                        ; implicit-def: $vgpr18_vgpr19
; %bb.2280:                             ;   in Loop: Header=BB12_2239 Depth=4
	s_and_not1_saveexec_b32 s15, s15
; %bb.2281:                             ;   in Loop: Header=BB12_2239 Depth=4
	v_and_b32_e32 v8, 0xffff, v18
	v_or_b32_e32 v19, 0x10000, v18
	s_delay_alu instid0(VALU_DEP_2) | instskip(NEXT) | instid1(VALU_DEP_2)
	v_cmp_eq_u32_e32 vcc_lo, 0, v8
	v_cndmask_b32_e32 v8, v19, v18, vcc_lo
; %bb.2282:                             ;   in Loop: Header=BB12_2239 Depth=4
	s_or_b32 exec_lo, exec_lo, s15
	v_and_b32_e32 v18, 0xffff0000, v30
	v_lshlrev_b32_e32 v19, 16, v9
	s_delay_alu instid0(VALU_DEP_1) | instskip(NEXT) | instid1(VALU_DEP_1)
	v_add_f32_e32 v19, v18, v19
	v_and_b32_e32 v18, 0x7f800000, v19
	s_delay_alu instid0(VALU_DEP_1) | instskip(SKIP_1) | instid1(SALU_CYCLE_1)
	v_cmp_ne_u32_e32 vcc_lo, 0x7f800000, v18
                                        ; implicit-def: $vgpr18
	s_and_saveexec_b32 s15, vcc_lo
	s_xor_b32 s15, exec_lo, s15
; %bb.2283:                             ;   in Loop: Header=BB12_2239 Depth=4
	v_bfe_u32 v18, v19, 16, 1
	s_delay_alu instid0(VALU_DEP_1)
	v_add3_u32 v18, v19, v18, 0x7fff
                                        ; implicit-def: $vgpr19
; %bb.2284:                             ;   in Loop: Header=BB12_2239 Depth=4
	s_and_not1_saveexec_b32 s15, s15
; %bb.2285:                             ;   in Loop: Header=BB12_2239 Depth=4
	v_and_b32_e32 v18, 0xffff, v19
	v_or_b32_e32 v30, 0x10000, v19
	s_delay_alu instid0(VALU_DEP_2) | instskip(NEXT) | instid1(VALU_DEP_2)
	v_cmp_eq_u32_e32 vcc_lo, 0, v18
	v_cndmask_b32_e32 v18, v30, v19, vcc_lo
; %bb.2286:                             ;   in Loop: Header=BB12_2239 Depth=4
	s_or_b32 exec_lo, exec_lo, s15
	v_and_b32_e32 v9, 0xffff0000, v9
	v_and_b32_e32 v19, 0xffff0000, v27
	s_delay_alu instid0(VALU_DEP_1) | instskip(NEXT) | instid1(VALU_DEP_1)
	v_add_f32_e32 v19, v19, v9
	v_and_b32_e32 v9, 0x7f800000, v19
	s_delay_alu instid0(VALU_DEP_1) | instskip(SKIP_1) | instid1(SALU_CYCLE_1)
	v_cmp_ne_u32_e32 vcc_lo, 0x7f800000, v9
                                        ; implicit-def: $vgpr9
	s_and_saveexec_b32 s15, vcc_lo
	s_xor_b32 s15, exec_lo, s15
; %bb.2287:                             ;   in Loop: Header=BB12_2239 Depth=4
	v_bfe_u32 v9, v19, 16, 1
	s_delay_alu instid0(VALU_DEP_1)
	v_add3_u32 v9, v19, v9, 0x7fff
                                        ; implicit-def: $vgpr19
; %bb.2288:                             ;   in Loop: Header=BB12_2239 Depth=4
	s_and_not1_saveexec_b32 s15, s15
; %bb.2289:                             ;   in Loop: Header=BB12_2239 Depth=4
	v_and_b32_e32 v9, 0xffff, v19
	v_or_b32_e32 v27, 0x10000, v19
	s_delay_alu instid0(VALU_DEP_2) | instskip(NEXT) | instid1(VALU_DEP_2)
	v_cmp_eq_u32_e32 vcc_lo, 0, v9
	v_cndmask_b32_e32 v9, v27, v19, vcc_lo
; %bb.2290:                             ;   in Loop: Header=BB12_2239 Depth=4
	s_or_b32 exec_lo, exec_lo, s15
	v_and_b32_e32 v19, 0xffff0000, v29
	v_lshlrev_b32_e32 v27, 16, v10
	s_delay_alu instid0(VALU_DEP_1) | instskip(NEXT) | instid1(VALU_DEP_1)
	v_add_f32_e32 v27, v19, v27
	v_and_b32_e32 v19, 0x7f800000, v27
	s_delay_alu instid0(VALU_DEP_1) | instskip(SKIP_1) | instid1(SALU_CYCLE_1)
	v_cmp_ne_u32_e32 vcc_lo, 0x7f800000, v19
                                        ; implicit-def: $vgpr19
	s_and_saveexec_b32 s15, vcc_lo
	s_xor_b32 s15, exec_lo, s15
; %bb.2291:                             ;   in Loop: Header=BB12_2239 Depth=4
	v_bfe_u32 v19, v27, 16, 1
	s_delay_alu instid0(VALU_DEP_1)
	v_add3_u32 v19, v27, v19, 0x7fff
                                        ; implicit-def: $vgpr27
; %bb.2292:                             ;   in Loop: Header=BB12_2239 Depth=4
	s_and_not1_saveexec_b32 s15, s15
; %bb.2293:                             ;   in Loop: Header=BB12_2239 Depth=4
	v_and_b32_e32 v19, 0xffff, v27
	v_or_b32_e32 v29, 0x10000, v27
	s_delay_alu instid0(VALU_DEP_2) | instskip(NEXT) | instid1(VALU_DEP_2)
	v_cmp_eq_u32_e32 vcc_lo, 0, v19
	v_cndmask_b32_e32 v19, v29, v27, vcc_lo
; %bb.2294:                             ;   in Loop: Header=BB12_2239 Depth=4
	s_or_b32 exec_lo, exec_lo, s15
	v_and_b32_e32 v10, 0xffff0000, v10
	v_and_b32_e32 v7, 0xffff0000, v7
	s_delay_alu instid0(VALU_DEP_1) | instskip(NEXT) | instid1(VALU_DEP_1)
	v_add_f32_e32 v10, v7, v10
	v_and_b32_e32 v7, 0x7f800000, v10
	s_delay_alu instid0(VALU_DEP_1) | instskip(SKIP_1) | instid1(SALU_CYCLE_1)
	v_cmp_ne_u32_e32 vcc_lo, 0x7f800000, v7
                                        ; implicit-def: $vgpr7
	s_and_saveexec_b32 s15, vcc_lo
	s_xor_b32 s15, exec_lo, s15
; %bb.2295:                             ;   in Loop: Header=BB12_2239 Depth=4
	v_bfe_u32 v7, v10, 16, 1
	s_delay_alu instid0(VALU_DEP_1)
	v_add3_u32 v7, v10, v7, 0x7fff
                                        ; implicit-def: $vgpr10
; %bb.2296:                             ;   in Loop: Header=BB12_2239 Depth=4
	s_and_not1_saveexec_b32 s15, s15
; %bb.2297:                             ;   in Loop: Header=BB12_2239 Depth=4
	v_and_b32_e32 v7, 0xffff, v10
	v_or_b32_e32 v27, 0x10000, v10
	s_delay_alu instid0(VALU_DEP_2) | instskip(NEXT) | instid1(VALU_DEP_2)
	v_cmp_eq_u32_e32 vcc_lo, 0, v7
	v_cndmask_b32_e32 v7, v27, v10, vcc_lo
; %bb.2298:                             ;   in Loop: Header=BB12_2239 Depth=4
	s_or_b32 exec_lo, exec_lo, s15
	v_and_b32_e32 v10, 0xffff0000, v26
	v_lshlrev_b32_e32 v26, 16, v11
	s_delay_alu instid0(VALU_DEP_1) | instskip(NEXT) | instid1(VALU_DEP_1)
	v_add_f32_e32 v26, v10, v26
	v_and_b32_e32 v10, 0x7f800000, v26
	s_delay_alu instid0(VALU_DEP_1) | instskip(SKIP_1) | instid1(SALU_CYCLE_1)
	v_cmp_ne_u32_e32 vcc_lo, 0x7f800000, v10
                                        ; implicit-def: $vgpr10
	s_and_saveexec_b32 s15, vcc_lo
	s_xor_b32 s15, exec_lo, s15
; %bb.2299:                             ;   in Loop: Header=BB12_2239 Depth=4
	v_bfe_u32 v10, v26, 16, 1
	s_delay_alu instid0(VALU_DEP_1)
	v_add3_u32 v10, v26, v10, 0x7fff
                                        ; implicit-def: $vgpr26
; %bb.2300:                             ;   in Loop: Header=BB12_2239 Depth=4
	s_and_not1_saveexec_b32 s15, s15
; %bb.2301:                             ;   in Loop: Header=BB12_2239 Depth=4
	v_and_b32_e32 v10, 0xffff, v26
	v_or_b32_e32 v27, 0x10000, v26
	s_delay_alu instid0(VALU_DEP_2) | instskip(NEXT) | instid1(VALU_DEP_2)
	v_cmp_eq_u32_e32 vcc_lo, 0, v10
	v_cndmask_b32_e32 v10, v27, v26, vcc_lo
; %bb.2302:                             ;   in Loop: Header=BB12_2239 Depth=4
	s_or_b32 exec_lo, exec_lo, s15
	v_and_b32_e32 v11, 0xffff0000, v11
	v_and_b32_e32 v0, 0xffff0000, v0
	s_delay_alu instid0(VALU_DEP_1) | instskip(NEXT) | instid1(VALU_DEP_1)
	v_add_f32_e32 v11, v0, v11
	v_and_b32_e32 v0, 0x7f800000, v11
	s_delay_alu instid0(VALU_DEP_1) | instskip(SKIP_1) | instid1(SALU_CYCLE_1)
	v_cmp_ne_u32_e32 vcc_lo, 0x7f800000, v0
                                        ; implicit-def: $vgpr0
	s_and_saveexec_b32 s15, vcc_lo
	s_xor_b32 s15, exec_lo, s15
; %bb.2303:                             ;   in Loop: Header=BB12_2239 Depth=4
	v_bfe_u32 v0, v11, 16, 1
	s_delay_alu instid0(VALU_DEP_1)
	v_add3_u32 v0, v11, v0, 0x7fff
                                        ; implicit-def: $vgpr11
; %bb.2304:                             ;   in Loop: Header=BB12_2239 Depth=4
	s_and_not1_saveexec_b32 s15, s15
; %bb.2305:                             ;   in Loop: Header=BB12_2239 Depth=4
	v_and_b32_e32 v0, 0xffff, v11
	v_or_b32_e32 v26, 0x10000, v11
	s_delay_alu instid0(VALU_DEP_2) | instskip(NEXT) | instid1(VALU_DEP_2)
	v_cmp_eq_u32_e32 vcc_lo, 0, v0
	v_cndmask_b32_e32 v0, v26, v11, vcc_lo
; %bb.2306:                             ;   in Loop: Header=BB12_2239 Depth=4
	s_or_b32 exec_lo, exec_lo, s15
	v_dual_lshrrev_b32 v11, 16, v18 :: v_dual_lshrrev_b32 v18, 16, v19
	v_lshrrev_b32_e32 v6, 16, v6
	v_lshrrev_b32_e32 v19, 16, v10
	s_delay_alu instid0(VALU_DEP_3) | instskip(NEXT) | instid1(VALU_DEP_4)
	v_and_or_b32 v9, 0xffff0000, v9, v11
	v_and_or_b32 v10, 0xffff0000, v7, v18
	s_delay_alu instid0(VALU_DEP_4)
	v_and_or_b32 v8, 0xffff0000, v8, v6
	scratch_load_b64 v[6:7], off, s33 offset:264 ; 8-byte Folded Reload
	v_and_or_b32 v11, 0xffff0000, v0, v19
	global_store_b128 v[12:13], v[8:11], off th:TH_STORE_NT
	scratch_store_b128 off, v[8:11], s33 offset:224
	s_wait_loadcnt 0x0
	s_wait_xcnt 0x1
	v_add_nc_u64_e32 v[12:13], v[6:7], v[12:13]
.LBB12_2307:                            ;   in Loop: Header=BB12_2239 Depth=4
	s_wait_xcnt 0x0
	s_or_b32 exec_lo, exec_lo, s14
	scratch_load_b64 v[6:7], off, s33 offset:256 ; 8-byte Folded Reload
	v_lshlrev_b32_e32 v0, 9, v60
	s_delay_alu instid0(VALU_DEP_1) | instskip(NEXT) | instid1(VALU_DEP_1)
	v_sub_nc_u32_e32 v1, v1, v0
	v_cmp_lt_i32_e64 s90, 15, v1
	s_wait_loadcnt 0x0
	v_add_nc_u64_e32 v[14:15], v[14:15], v[6:7]
	v_add_nc_u64_e32 v[16:17], v[16:17], v[6:7]
	s_wait_xcnt 0x0
	s_and_saveexec_b32 s91, s90
	s_cbranch_execz .LBB12_2310
; %bb.2308:                             ;   in Loop: Header=BB12_2239 Depth=4
	s_add_co_i32 s14, s33, 0xe0
	s_mov_b64 s[40:41], 0
	s_mov_b32 s92, s14
	s_mov_b32 s93, -1
.LBB12_2309:                            ;   Parent Loop BB12_47 Depth=1
                                        ;     Parent Loop BB12_1372 Depth=2
                                        ;       Parent Loop BB12_1375 Depth=3
                                        ;         Parent Loop BB12_2239 Depth=4
                                        ; =>        This Inner Loop Header: Depth=5
	s_cmp_eq_u32 s40, 1
	s_cselect_b32 vcc_lo, -1, 0
	s_cmp_eq_u32 s40, 0
	v_dual_cndmask_b32 v11, v15, v17 :: v_dual_cndmask_b32 v10, v14, v16
	s_cselect_b32 s14, -1, 0
	s_and_b32 s15, exec_lo, s93
	s_mov_b64 s[40:41], 1
	s_mov_b32 s93, 0
	global_load_b128 v[6:9], v[10:11], off th:TH_LOAD_NT
	s_wait_xcnt 0x0
	v_add_nc_u64_e32 v[10:11], 0x200, v[10:11]
	s_delay_alu instid0(VALU_DEP_1)
	v_dual_cndmask_b32 v15, v15, v11, s14 :: v_dual_cndmask_b32 v14, v14, v10, s14
	v_dual_cndmask_b32 v17, v17, v11 :: v_dual_cndmask_b32 v16, v16, v10
	s_mov_b32 vcc_lo, s15
	s_wait_loadcnt 0x0
	scratch_store_b128 off, v[6:9], s92
	s_wait_xcnt 0x0
	s_mov_b32 s92, s47
	s_cbranch_vccnz .LBB12_2309
.LBB12_2310:                            ;   in Loop: Header=BB12_2239 Depth=4
	s_or_b32 exec_lo, exec_lo, s91
	scratch_load_b128 v[8:11], off, s33 offset:192
	s_wait_loadcnt 0x0
	v_lshlrev_b32_e32 v0, 16, v8
	s_delay_alu instid0(VALU_DEP_1) | instskip(NEXT) | instid1(VALU_DEP_1)
	v_mul_f32_e32 v6, v25, v0
	v_and_b32_e32 v0, 0x7f800000, v6
	s_delay_alu instid0(VALU_DEP_1) | instskip(SKIP_2) | instid1(SALU_CYCLE_1)
	v_cmp_ne_u32_e32 vcc_lo, 0x7f800000, v0
                                        ; implicit-def: $vgpr0
	s_wait_xcnt 0x0
	s_and_saveexec_b32 s14, vcc_lo
	s_xor_b32 s14, exec_lo, s14
; %bb.2311:                             ;   in Loop: Header=BB12_2239 Depth=4
	v_bfe_u32 v0, v6, 16, 1
	s_delay_alu instid0(VALU_DEP_1)
	v_add3_u32 v0, v6, v0, 0x7fff
                                        ; implicit-def: $vgpr6
; %bb.2312:                             ;   in Loop: Header=BB12_2239 Depth=4
	s_and_not1_saveexec_b32 s14, s14
; %bb.2313:                             ;   in Loop: Header=BB12_2239 Depth=4
	v_and_b32_e32 v0, 0xffff, v6
	v_or_b32_e32 v7, 0x10000, v6
	s_delay_alu instid0(VALU_DEP_2) | instskip(NEXT) | instid1(VALU_DEP_2)
	v_cmp_eq_u32_e32 vcc_lo, 0, v0
	v_cndmask_b32_e32 v0, v7, v6, vcc_lo
; %bb.2314:                             ;   in Loop: Header=BB12_2239 Depth=4
	s_or_b32 exec_lo, exec_lo, s14
	v_and_b32_e32 v6, 0xffff0000, v8
	s_mov_b32 s14, exec_lo
                                        ; implicit-def: $vgpr18
	s_delay_alu instid0(VALU_DEP_1) | instskip(NEXT) | instid1(VALU_DEP_1)
	v_mul_f32_e32 v6, v25, v6
	v_and_b32_e32 v7, 0x7f800000, v6
	s_delay_alu instid0(VALU_DEP_1)
	v_cmpx_ne_u32_e32 0x7f800000, v7
	s_xor_b32 s14, exec_lo, s14
; %bb.2315:                             ;   in Loop: Header=BB12_2239 Depth=4
	v_bfe_u32 v7, v6, 16, 1
	s_delay_alu instid0(VALU_DEP_1)
	v_add3_u32 v18, v6, v7, 0x7fff
                                        ; implicit-def: $vgpr6
; %bb.2316:                             ;   in Loop: Header=BB12_2239 Depth=4
	s_and_not1_saveexec_b32 s14, s14
; %bb.2317:                             ;   in Loop: Header=BB12_2239 Depth=4
	v_and_b32_e32 v7, 0xffff, v6
	v_or_b32_e32 v8, 0x10000, v6
	s_delay_alu instid0(VALU_DEP_2) | instskip(NEXT) | instid1(VALU_DEP_2)
	v_cmp_eq_u32_e32 vcc_lo, 0, v7
	v_cndmask_b32_e32 v18, v8, v6, vcc_lo
; %bb.2318:                             ;   in Loop: Header=BB12_2239 Depth=4
	s_or_b32 exec_lo, exec_lo, s14
	v_lshlrev_b32_e32 v6, 16, v9
	s_mov_b32 s14, exec_lo
                                        ; implicit-def: $vgpr30
	s_delay_alu instid0(VALU_DEP_1) | instskip(NEXT) | instid1(VALU_DEP_1)
	v_mul_f32_e32 v6, v25, v6
	v_and_b32_e32 v7, 0x7f800000, v6
	s_delay_alu instid0(VALU_DEP_1)
	v_cmpx_ne_u32_e32 0x7f800000, v7
	s_xor_b32 s14, exec_lo, s14
; %bb.2319:                             ;   in Loop: Header=BB12_2239 Depth=4
	v_bfe_u32 v7, v6, 16, 1
	s_delay_alu instid0(VALU_DEP_1)
	v_add3_u32 v30, v6, v7, 0x7fff
                                        ; implicit-def: $vgpr6
; %bb.2320:                             ;   in Loop: Header=BB12_2239 Depth=4
	s_and_not1_saveexec_b32 s14, s14
; %bb.2321:                             ;   in Loop: Header=BB12_2239 Depth=4
	v_and_b32_e32 v7, 0xffff, v6
	v_or_b32_e32 v8, 0x10000, v6
	s_delay_alu instid0(VALU_DEP_2) | instskip(NEXT) | instid1(VALU_DEP_2)
	v_cmp_eq_u32_e32 vcc_lo, 0, v7
	v_cndmask_b32_e32 v30, v8, v6, vcc_lo
; %bb.2322:                             ;   in Loop: Header=BB12_2239 Depth=4
	s_or_b32 exec_lo, exec_lo, s14
	v_and_b32_e32 v6, 0xffff0000, v9
	s_mov_b32 s14, exec_lo
                                        ; implicit-def: $vgpr27
	s_delay_alu instid0(VALU_DEP_1) | instskip(NEXT) | instid1(VALU_DEP_1)
	v_mul_f32_e32 v6, v25, v6
	v_and_b32_e32 v7, 0x7f800000, v6
	s_delay_alu instid0(VALU_DEP_1)
	v_cmpx_ne_u32_e32 0x7f800000, v7
	s_xor_b32 s14, exec_lo, s14
; %bb.2323:                             ;   in Loop: Header=BB12_2239 Depth=4
	v_bfe_u32 v7, v6, 16, 1
	s_delay_alu instid0(VALU_DEP_1)
	v_add3_u32 v27, v6, v7, 0x7fff
                                        ; implicit-def: $vgpr6
; %bb.2324:                             ;   in Loop: Header=BB12_2239 Depth=4
	s_and_not1_saveexec_b32 s14, s14
; %bb.2325:                             ;   in Loop: Header=BB12_2239 Depth=4
	v_and_b32_e32 v7, 0xffff, v6
	v_or_b32_e32 v8, 0x10000, v6
	s_delay_alu instid0(VALU_DEP_2) | instskip(NEXT) | instid1(VALU_DEP_2)
	v_cmp_eq_u32_e32 vcc_lo, 0, v7
	v_cndmask_b32_e32 v27, v8, v6, vcc_lo
; %bb.2326:                             ;   in Loop: Header=BB12_2239 Depth=4
	s_or_b32 exec_lo, exec_lo, s14
	v_lshlrev_b32_e32 v6, 16, v10
	s_mov_b32 s14, exec_lo
                                        ; implicit-def: $vgpr29
	s_delay_alu instid0(VALU_DEP_1) | instskip(NEXT) | instid1(VALU_DEP_1)
	v_mul_f32_e32 v6, v25, v6
	v_and_b32_e32 v7, 0x7f800000, v6
	s_delay_alu instid0(VALU_DEP_1)
	v_cmpx_ne_u32_e32 0x7f800000, v7
	s_xor_b32 s14, exec_lo, s14
; %bb.2327:                             ;   in Loop: Header=BB12_2239 Depth=4
	v_bfe_u32 v7, v6, 16, 1
	s_delay_alu instid0(VALU_DEP_1)
	v_add3_u32 v29, v6, v7, 0x7fff
                                        ; implicit-def: $vgpr6
; %bb.2328:                             ;   in Loop: Header=BB12_2239 Depth=4
	s_and_not1_saveexec_b32 s14, s14
; %bb.2329:                             ;   in Loop: Header=BB12_2239 Depth=4
	v_and_b32_e32 v7, 0xffff, v6
	v_or_b32_e32 v8, 0x10000, v6
	s_delay_alu instid0(VALU_DEP_2) | instskip(NEXT) | instid1(VALU_DEP_2)
	v_cmp_eq_u32_e32 vcc_lo, 0, v7
	v_cndmask_b32_e32 v29, v8, v6, vcc_lo
; %bb.2330:                             ;   in Loop: Header=BB12_2239 Depth=4
	s_or_b32 exec_lo, exec_lo, s14
	v_and_b32_e32 v6, 0xffff0000, v10
	s_delay_alu instid0(VALU_DEP_1) | instskip(NEXT) | instid1(VALU_DEP_1)
	v_mul_f32_e32 v6, v25, v6
	v_and_b32_e32 v7, 0x7f800000, v6
	s_delay_alu instid0(VALU_DEP_1) | instskip(SKIP_1) | instid1(SALU_CYCLE_1)
	v_cmp_ne_u32_e32 vcc_lo, 0x7f800000, v7
                                        ; implicit-def: $vgpr7
	s_and_saveexec_b32 s14, vcc_lo
	s_xor_b32 s14, exec_lo, s14
; %bb.2331:                             ;   in Loop: Header=BB12_2239 Depth=4
	v_bfe_u32 v7, v6, 16, 1
	s_delay_alu instid0(VALU_DEP_1)
	v_add3_u32 v7, v6, v7, 0x7fff
                                        ; implicit-def: $vgpr6
; %bb.2332:                             ;   in Loop: Header=BB12_2239 Depth=4
	s_and_not1_saveexec_b32 s14, s14
; %bb.2333:                             ;   in Loop: Header=BB12_2239 Depth=4
	v_and_b32_e32 v7, 0xffff, v6
	v_or_b32_e32 v8, 0x10000, v6
	s_delay_alu instid0(VALU_DEP_2) | instskip(NEXT) | instid1(VALU_DEP_2)
	v_cmp_eq_u32_e32 vcc_lo, 0, v7
	v_cndmask_b32_e32 v7, v8, v6, vcc_lo
; %bb.2334:                             ;   in Loop: Header=BB12_2239 Depth=4
	s_or_b32 exec_lo, exec_lo, s14
	v_lshlrev_b32_e32 v6, 16, v11
	s_mov_b32 s14, exec_lo
                                        ; implicit-def: $vgpr26
	s_delay_alu instid0(VALU_DEP_1) | instskip(NEXT) | instid1(VALU_DEP_1)
	v_mul_f32_e32 v6, v25, v6
	v_and_b32_e32 v8, 0x7f800000, v6
	s_delay_alu instid0(VALU_DEP_1)
	v_cmpx_ne_u32_e32 0x7f800000, v8
	s_xor_b32 s14, exec_lo, s14
; %bb.2335:                             ;   in Loop: Header=BB12_2239 Depth=4
	v_bfe_u32 v8, v6, 16, 1
	s_delay_alu instid0(VALU_DEP_1)
	v_add3_u32 v26, v6, v8, 0x7fff
                                        ; implicit-def: $vgpr6
; %bb.2336:                             ;   in Loop: Header=BB12_2239 Depth=4
	s_and_not1_saveexec_b32 s14, s14
; %bb.2337:                             ;   in Loop: Header=BB12_2239 Depth=4
	v_and_b32_e32 v8, 0xffff, v6
	v_or_b32_e32 v9, 0x10000, v6
	s_delay_alu instid0(VALU_DEP_2) | instskip(NEXT) | instid1(VALU_DEP_2)
	v_cmp_eq_u32_e32 vcc_lo, 0, v8
	v_cndmask_b32_e32 v26, v9, v6, vcc_lo
; %bb.2338:                             ;   in Loop: Header=BB12_2239 Depth=4
	s_or_b32 exec_lo, exec_lo, s14
	v_and_b32_e32 v6, 0xffff0000, v11
	s_delay_alu instid0(VALU_DEP_1) | instskip(NEXT) | instid1(VALU_DEP_1)
	v_mul_f32_e32 v8, v25, v6
	v_and_b32_e32 v6, 0x7f800000, v8
	s_delay_alu instid0(VALU_DEP_1) | instskip(SKIP_1) | instid1(SALU_CYCLE_1)
	v_cmp_ne_u32_e32 vcc_lo, 0x7f800000, v6
                                        ; implicit-def: $vgpr6
	s_and_saveexec_b32 s14, vcc_lo
	s_xor_b32 s14, exec_lo, s14
; %bb.2339:                             ;   in Loop: Header=BB12_2239 Depth=4
	v_bfe_u32 v6, v8, 16, 1
	s_delay_alu instid0(VALU_DEP_1)
	v_add3_u32 v6, v8, v6, 0x7fff
                                        ; implicit-def: $vgpr8
; %bb.2340:                             ;   in Loop: Header=BB12_2239 Depth=4
	s_and_not1_saveexec_b32 s14, s14
; %bb.2341:                             ;   in Loop: Header=BB12_2239 Depth=4
	v_and_b32_e32 v6, 0xffff, v8
	v_or_b32_e32 v9, 0x10000, v8
	s_delay_alu instid0(VALU_DEP_2) | instskip(NEXT) | instid1(VALU_DEP_2)
	v_cmp_eq_u32_e32 vcc_lo, 0, v6
	v_cndmask_b32_e32 v6, v9, v8, vcc_lo
; %bb.2342:                             ;   in Loop: Header=BB12_2239 Depth=4
	s_or_b32 exec_lo, exec_lo, s14
	scratch_load_b128 v[8:11], off, s33 offset:208
	v_and_b32_e32 v0, 0xffff0000, v0
	s_wait_loadcnt 0x0
	v_lshlrev_b32_e32 v19, 16, v8
	s_delay_alu instid0(VALU_DEP_1) | instskip(NEXT) | instid1(VALU_DEP_1)
	v_add_f32_e32 v19, v0, v19
	v_and_b32_e32 v0, 0x7f800000, v19
	s_delay_alu instid0(VALU_DEP_1) | instskip(SKIP_2) | instid1(SALU_CYCLE_1)
	v_cmp_ne_u32_e32 vcc_lo, 0x7f800000, v0
                                        ; implicit-def: $vgpr0
	s_wait_xcnt 0x0
	s_and_saveexec_b32 s14, vcc_lo
	s_xor_b32 s14, exec_lo, s14
; %bb.2343:                             ;   in Loop: Header=BB12_2239 Depth=4
	v_bfe_u32 v0, v19, 16, 1
	s_delay_alu instid0(VALU_DEP_1)
	v_add3_u32 v0, v19, v0, 0x7fff
                                        ; implicit-def: $vgpr19
; %bb.2344:                             ;   in Loop: Header=BB12_2239 Depth=4
	s_and_not1_saveexec_b32 s14, s14
; %bb.2345:                             ;   in Loop: Header=BB12_2239 Depth=4
	v_and_b32_e32 v0, 0xffff, v19
	v_or_b32_e32 v31, 0x10000, v19
	s_delay_alu instid0(VALU_DEP_2) | instskip(NEXT) | instid1(VALU_DEP_2)
	v_cmp_eq_u32_e32 vcc_lo, 0, v0
	v_cndmask_b32_e32 v0, v31, v19, vcc_lo
; %bb.2346:                             ;   in Loop: Header=BB12_2239 Depth=4
	s_or_b32 exec_lo, exec_lo, s14
	v_and_b32_e32 v19, 0xffff0000, v8
	v_and_b32_e32 v18, 0xffff0000, v18
	s_delay_alu instid0(VALU_DEP_2) | instskip(NEXT) | instid1(VALU_DEP_1)
	v_mov_b32_e32 v8, v19
	v_pk_add_f32 v[18:19], v[8:9], v[18:19]
	s_delay_alu instid0(VALU_DEP_1) | instskip(NEXT) | instid1(VALU_DEP_1)
	v_and_b32_e32 v8, 0x7f800000, v18
	v_cmp_ne_u32_e32 vcc_lo, 0x7f800000, v8
                                        ; implicit-def: $vgpr8
	s_and_saveexec_b32 s14, vcc_lo
	s_delay_alu instid0(SALU_CYCLE_1)
	s_xor_b32 s14, exec_lo, s14
; %bb.2347:                             ;   in Loop: Header=BB12_2239 Depth=4
	v_bfe_u32 v8, v18, 16, 1
	s_delay_alu instid0(VALU_DEP_1)
	v_add3_u32 v8, v18, v8, 0x7fff
                                        ; implicit-def: $vgpr18_vgpr19
; %bb.2348:                             ;   in Loop: Header=BB12_2239 Depth=4
	s_and_not1_saveexec_b32 s14, s14
; %bb.2349:                             ;   in Loop: Header=BB12_2239 Depth=4
	v_and_b32_e32 v8, 0xffff, v18
	v_or_b32_e32 v19, 0x10000, v18
	s_delay_alu instid0(VALU_DEP_2) | instskip(NEXT) | instid1(VALU_DEP_2)
	v_cmp_eq_u32_e32 vcc_lo, 0, v8
	v_cndmask_b32_e32 v8, v19, v18, vcc_lo
; %bb.2350:                             ;   in Loop: Header=BB12_2239 Depth=4
	s_or_b32 exec_lo, exec_lo, s14
	v_and_b32_e32 v18, 0xffff0000, v30
	v_lshlrev_b32_e32 v19, 16, v9
	s_delay_alu instid0(VALU_DEP_1) | instskip(NEXT) | instid1(VALU_DEP_1)
	v_add_f32_e32 v19, v18, v19
	v_and_b32_e32 v18, 0x7f800000, v19
	s_delay_alu instid0(VALU_DEP_1) | instskip(SKIP_1) | instid1(SALU_CYCLE_1)
	v_cmp_ne_u32_e32 vcc_lo, 0x7f800000, v18
                                        ; implicit-def: $vgpr18
	s_and_saveexec_b32 s14, vcc_lo
	s_xor_b32 s14, exec_lo, s14
; %bb.2351:                             ;   in Loop: Header=BB12_2239 Depth=4
	v_bfe_u32 v18, v19, 16, 1
	s_delay_alu instid0(VALU_DEP_1)
	v_add3_u32 v18, v19, v18, 0x7fff
                                        ; implicit-def: $vgpr19
; %bb.2352:                             ;   in Loop: Header=BB12_2239 Depth=4
	s_and_not1_saveexec_b32 s14, s14
; %bb.2353:                             ;   in Loop: Header=BB12_2239 Depth=4
	v_and_b32_e32 v18, 0xffff, v19
	v_or_b32_e32 v30, 0x10000, v19
	s_delay_alu instid0(VALU_DEP_2) | instskip(NEXT) | instid1(VALU_DEP_2)
	v_cmp_eq_u32_e32 vcc_lo, 0, v18
	v_cndmask_b32_e32 v18, v30, v19, vcc_lo
; %bb.2354:                             ;   in Loop: Header=BB12_2239 Depth=4
	s_or_b32 exec_lo, exec_lo, s14
	v_and_b32_e32 v9, 0xffff0000, v9
	v_and_b32_e32 v19, 0xffff0000, v27
	s_delay_alu instid0(VALU_DEP_1) | instskip(NEXT) | instid1(VALU_DEP_1)
	v_add_f32_e32 v19, v19, v9
	v_and_b32_e32 v9, 0x7f800000, v19
	s_delay_alu instid0(VALU_DEP_1) | instskip(SKIP_1) | instid1(SALU_CYCLE_1)
	v_cmp_ne_u32_e32 vcc_lo, 0x7f800000, v9
                                        ; implicit-def: $vgpr9
	s_and_saveexec_b32 s14, vcc_lo
	s_xor_b32 s14, exec_lo, s14
; %bb.2355:                             ;   in Loop: Header=BB12_2239 Depth=4
	v_bfe_u32 v9, v19, 16, 1
	s_delay_alu instid0(VALU_DEP_1)
	v_add3_u32 v9, v19, v9, 0x7fff
                                        ; implicit-def: $vgpr19
; %bb.2356:                             ;   in Loop: Header=BB12_2239 Depth=4
	s_and_not1_saveexec_b32 s14, s14
; %bb.2357:                             ;   in Loop: Header=BB12_2239 Depth=4
	v_and_b32_e32 v9, 0xffff, v19
	v_or_b32_e32 v27, 0x10000, v19
	s_delay_alu instid0(VALU_DEP_2) | instskip(NEXT) | instid1(VALU_DEP_2)
	v_cmp_eq_u32_e32 vcc_lo, 0, v9
	v_cndmask_b32_e32 v9, v27, v19, vcc_lo
; %bb.2358:                             ;   in Loop: Header=BB12_2239 Depth=4
	s_or_b32 exec_lo, exec_lo, s14
	v_and_b32_e32 v19, 0xffff0000, v29
	v_lshlrev_b32_e32 v27, 16, v10
	s_delay_alu instid0(VALU_DEP_1) | instskip(NEXT) | instid1(VALU_DEP_1)
	v_add_f32_e32 v27, v19, v27
	v_and_b32_e32 v19, 0x7f800000, v27
	s_delay_alu instid0(VALU_DEP_1) | instskip(SKIP_1) | instid1(SALU_CYCLE_1)
	v_cmp_ne_u32_e32 vcc_lo, 0x7f800000, v19
                                        ; implicit-def: $vgpr19
	s_and_saveexec_b32 s14, vcc_lo
	s_xor_b32 s14, exec_lo, s14
; %bb.2359:                             ;   in Loop: Header=BB12_2239 Depth=4
	v_bfe_u32 v19, v27, 16, 1
	s_delay_alu instid0(VALU_DEP_1)
	v_add3_u32 v19, v27, v19, 0x7fff
                                        ; implicit-def: $vgpr27
; %bb.2360:                             ;   in Loop: Header=BB12_2239 Depth=4
	s_and_not1_saveexec_b32 s14, s14
; %bb.2361:                             ;   in Loop: Header=BB12_2239 Depth=4
	v_and_b32_e32 v19, 0xffff, v27
	v_or_b32_e32 v29, 0x10000, v27
	s_delay_alu instid0(VALU_DEP_2) | instskip(NEXT) | instid1(VALU_DEP_2)
	v_cmp_eq_u32_e32 vcc_lo, 0, v19
	v_cndmask_b32_e32 v19, v29, v27, vcc_lo
; %bb.2362:                             ;   in Loop: Header=BB12_2239 Depth=4
	s_or_b32 exec_lo, exec_lo, s14
	v_and_b32_e32 v10, 0xffff0000, v10
	v_and_b32_e32 v7, 0xffff0000, v7
	s_delay_alu instid0(VALU_DEP_1) | instskip(NEXT) | instid1(VALU_DEP_1)
	v_add_f32_e32 v10, v7, v10
	v_and_b32_e32 v7, 0x7f800000, v10
	s_delay_alu instid0(VALU_DEP_1) | instskip(SKIP_1) | instid1(SALU_CYCLE_1)
	v_cmp_ne_u32_e32 vcc_lo, 0x7f800000, v7
                                        ; implicit-def: $vgpr7
	s_and_saveexec_b32 s14, vcc_lo
	s_xor_b32 s14, exec_lo, s14
; %bb.2363:                             ;   in Loop: Header=BB12_2239 Depth=4
	v_bfe_u32 v7, v10, 16, 1
	s_delay_alu instid0(VALU_DEP_1)
	v_add3_u32 v7, v10, v7, 0x7fff
                                        ; implicit-def: $vgpr10
; %bb.2364:                             ;   in Loop: Header=BB12_2239 Depth=4
	s_and_not1_saveexec_b32 s14, s14
; %bb.2365:                             ;   in Loop: Header=BB12_2239 Depth=4
	v_and_b32_e32 v7, 0xffff, v10
	v_or_b32_e32 v27, 0x10000, v10
	s_delay_alu instid0(VALU_DEP_2) | instskip(NEXT) | instid1(VALU_DEP_2)
	v_cmp_eq_u32_e32 vcc_lo, 0, v7
	v_cndmask_b32_e32 v7, v27, v10, vcc_lo
; %bb.2366:                             ;   in Loop: Header=BB12_2239 Depth=4
	s_or_b32 exec_lo, exec_lo, s14
	v_and_b32_e32 v10, 0xffff0000, v26
	v_lshlrev_b32_e32 v26, 16, v11
	s_delay_alu instid0(VALU_DEP_1) | instskip(NEXT) | instid1(VALU_DEP_1)
	v_add_f32_e32 v26, v10, v26
	v_and_b32_e32 v10, 0x7f800000, v26
	s_delay_alu instid0(VALU_DEP_1) | instskip(SKIP_1) | instid1(SALU_CYCLE_1)
	v_cmp_ne_u32_e32 vcc_lo, 0x7f800000, v10
                                        ; implicit-def: $vgpr10
	s_and_saveexec_b32 s14, vcc_lo
	s_xor_b32 s14, exec_lo, s14
; %bb.2367:                             ;   in Loop: Header=BB12_2239 Depth=4
	v_bfe_u32 v10, v26, 16, 1
	s_delay_alu instid0(VALU_DEP_1)
	v_add3_u32 v10, v26, v10, 0x7fff
                                        ; implicit-def: $vgpr26
; %bb.2368:                             ;   in Loop: Header=BB12_2239 Depth=4
	s_and_not1_saveexec_b32 s14, s14
; %bb.2369:                             ;   in Loop: Header=BB12_2239 Depth=4
	v_and_b32_e32 v10, 0xffff, v26
	v_or_b32_e32 v27, 0x10000, v26
	s_delay_alu instid0(VALU_DEP_2) | instskip(NEXT) | instid1(VALU_DEP_2)
	v_cmp_eq_u32_e32 vcc_lo, 0, v10
	v_cndmask_b32_e32 v10, v27, v26, vcc_lo
; %bb.2370:                             ;   in Loop: Header=BB12_2239 Depth=4
	s_or_b32 exec_lo, exec_lo, s14
	v_and_b32_e32 v11, 0xffff0000, v11
	v_and_b32_e32 v6, 0xffff0000, v6
	s_delay_alu instid0(VALU_DEP_1) | instskip(NEXT) | instid1(VALU_DEP_1)
	v_add_f32_e32 v11, v6, v11
	v_and_b32_e32 v6, 0x7f800000, v11
	s_delay_alu instid0(VALU_DEP_1) | instskip(SKIP_1) | instid1(SALU_CYCLE_1)
	v_cmp_ne_u32_e32 vcc_lo, 0x7f800000, v6
                                        ; implicit-def: $vgpr6
	s_and_saveexec_b32 s14, vcc_lo
	s_xor_b32 s14, exec_lo, s14
; %bb.2371:                             ;   in Loop: Header=BB12_2239 Depth=4
	v_bfe_u32 v6, v11, 16, 1
	s_delay_alu instid0(VALU_DEP_1)
	v_add3_u32 v6, v11, v6, 0x7fff
                                        ; implicit-def: $vgpr11
; %bb.2372:                             ;   in Loop: Header=BB12_2239 Depth=4
	s_and_not1_saveexec_b32 s14, s14
; %bb.2373:                             ;   in Loop: Header=BB12_2239 Depth=4
	v_and_b32_e32 v6, 0xffff, v11
	v_or_b32_e32 v26, 0x10000, v11
	s_delay_alu instid0(VALU_DEP_2) | instskip(NEXT) | instid1(VALU_DEP_2)
	v_cmp_eq_u32_e32 vcc_lo, 0, v6
	v_cndmask_b32_e32 v6, v26, v11, vcc_lo
; %bb.2374:                             ;   in Loop: Header=BB12_2239 Depth=4
	s_or_b32 exec_lo, exec_lo, s14
	v_dual_lshrrev_b32 v11, 16, v18 :: v_dual_lshrrev_b32 v0, 16, v0
	v_dual_lshrrev_b32 v18, 16, v19 :: v_dual_lshrrev_b32 v19, 16, v10
	v_sub_nc_u32_e32 v24, v24, v60
	s_delay_alu instid0(VALU_DEP_3) | instskip(NEXT) | instid1(VALU_DEP_4)
	v_and_or_b32 v9, 0xffff0000, v9, v11
	v_and_or_b32 v8, 0xffff0000, v8, v0
	s_delay_alu instid0(VALU_DEP_4)
	v_and_or_b32 v10, 0xffff0000, v7, v18
	v_and_or_b32 v11, 0xffff0000, v6, v19
	global_store_b128 v[12:13], v[8:11], off th:TH_STORE_NT
	s_wait_xcnt 0x0
	v_add_nc_u64_e32 v[12:13], 0x200, v[12:13]
	scratch_store_b128 off, v[8:11], s33 offset:192
	s_wait_xcnt 0x0
	s_and_saveexec_b32 s14, s90
	s_cbranch_execz .LBB12_2238
; %bb.2375:                             ;   in Loop: Header=BB12_2239 Depth=4
	scratch_load_b64 v[6:7], off, s33 offset:256 ; 8-byte Folded Reload
	v_dual_lshlrev_b32 v0, 9, v60 :: v_dual_sub_nc_u32 v24, v24, v60
	s_delay_alu instid0(VALU_DEP_1)
	v_sub_nc_u32_e32 v1, v1, v0
	s_wait_loadcnt 0x0
	v_add_nc_u64_e32 v[14:15], v[14:15], v[6:7]
	v_add_nc_u64_e32 v[16:17], v[16:17], v[6:7]
	;; [unrolled: 1-line block ×3, first 2 shown]
	s_branch .LBB12_2238
.LBB12_2376:                            ;   in Loop: Header=BB12_1375 Depth=3
	s_or_b32 exec_lo, exec_lo, s88
	s_delay_alu instid0(SALU_CYCLE_1)
	s_and_b32 s15, s89, exec_lo
.LBB12_2377:                            ;   in Loop: Header=BB12_1375 Depth=3
	s_or_b32 exec_lo, exec_lo, s79
	s_and_saveexec_b32 s14, s15
	s_cbranch_execz .LBB12_2443
; %bb.2378:                             ;   in Loop: Header=BB12_1375 Depth=3
	s_trap 2
	scratch_load_b128 v[8:11], off, s33 offset:224
	ds_load_b32 v0, v0
	s_wait_dscnt 0x0
	v_lshlrev_b32_e32 v0, 16, v0
	s_wait_loadcnt 0x0
	v_lshlrev_b32_e32 v1, 16, v8
	s_delay_alu instid0(VALU_DEP_1) | instskip(NEXT) | instid1(VALU_DEP_1)
	v_mul_f32_e32 v6, v0, v1
	v_and_b32_e32 v1, 0x7f800000, v6
	s_delay_alu instid0(VALU_DEP_1) | instskip(SKIP_2) | instid1(SALU_CYCLE_1)
	v_cmp_ne_u32_e32 vcc_lo, 0x7f800000, v1
                                        ; implicit-def: $vgpr1
	s_wait_xcnt 0x0
	s_and_saveexec_b32 s15, vcc_lo
	s_xor_b32 s15, exec_lo, s15
; %bb.2379:                             ;   in Loop: Header=BB12_1375 Depth=3
	v_bfe_u32 v1, v6, 16, 1
	s_delay_alu instid0(VALU_DEP_1)
	v_add3_u32 v1, v6, v1, 0x7fff
                                        ; implicit-def: $vgpr6
; %bb.2380:                             ;   in Loop: Header=BB12_1375 Depth=3
	s_and_not1_saveexec_b32 s15, s15
; %bb.2381:                             ;   in Loop: Header=BB12_1375 Depth=3
	v_and_b32_e32 v1, 0xffff, v6
	v_or_b32_e32 v7, 0x10000, v6
	s_delay_alu instid0(VALU_DEP_2) | instskip(NEXT) | instid1(VALU_DEP_2)
	v_cmp_eq_u32_e32 vcc_lo, 0, v1
	v_cndmask_b32_e32 v1, v7, v6, vcc_lo
; %bb.2382:                             ;   in Loop: Header=BB12_1375 Depth=3
	s_or_b32 exec_lo, exec_lo, s15
	v_and_b32_e32 v6, 0xffff0000, v8
	s_mov_b32 s15, exec_lo
                                        ; implicit-def: $vgpr14
	s_delay_alu instid0(VALU_DEP_1) | instskip(NEXT) | instid1(VALU_DEP_1)
	v_mul_f32_e32 v6, v0, v6
	v_and_b32_e32 v7, 0x7f800000, v6
	s_delay_alu instid0(VALU_DEP_1)
	v_cmpx_ne_u32_e32 0x7f800000, v7
	s_xor_b32 s15, exec_lo, s15
; %bb.2383:                             ;   in Loop: Header=BB12_1375 Depth=3
	v_bfe_u32 v7, v6, 16, 1
	s_delay_alu instid0(VALU_DEP_1)
	v_add3_u32 v14, v6, v7, 0x7fff
                                        ; implicit-def: $vgpr6
; %bb.2384:                             ;   in Loop: Header=BB12_1375 Depth=3
	s_and_not1_saveexec_b32 s15, s15
; %bb.2385:                             ;   in Loop: Header=BB12_1375 Depth=3
	v_and_b32_e32 v7, 0xffff, v6
	v_or_b32_e32 v8, 0x10000, v6
	s_delay_alu instid0(VALU_DEP_2) | instskip(NEXT) | instid1(VALU_DEP_2)
	v_cmp_eq_u32_e32 vcc_lo, 0, v7
	v_cndmask_b32_e32 v14, v8, v6, vcc_lo
; %bb.2386:                             ;   in Loop: Header=BB12_1375 Depth=3
	s_or_b32 exec_lo, exec_lo, s15
	v_lshlrev_b32_e32 v6, 16, v9
	s_mov_b32 s15, exec_lo
                                        ; implicit-def: $vgpr18
	s_delay_alu instid0(VALU_DEP_1) | instskip(NEXT) | instid1(VALU_DEP_1)
	v_mul_f32_e32 v6, v0, v6
	v_and_b32_e32 v7, 0x7f800000, v6
	s_delay_alu instid0(VALU_DEP_1)
	v_cmpx_ne_u32_e32 0x7f800000, v7
	s_xor_b32 s15, exec_lo, s15
; %bb.2387:                             ;   in Loop: Header=BB12_1375 Depth=3
	v_bfe_u32 v7, v6, 16, 1
	s_delay_alu instid0(VALU_DEP_1)
	v_add3_u32 v18, v6, v7, 0x7fff
                                        ; implicit-def: $vgpr6
; %bb.2388:                             ;   in Loop: Header=BB12_1375 Depth=3
	s_and_not1_saveexec_b32 s15, s15
; %bb.2389:                             ;   in Loop: Header=BB12_1375 Depth=3
	v_and_b32_e32 v7, 0xffff, v6
	v_or_b32_e32 v8, 0x10000, v6
	s_delay_alu instid0(VALU_DEP_2) | instskip(NEXT) | instid1(VALU_DEP_2)
	v_cmp_eq_u32_e32 vcc_lo, 0, v7
	v_cndmask_b32_e32 v18, v8, v6, vcc_lo
; %bb.2390:                             ;   in Loop: Header=BB12_1375 Depth=3
	s_or_b32 exec_lo, exec_lo, s15
	v_and_b32_e32 v6, 0xffff0000, v9
	s_mov_b32 s15, exec_lo
                                        ; implicit-def: $vgpr16
	s_delay_alu instid0(VALU_DEP_1) | instskip(NEXT) | instid1(VALU_DEP_1)
	v_mul_f32_e32 v6, v0, v6
	v_and_b32_e32 v7, 0x7f800000, v6
	s_delay_alu instid0(VALU_DEP_1)
	v_cmpx_ne_u32_e32 0x7f800000, v7
	s_xor_b32 s15, exec_lo, s15
; %bb.2391:                             ;   in Loop: Header=BB12_1375 Depth=3
	v_bfe_u32 v7, v6, 16, 1
	s_delay_alu instid0(VALU_DEP_1)
	v_add3_u32 v16, v6, v7, 0x7fff
                                        ; implicit-def: $vgpr6
; %bb.2392:                             ;   in Loop: Header=BB12_1375 Depth=3
	s_and_not1_saveexec_b32 s15, s15
; %bb.2393:                             ;   in Loop: Header=BB12_1375 Depth=3
	v_and_b32_e32 v7, 0xffff, v6
	v_or_b32_e32 v8, 0x10000, v6
	s_delay_alu instid0(VALU_DEP_2) | instskip(NEXT) | instid1(VALU_DEP_2)
	v_cmp_eq_u32_e32 vcc_lo, 0, v7
	v_cndmask_b32_e32 v16, v8, v6, vcc_lo
; %bb.2394:                             ;   in Loop: Header=BB12_1375 Depth=3
	s_or_b32 exec_lo, exec_lo, s15
	v_lshlrev_b32_e32 v6, 16, v10
	s_mov_b32 s15, exec_lo
                                        ; implicit-def: $vgpr17
	s_delay_alu instid0(VALU_DEP_1) | instskip(NEXT) | instid1(VALU_DEP_1)
	v_mul_f32_e32 v6, v0, v6
	v_and_b32_e32 v7, 0x7f800000, v6
	s_delay_alu instid0(VALU_DEP_1)
	v_cmpx_ne_u32_e32 0x7f800000, v7
	s_xor_b32 s15, exec_lo, s15
; %bb.2395:                             ;   in Loop: Header=BB12_1375 Depth=3
	v_bfe_u32 v7, v6, 16, 1
	s_delay_alu instid0(VALU_DEP_1)
	v_add3_u32 v17, v6, v7, 0x7fff
                                        ; implicit-def: $vgpr6
; %bb.2396:                             ;   in Loop: Header=BB12_1375 Depth=3
	s_and_not1_saveexec_b32 s15, s15
; %bb.2397:                             ;   in Loop: Header=BB12_1375 Depth=3
	v_and_b32_e32 v7, 0xffff, v6
	v_or_b32_e32 v8, 0x10000, v6
	s_delay_alu instid0(VALU_DEP_2) | instskip(NEXT) | instid1(VALU_DEP_2)
	v_cmp_eq_u32_e32 vcc_lo, 0, v7
	v_cndmask_b32_e32 v17, v8, v6, vcc_lo
; %bb.2398:                             ;   in Loop: Header=BB12_1375 Depth=3
	s_or_b32 exec_lo, exec_lo, s15
	v_and_b32_e32 v6, 0xffff0000, v10
	s_delay_alu instid0(VALU_DEP_1) | instskip(NEXT) | instid1(VALU_DEP_1)
	v_mul_f32_e32 v7, v0, v6
	v_and_b32_e32 v6, 0x7f800000, v7
	s_delay_alu instid0(VALU_DEP_1) | instskip(SKIP_1) | instid1(SALU_CYCLE_1)
	v_cmp_ne_u32_e32 vcc_lo, 0x7f800000, v6
                                        ; implicit-def: $vgpr6
	s_and_saveexec_b32 s15, vcc_lo
	s_xor_b32 s15, exec_lo, s15
; %bb.2399:                             ;   in Loop: Header=BB12_1375 Depth=3
	v_bfe_u32 v6, v7, 16, 1
	s_delay_alu instid0(VALU_DEP_1)
	v_add3_u32 v6, v7, v6, 0x7fff
                                        ; implicit-def: $vgpr7
; %bb.2400:                             ;   in Loop: Header=BB12_1375 Depth=3
	s_and_not1_saveexec_b32 s15, s15
; %bb.2401:                             ;   in Loop: Header=BB12_1375 Depth=3
	v_and_b32_e32 v6, 0xffff, v7
	v_or_b32_e32 v8, 0x10000, v7
	s_delay_alu instid0(VALU_DEP_2) | instskip(NEXT) | instid1(VALU_DEP_2)
	v_cmp_eq_u32_e32 vcc_lo, 0, v6
	v_cndmask_b32_e32 v6, v8, v7, vcc_lo
; %bb.2402:                             ;   in Loop: Header=BB12_1375 Depth=3
	s_or_b32 exec_lo, exec_lo, s15
	v_lshlrev_b32_e32 v7, 16, v11
	s_delay_alu instid0(VALU_DEP_1) | instskip(NEXT) | instid1(VALU_DEP_1)
	v_mul_f32_e32 v8, v0, v7
	v_and_b32_e32 v7, 0x7f800000, v8
	s_delay_alu instid0(VALU_DEP_1) | instskip(SKIP_1) | instid1(SALU_CYCLE_1)
	v_cmp_ne_u32_e32 vcc_lo, 0x7f800000, v7
                                        ; implicit-def: $vgpr7
	s_and_saveexec_b32 s15, vcc_lo
	s_xor_b32 s15, exec_lo, s15
; %bb.2403:                             ;   in Loop: Header=BB12_1375 Depth=3
	v_bfe_u32 v7, v8, 16, 1
	s_delay_alu instid0(VALU_DEP_1)
	v_add3_u32 v7, v8, v7, 0x7fff
                                        ; implicit-def: $vgpr8
; %bb.2404:                             ;   in Loop: Header=BB12_1375 Depth=3
	s_and_not1_saveexec_b32 s15, s15
; %bb.2405:                             ;   in Loop: Header=BB12_1375 Depth=3
	v_and_b32_e32 v7, 0xffff, v8
	v_or_b32_e32 v9, 0x10000, v8
	s_delay_alu instid0(VALU_DEP_2) | instskip(NEXT) | instid1(VALU_DEP_2)
	v_cmp_eq_u32_e32 vcc_lo, 0, v7
	v_cndmask_b32_e32 v7, v9, v8, vcc_lo
; %bb.2406:                             ;   in Loop: Header=BB12_1375 Depth=3
	s_or_b32 exec_lo, exec_lo, s15
	v_and_b32_e32 v8, 0xffff0000, v11
	s_delay_alu instid0(VALU_DEP_1) | instskip(NEXT) | instid1(VALU_DEP_1)
	v_mul_f32_e32 v8, v0, v8
	v_and_b32_e32 v0, 0x7f800000, v8
	s_delay_alu instid0(VALU_DEP_1) | instskip(SKIP_1) | instid1(SALU_CYCLE_1)
	v_cmp_ne_u32_e32 vcc_lo, 0x7f800000, v0
                                        ; implicit-def: $vgpr0
	s_and_saveexec_b32 s15, vcc_lo
	s_xor_b32 s15, exec_lo, s15
; %bb.2407:                             ;   in Loop: Header=BB12_1375 Depth=3
	v_bfe_u32 v0, v8, 16, 1
	s_delay_alu instid0(VALU_DEP_1)
	v_add3_u32 v0, v8, v0, 0x7fff
                                        ; implicit-def: $vgpr8
; %bb.2408:                             ;   in Loop: Header=BB12_1375 Depth=3
	s_and_not1_saveexec_b32 s15, s15
; %bb.2409:                             ;   in Loop: Header=BB12_1375 Depth=3
	v_and_b32_e32 v0, 0xffff, v8
	v_or_b32_e32 v9, 0x10000, v8
	s_delay_alu instid0(VALU_DEP_2) | instskip(NEXT) | instid1(VALU_DEP_2)
	v_cmp_eq_u32_e32 vcc_lo, 0, v0
	v_cndmask_b32_e32 v0, v9, v8, vcc_lo
; %bb.2410:                             ;   in Loop: Header=BB12_1375 Depth=3
	s_or_b32 exec_lo, exec_lo, s15
	scratch_load_b128 v[8:11], off, s33 offset:240
	v_and_b32_e32 v1, 0xffff0000, v1
	s_wait_loadcnt 0x0
	v_lshlrev_b32_e32 v15, 16, v8
	s_delay_alu instid0(VALU_DEP_1) | instskip(NEXT) | instid1(VALU_DEP_1)
	v_add_f32_e32 v15, v1, v15
	v_and_b32_e32 v1, 0x7f800000, v15
	s_delay_alu instid0(VALU_DEP_1) | instskip(SKIP_2) | instid1(SALU_CYCLE_1)
	v_cmp_ne_u32_e32 vcc_lo, 0x7f800000, v1
                                        ; implicit-def: $vgpr1
	s_wait_xcnt 0x0
	s_and_saveexec_b32 s15, vcc_lo
	s_xor_b32 s15, exec_lo, s15
; %bb.2411:                             ;   in Loop: Header=BB12_1375 Depth=3
	v_bfe_u32 v1, v15, 16, 1
	s_delay_alu instid0(VALU_DEP_1)
	v_add3_u32 v1, v15, v1, 0x7fff
                                        ; implicit-def: $vgpr15
; %bb.2412:                             ;   in Loop: Header=BB12_1375 Depth=3
	s_and_not1_saveexec_b32 s15, s15
; %bb.2413:                             ;   in Loop: Header=BB12_1375 Depth=3
	v_and_b32_e32 v1, 0xffff, v15
	v_or_b32_e32 v19, 0x10000, v15
	s_delay_alu instid0(VALU_DEP_2) | instskip(NEXT) | instid1(VALU_DEP_2)
	v_cmp_eq_u32_e32 vcc_lo, 0, v1
	v_cndmask_b32_e32 v1, v19, v15, vcc_lo
; %bb.2414:                             ;   in Loop: Header=BB12_1375 Depth=3
	s_or_b32 exec_lo, exec_lo, s15
	v_and_b32_e32 v15, 0xffff0000, v8
	v_and_b32_e32 v14, 0xffff0000, v14
	s_delay_alu instid0(VALU_DEP_2) | instskip(NEXT) | instid1(VALU_DEP_1)
	v_mov_b32_e32 v8, v15
	v_pk_add_f32 v[14:15], v[8:9], v[14:15]
	s_delay_alu instid0(VALU_DEP_1) | instskip(NEXT) | instid1(VALU_DEP_1)
	v_and_b32_e32 v8, 0x7f800000, v14
	v_cmp_ne_u32_e32 vcc_lo, 0x7f800000, v8
                                        ; implicit-def: $vgpr8
	s_and_saveexec_b32 s15, vcc_lo
	s_delay_alu instid0(SALU_CYCLE_1)
	s_xor_b32 s15, exec_lo, s15
; %bb.2415:                             ;   in Loop: Header=BB12_1375 Depth=3
	v_bfe_u32 v8, v14, 16, 1
	s_delay_alu instid0(VALU_DEP_1)
	v_add3_u32 v8, v14, v8, 0x7fff
                                        ; implicit-def: $vgpr14_vgpr15
; %bb.2416:                             ;   in Loop: Header=BB12_1375 Depth=3
	s_and_not1_saveexec_b32 s15, s15
; %bb.2417:                             ;   in Loop: Header=BB12_1375 Depth=3
	v_and_b32_e32 v8, 0xffff, v14
	v_or_b32_e32 v15, 0x10000, v14
	s_delay_alu instid0(VALU_DEP_2) | instskip(NEXT) | instid1(VALU_DEP_2)
	v_cmp_eq_u32_e32 vcc_lo, 0, v8
	v_cndmask_b32_e32 v8, v15, v14, vcc_lo
; %bb.2418:                             ;   in Loop: Header=BB12_1375 Depth=3
	s_or_b32 exec_lo, exec_lo, s15
	v_and_b32_e32 v14, 0xffff0000, v18
	v_lshlrev_b32_e32 v15, 16, v9
	s_delay_alu instid0(VALU_DEP_1) | instskip(NEXT) | instid1(VALU_DEP_1)
	v_add_f32_e32 v15, v14, v15
	v_and_b32_e32 v14, 0x7f800000, v15
	s_delay_alu instid0(VALU_DEP_1) | instskip(SKIP_1) | instid1(SALU_CYCLE_1)
	v_cmp_ne_u32_e32 vcc_lo, 0x7f800000, v14
                                        ; implicit-def: $vgpr14
	s_and_saveexec_b32 s15, vcc_lo
	s_xor_b32 s15, exec_lo, s15
; %bb.2419:                             ;   in Loop: Header=BB12_1375 Depth=3
	v_bfe_u32 v14, v15, 16, 1
	s_delay_alu instid0(VALU_DEP_1)
	v_add3_u32 v14, v15, v14, 0x7fff
                                        ; implicit-def: $vgpr15
; %bb.2420:                             ;   in Loop: Header=BB12_1375 Depth=3
	s_and_not1_saveexec_b32 s15, s15
; %bb.2421:                             ;   in Loop: Header=BB12_1375 Depth=3
	v_and_b32_e32 v14, 0xffff, v15
	v_or_b32_e32 v18, 0x10000, v15
	s_delay_alu instid0(VALU_DEP_2) | instskip(NEXT) | instid1(VALU_DEP_2)
	v_cmp_eq_u32_e32 vcc_lo, 0, v14
	v_cndmask_b32_e32 v14, v18, v15, vcc_lo
; %bb.2422:                             ;   in Loop: Header=BB12_1375 Depth=3
	s_or_b32 exec_lo, exec_lo, s15
	v_and_b32_e32 v9, 0xffff0000, v9
	v_and_b32_e32 v15, 0xffff0000, v16
	s_delay_alu instid0(VALU_DEP_1) | instskip(NEXT) | instid1(VALU_DEP_1)
	v_add_f32_e32 v15, v15, v9
	v_and_b32_e32 v9, 0x7f800000, v15
	s_delay_alu instid0(VALU_DEP_1) | instskip(SKIP_1) | instid1(SALU_CYCLE_1)
	v_cmp_ne_u32_e32 vcc_lo, 0x7f800000, v9
                                        ; implicit-def: $vgpr9
	s_and_saveexec_b32 s15, vcc_lo
	s_xor_b32 s15, exec_lo, s15
; %bb.2423:                             ;   in Loop: Header=BB12_1375 Depth=3
	v_bfe_u32 v9, v15, 16, 1
	s_delay_alu instid0(VALU_DEP_1)
	v_add3_u32 v9, v15, v9, 0x7fff
                                        ; implicit-def: $vgpr15
; %bb.2424:                             ;   in Loop: Header=BB12_1375 Depth=3
	s_and_not1_saveexec_b32 s15, s15
; %bb.2425:                             ;   in Loop: Header=BB12_1375 Depth=3
	v_and_b32_e32 v9, 0xffff, v15
	v_or_b32_e32 v16, 0x10000, v15
	s_delay_alu instid0(VALU_DEP_2) | instskip(NEXT) | instid1(VALU_DEP_2)
	v_cmp_eq_u32_e32 vcc_lo, 0, v9
	v_cndmask_b32_e32 v9, v16, v15, vcc_lo
; %bb.2426:                             ;   in Loop: Header=BB12_1375 Depth=3
	s_or_b32 exec_lo, exec_lo, s15
	v_and_b32_e32 v15, 0xffff0000, v17
	v_lshlrev_b32_e32 v16, 16, v10
	s_delay_alu instid0(VALU_DEP_1) | instskip(NEXT) | instid1(VALU_DEP_1)
	v_add_f32_e32 v16, v15, v16
	v_and_b32_e32 v15, 0x7f800000, v16
	s_delay_alu instid0(VALU_DEP_1) | instskip(SKIP_1) | instid1(SALU_CYCLE_1)
	v_cmp_ne_u32_e32 vcc_lo, 0x7f800000, v15
                                        ; implicit-def: $vgpr15
	s_and_saveexec_b32 s15, vcc_lo
	s_xor_b32 s15, exec_lo, s15
; %bb.2427:                             ;   in Loop: Header=BB12_1375 Depth=3
	v_bfe_u32 v15, v16, 16, 1
	s_delay_alu instid0(VALU_DEP_1)
	v_add3_u32 v15, v16, v15, 0x7fff
                                        ; implicit-def: $vgpr16
; %bb.2428:                             ;   in Loop: Header=BB12_1375 Depth=3
	s_and_not1_saveexec_b32 s15, s15
; %bb.2429:                             ;   in Loop: Header=BB12_1375 Depth=3
	v_and_b32_e32 v15, 0xffff, v16
	v_or_b32_e32 v17, 0x10000, v16
	s_delay_alu instid0(VALU_DEP_2) | instskip(NEXT) | instid1(VALU_DEP_2)
	v_cmp_eq_u32_e32 vcc_lo, 0, v15
	v_cndmask_b32_e32 v15, v17, v16, vcc_lo
; %bb.2430:                             ;   in Loop: Header=BB12_1375 Depth=3
	s_or_b32 exec_lo, exec_lo, s15
	v_and_b32_e32 v10, 0xffff0000, v10
	v_and_b32_e32 v6, 0xffff0000, v6
	s_delay_alu instid0(VALU_DEP_1) | instskip(NEXT) | instid1(VALU_DEP_1)
	v_add_f32_e32 v10, v6, v10
	v_and_b32_e32 v6, 0x7f800000, v10
	s_delay_alu instid0(VALU_DEP_1) | instskip(SKIP_1) | instid1(SALU_CYCLE_1)
	v_cmp_ne_u32_e32 vcc_lo, 0x7f800000, v6
                                        ; implicit-def: $vgpr6
	s_and_saveexec_b32 s15, vcc_lo
	s_xor_b32 s15, exec_lo, s15
; %bb.2431:                             ;   in Loop: Header=BB12_1375 Depth=3
	v_bfe_u32 v6, v10, 16, 1
	s_delay_alu instid0(VALU_DEP_1)
	v_add3_u32 v6, v10, v6, 0x7fff
                                        ; implicit-def: $vgpr10
; %bb.2432:                             ;   in Loop: Header=BB12_1375 Depth=3
	s_and_not1_saveexec_b32 s15, s15
; %bb.2433:                             ;   in Loop: Header=BB12_1375 Depth=3
	v_and_b32_e32 v6, 0xffff, v10
	v_or_b32_e32 v16, 0x10000, v10
	s_delay_alu instid0(VALU_DEP_2) | instskip(NEXT) | instid1(VALU_DEP_2)
	v_cmp_eq_u32_e32 vcc_lo, 0, v6
	v_cndmask_b32_e32 v6, v16, v10, vcc_lo
; %bb.2434:                             ;   in Loop: Header=BB12_1375 Depth=3
	s_or_b32 exec_lo, exec_lo, s15
	v_and_b32_e32 v7, 0xffff0000, v7
	v_lshlrev_b32_e32 v10, 16, v11
	s_delay_alu instid0(VALU_DEP_1) | instskip(NEXT) | instid1(VALU_DEP_1)
	v_add_f32_e32 v10, v7, v10
	v_and_b32_e32 v7, 0x7f800000, v10
	s_delay_alu instid0(VALU_DEP_1) | instskip(SKIP_1) | instid1(SALU_CYCLE_1)
	v_cmp_ne_u32_e32 vcc_lo, 0x7f800000, v7
                                        ; implicit-def: $vgpr7
	s_and_saveexec_b32 s15, vcc_lo
	s_xor_b32 s15, exec_lo, s15
; %bb.2435:                             ;   in Loop: Header=BB12_1375 Depth=3
	v_bfe_u32 v7, v10, 16, 1
	s_delay_alu instid0(VALU_DEP_1)
	v_add3_u32 v7, v10, v7, 0x7fff
                                        ; implicit-def: $vgpr10
; %bb.2436:                             ;   in Loop: Header=BB12_1375 Depth=3
	s_and_not1_saveexec_b32 s15, s15
; %bb.2437:                             ;   in Loop: Header=BB12_1375 Depth=3
	v_and_b32_e32 v7, 0xffff, v10
	v_or_b32_e32 v16, 0x10000, v10
	s_delay_alu instid0(VALU_DEP_2) | instskip(NEXT) | instid1(VALU_DEP_2)
	v_cmp_eq_u32_e32 vcc_lo, 0, v7
	v_cndmask_b32_e32 v7, v16, v10, vcc_lo
; %bb.2438:                             ;   in Loop: Header=BB12_1375 Depth=3
	s_or_b32 exec_lo, exec_lo, s15
	v_and_b32_e32 v10, 0xffff0000, v11
	v_and_b32_e32 v0, 0xffff0000, v0
	s_delay_alu instid0(VALU_DEP_1) | instskip(NEXT) | instid1(VALU_DEP_1)
	v_add_f32_e32 v10, v0, v10
	v_and_b32_e32 v0, 0x7f800000, v10
	s_delay_alu instid0(VALU_DEP_1) | instskip(SKIP_1) | instid1(SALU_CYCLE_1)
	v_cmp_ne_u32_e32 vcc_lo, 0x7f800000, v0
                                        ; implicit-def: $vgpr0
	s_and_saveexec_b32 s15, vcc_lo
	s_xor_b32 s15, exec_lo, s15
; %bb.2439:                             ;   in Loop: Header=BB12_1375 Depth=3
	v_bfe_u32 v0, v10, 16, 1
	s_delay_alu instid0(VALU_DEP_1)
	v_add3_u32 v0, v10, v0, 0x7fff
                                        ; implicit-def: $vgpr10
; %bb.2440:                             ;   in Loop: Header=BB12_1375 Depth=3
	s_and_not1_saveexec_b32 s15, s15
; %bb.2441:                             ;   in Loop: Header=BB12_1375 Depth=3
	v_and_b32_e32 v0, 0xffff, v10
	v_or_b32_e32 v11, 0x10000, v10
	s_delay_alu instid0(VALU_DEP_2) | instskip(NEXT) | instid1(VALU_DEP_2)
	v_cmp_eq_u32_e32 vcc_lo, 0, v0
	v_cndmask_b32_e32 v0, v11, v10, vcc_lo
; %bb.2442:                             ;   in Loop: Header=BB12_1375 Depth=3
	s_or_b32 exec_lo, exec_lo, s15
	v_dual_lshrrev_b32 v10, 16, v14 :: v_dual_lshrrev_b32 v1, 16, v1
	v_lshrrev_b32_e32 v11, 16, v15
	v_lshrrev_b32_e32 v7, 16, v7
	s_delay_alu instid0(VALU_DEP_3) | instskip(NEXT) | instid1(VALU_DEP_4)
	v_and_or_b32 v9, 0xffff0000, v9, v10
	v_and_or_b32 v8, 0xffff0000, v8, v1
	s_delay_alu instid0(VALU_DEP_4) | instskip(NEXT) | instid1(VALU_DEP_4)
	v_and_or_b32 v10, 0xffff0000, v6, v11
	v_and_or_b32 v11, 0xffff0000, v0, v7
	global_store_b128 v[12:13], v[8:11], off th:TH_STORE_NT
.LBB12_2443:                            ;   in Loop: Header=BB12_1375 Depth=3
	s_wait_xcnt 0x0
	s_or_b32 exec_lo, exec_lo, s14
	v_and_b32_e32 v1, 14, v5
	s_mov_b32 s15, s77
	s_mov_b32 s14, exec_lo
                                        ; implicit-def: $vgpr18
                                        ; implicit-def: $vgpr0
                                        ; implicit-def: $vgpr19
	s_delay_alu instid0(VALU_DEP_1) | instskip(NEXT) | instid1(VALU_DEP_1)
	v_cndmask_b32_e64 v5, v23, v1, s13
	v_cmpx_ne_u32_e32 0, v5
	s_cbranch_execz .LBB12_2445
; %bb.2444:                             ;   in Loop: Header=BB12_1375 Depth=3
	v_cmp_lt_i32_e32 vcc_lo, 0, v24
	s_or_b32 s15, s77, exec_lo
	v_dual_cndmask_b32 v0, 0, v60 :: v_dual_sub_nc_u32 v1, v23, v1
	s_delay_alu instid0(VALU_DEP_1) | instskip(NEXT) | instid1(VALU_DEP_1)
	v_dual_cndmask_b32 v1, 0, v1, s13 :: v_dual_sub_nc_u32 v0, v0, v24
	v_add3_u32 v18, v22, v20, v1
	s_delay_alu instid0(VALU_DEP_2) | instskip(NEXT) | instid1(VALU_DEP_1)
	v_lshl_add_u32 v0, v0, 5, v21
	v_ashrrev_i32_e32 v6, 31, v0
	s_delay_alu instid0(VALU_DEP_1) | instskip(NEXT) | instid1(VALU_DEP_1)
	v_lshrrev_b32_e32 v6, 27, v6
	v_add_nc_u32_e32 v6, v0, v6
	s_delay_alu instid0(VALU_DEP_1) | instskip(NEXT) | instid1(VALU_DEP_1)
	v_and_b32_e32 v6, 0xffffffe0, v6
	v_sub_nc_u32_e32 v19, v0, v6
.LBB12_2445:                            ;   in Loop: Header=BB12_1375 Depth=3
	s_or_b32 exec_lo, exec_lo, s14
	s_delay_alu instid0(SALU_CYCLE_1) | instskip(SKIP_1) | instid1(SALU_CYCLE_1)
	s_and_not1_b32 s13, s77, exec_lo
	s_and_b32 s14, s15, exec_lo
	s_or_b32 s77, s13, s14
.LBB12_2446:                            ;   in Loop: Header=BB12_1375 Depth=3
	s_or_b32 exec_lo, exec_lo, s78
	s_and_saveexec_b32 s15, s77
	s_cbranch_execz .LBB12_2878
.LBB12_2447:                            ;   in Loop: Header=BB12_1375 Depth=3
	s_wait_loadcnt 0x0
	v_dual_ashrrev_i32 v1, 31, v0 :: v_dual_lshlrev_b32 v6, 1, v19
	v_dual_mov_b32 v54, 0 :: v_dual_ashrrev_i32 v7, 31, v5
	s_delay_alu instid0(VALU_DEP_2) | instskip(SKIP_2) | instid1(VALU_DEP_3)
	v_dual_mov_b32 v96, 0 :: v_dual_lshrrev_b32 v1, 27, v1
	v_dual_mov_b32 v86, 0 :: v_dual_mov_b32 v84, 0
	v_dual_mov_b32 v82, 0 :: v_dual_mov_b32 v80, 0
	v_dual_add_nc_u32 v0, v0, v1 :: v_dual_mov_b32 v70, 0
	v_dual_lshrrev_b32 v1, 22, v7 :: v_dual_mov_b32 v67, 0
	s_delay_alu instid0(VALU_DEP_2) | instskip(NEXT) | instid1(VALU_DEP_2)
	v_dual_mov_b32 v66, 0 :: v_dual_ashrrev_i32 v0, 5, v0
	v_dual_mov_b32 v55, 0 :: v_dual_add_nc_u32 v1, v5, v1
	v_dual_mov_b32 v65, 0 :: v_dual_mov_b32 v64, 0
	s_delay_alu instid0(VALU_DEP_3) | instskip(NEXT) | instid1(VALU_DEP_3)
	v_dual_lshlrev_b32 v7, 10, v0 :: v_dual_mov_b32 v53, 0
	v_dual_ashrrev_i32 v20, 10, v1 :: v_dual_mov_b32 v50, 0
	v_dual_mov_b32 v52, 0 :: v_dual_mov_b32 v51, 0
	s_delay_alu instid0(VALU_DEP_3) | instskip(SKIP_1) | instid1(VALU_DEP_4)
	v_add3_u32 v12, v18, v6, v7
	v_dual_mov_b32 v49, 0 :: v_dual_mov_b32 v48, 0
	v_dual_mov_b32 v39, 0 :: v_dual_sub_nc_u32 v38, v20, v0
	s_delay_alu instid0(VALU_DEP_3) | instskip(SKIP_2) | instid1(VALU_DEP_3)
	v_dual_ashrrev_i32 v13, 31, v12 :: v_dual_mov_b32 v23, 0
	v_dual_mov_b32 v22, 0 :: v_dual_mov_b32 v21, 0
	v_dual_mov_b32 v17, 0 :: v_dual_mov_b32 v16, 0
	v_add_nc_u64_e32 v[8:9], v[74:75], v[12:13]
	v_dual_mov_b32 v15, 0 :: v_dual_mov_b32 v14, 0
	v_dual_mov_b32 v11, 0 :: v_dual_mov_b32 v7, 0
	;; [unrolled: 1-line block ×4, first 2 shown]
	s_mov_b32 s14, 0
	s_mov_b32 s13, exec_lo
	v_cmpx_lt_i32_e32 0, v38
	s_cbranch_execz .LBB12_2711
; %bb.2448:                             ;   in Loop: Header=BB12_1375 Depth=3
	s_trap 2
	ds_load_b64 v[0:1], v0
	v_add_nc_u64_e32 v[10:11], v[12:13], v[72:73]
	s_mov_b32 s41, 0
	s_mov_b32 s40, 0
                                        ; implicit-def: $sgpr14
                                        ; implicit-def: $vgpr125
                                        ; implicit-def: $vgpr77
                                        ; implicit-def: $vgpr63
                                        ; implicit-def: $vgpr115
                                        ; implicit-def: $vgpr113
                                        ; implicit-def: $vgpr103
                                        ; implicit-def: $vgpr101
                                        ; implicit-def: $vgpr99
                                        ; implicit-def: $vgpr97
                                        ; implicit-def: $vgpr87
                                        ; implicit-def: $vgpr85
                                        ; implicit-def: $vgpr83
                                        ; implicit-def: $vgpr81
                                        ; implicit-def: $vgpr71
                                        ; implicit-def: $vgpr69
                                        ; implicit-def: $vgpr68
                                        ; implicit-def: $vgpr21
                                        ; implicit-def: $vgpr22
                                        ; implicit-def: $vgpr23
                                        ; implicit-def: $vgpr24
                                        ; implicit-def: $vgpr25
                                        ; implicit-def: $vgpr26
                                        ; implicit-def: $vgpr27
                                        ; implicit-def: $vgpr29
                                        ; implicit-def: $vgpr30
                                        ; implicit-def: $vgpr31
                                        ; implicit-def: $vgpr32
                                        ; implicit-def: $vgpr33
                                        ; implicit-def: $vgpr34
                                        ; implicit-def: $vgpr35
                                        ; implicit-def: $vgpr36
                                        ; implicit-def: $vgpr37
	s_wait_dscnt 0x0
	v_add_nc_u64_e32 v[12:13], v[0:1], v[12:13]
	s_branch .LBB12_2450
.LBB12_2449:                            ;   in Loop: Header=BB12_2450 Depth=4
	s_or_b32 exec_lo, exec_lo, s77
	s_clause 0x7
	flat_store_d16_hi_b16 v[8:9], v1 th:TH_STORE_NT
	flat_store_d16_hi_b16 v[8:9], v15 offset:64 th:TH_STORE_NT
	flat_store_d16_hi_b16 v[8:9], v70 offset:128 th:TH_STORE_NT
	;; [unrolled: 1-line block ×7, first 2 shown]
	s_wait_xcnt 0x2
	v_dual_cndmask_b32 v1, 0, v60, s41 :: v_dual_cndmask_b32 v65, 0, v109, s41
	v_add_nc_u64_e32 v[50:51], v[12:13], v[88:89]
	v_add_nc_u64_e32 v[48:49], v[10:11], v[88:89]
	s_wait_xcnt 0x1
	v_cndmask_b32_e64 v64, 0x400, v108, s41
	v_sub_nc_u32_e32 v38, v38, v1
	s_clause 0x7
	flat_store_d16_hi_b16 v[8:9], v54 offset:512 th:TH_STORE_NT
	flat_store_d16_hi_b16 v[8:9], v53 offset:576 th:TH_STORE_NT
	;; [unrolled: 1-line block ×8, first 2 shown]
	v_cndmask_b32_e64 v13, v13, v51, s41
	v_cmp_gt_i32_e32 vcc_lo, 1, v38
	s_wait_xcnt 0x0
	v_add_nc_u64_e32 v[8:9], v[8:9], v[64:65]
	v_dual_cndmask_b32 v11, v11, v49, s41 :: v_dual_cndmask_b32 v10, v10, v48, s41
	v_cndmask_b32_e64 v12, v12, v50, s41
	s_or_b32 s40, vcc_lo, s40
	s_and_not1_b32 s14, s14, exec_lo
	s_and_b32 s77, s41, exec_lo
	s_delay_alu instid0(SALU_CYCLE_1)
	s_or_b32 s14, s14, s77
	s_and_not1_b32 exec_lo, exec_lo, s40
	s_cbranch_execz .LBB12_2710
.LBB12_2450:                            ;   Parent Loop BB12_47 Depth=1
                                        ;     Parent Loop BB12_1372 Depth=2
                                        ;       Parent Loop BB12_1375 Depth=3
                                        ; =>      This Inner Loop Header: Depth=4
	s_clause 0xf
	flat_load_u16 v79, v[10:11] th:TH_LOAD_NT
	flat_load_u16 v78, v[10:11] offset:64 th:TH_LOAD_NT
	flat_load_u16 v1, v[10:11] offset:128 th:TH_LOAD_NT
	;; [unrolled: 1-line block ×15, first 2 shown]
	s_clause 0xf
	flat_load_u16 v82, v[12:13] th:TH_LOAD_NT
	flat_load_u16 v80, v[12:13] offset:64 th:TH_LOAD_NT
	flat_load_u16 v70, v[12:13] offset:128 th:TH_LOAD_NT
	;; [unrolled: 1-line block ×15, first 2 shown]
	s_wait_xcnt 0x0
	s_and_saveexec_b32 s77, s41
	s_cbranch_execz .LBB12_2580
; %bb.2451:                             ;   in Loop: Header=BB12_2450 Depth=4
	s_trap 2
	ds_load_b32 v0, v0
	s_wait_dscnt 0x0
	v_dual_lshlrev_b32 v14, 16, v125 :: v_dual_lshlrev_b32 v15, 16, v0
	s_delay_alu instid0(VALU_DEP_1) | instskip(SKIP_1) | instid1(VALU_DEP_1)
	v_mov_b32_e32 v0, v15
	s_wait_loadcnt 0x1d
	v_pk_mul_f32 v[16:17], v[0:1], v[14:15]
	s_delay_alu instid0(VALU_DEP_1) | instskip(NEXT) | instid1(VALU_DEP_1)
	v_and_b32_e32 v0, 0x7f800000, v16
	v_cmp_ne_u32_e32 vcc_lo, 0x7f800000, v0
                                        ; implicit-def: $vgpr0
	s_and_saveexec_b32 s41, vcc_lo
	s_delay_alu instid0(SALU_CYCLE_1)
	s_xor_b32 s41, exec_lo, s41
; %bb.2452:                             ;   in Loop: Header=BB12_2450 Depth=4
	v_bfe_u32 v0, v16, 16, 1
	s_delay_alu instid0(VALU_DEP_1)
	v_add3_u32 v0, v16, v0, 0x7fff
                                        ; implicit-def: $vgpr16_vgpr17
; %bb.2453:                             ;   in Loop: Header=BB12_2450 Depth=4
	s_and_not1_saveexec_b32 s41, s41
; %bb.2454:                             ;   in Loop: Header=BB12_2450 Depth=4
	v_and_b32_e32 v0, 0xffff, v16
	v_or_b32_e32 v6, 0x10000, v16
	s_delay_alu instid0(VALU_DEP_2) | instskip(NEXT) | instid1(VALU_DEP_2)
	v_cmp_eq_u32_e32 vcc_lo, 0, v0
	v_cndmask_b32_e32 v0, v6, v16, vcc_lo
; %bb.2455:                             ;   in Loop: Header=BB12_2450 Depth=4
	s_or_b32 exec_lo, exec_lo, s41
	v_lshlrev_b32_e32 v6, 16, v77
	s_mov_b32 s41, exec_lo
                                        ; implicit-def: $vgpr119
	s_delay_alu instid0(VALU_DEP_1) | instskip(NEXT) | instid1(VALU_DEP_1)
	v_mul_f32_e32 v6, v15, v6
	v_and_b32_e32 v7, 0x7f800000, v6
	s_delay_alu instid0(VALU_DEP_1)
	v_cmpx_ne_u32_e32 0x7f800000, v7
	s_xor_b32 s41, exec_lo, s41
; %bb.2456:                             ;   in Loop: Header=BB12_2450 Depth=4
	v_bfe_u32 v7, v6, 16, 1
	s_delay_alu instid0(VALU_DEP_1)
	v_add3_u32 v119, v6, v7, 0x7fff
                                        ; implicit-def: $vgpr6
; %bb.2457:                             ;   in Loop: Header=BB12_2450 Depth=4
	s_and_not1_saveexec_b32 s41, s41
; %bb.2458:                             ;   in Loop: Header=BB12_2450 Depth=4
	v_and_b32_e32 v7, 0xffff, v6
	v_or_b32_e32 v14, 0x10000, v6
	s_delay_alu instid0(VALU_DEP_2) | instskip(NEXT) | instid1(VALU_DEP_2)
	v_cmp_eq_u32_e32 vcc_lo, 0, v7
	v_cndmask_b32_e32 v119, v14, v6, vcc_lo
; %bb.2459:                             ;   in Loop: Header=BB12_2450 Depth=4
	s_or_b32 exec_lo, exec_lo, s41
	v_lshlrev_b32_e32 v6, 16, v63
	s_mov_b32 s41, exec_lo
                                        ; implicit-def: $vgpr118
	s_delay_alu instid0(VALU_DEP_1) | instskip(NEXT) | instid1(VALU_DEP_1)
	v_mul_f32_e32 v6, v15, v6
	v_and_b32_e32 v7, 0x7f800000, v6
	s_delay_alu instid0(VALU_DEP_1)
	v_cmpx_ne_u32_e32 0x7f800000, v7
	s_xor_b32 s41, exec_lo, s41
; %bb.2460:                             ;   in Loop: Header=BB12_2450 Depth=4
	v_bfe_u32 v7, v6, 16, 1
	s_delay_alu instid0(VALU_DEP_1)
	v_add3_u32 v118, v6, v7, 0x7fff
                                        ; implicit-def: $vgpr6
; %bb.2461:                             ;   in Loop: Header=BB12_2450 Depth=4
	s_and_not1_saveexec_b32 s41, s41
; %bb.2462:                             ;   in Loop: Header=BB12_2450 Depth=4
	v_and_b32_e32 v7, 0xffff, v6
	v_or_b32_e32 v14, 0x10000, v6
	s_delay_alu instid0(VALU_DEP_2) | instskip(NEXT) | instid1(VALU_DEP_2)
	v_cmp_eq_u32_e32 vcc_lo, 0, v7
	v_cndmask_b32_e32 v118, v14, v6, vcc_lo
; %bb.2463:                             ;   in Loop: Header=BB12_2450 Depth=4
	s_or_b32 exec_lo, exec_lo, s41
	v_lshlrev_b32_e32 v6, 16, v115
	s_mov_b32 s41, exec_lo
                                        ; implicit-def: $vgpr115
	s_delay_alu instid0(VALU_DEP_1) | instskip(NEXT) | instid1(VALU_DEP_1)
	v_mul_f32_e32 v6, v15, v6
	v_and_b32_e32 v7, 0x7f800000, v6
	s_delay_alu instid0(VALU_DEP_1)
	v_cmpx_ne_u32_e32 0x7f800000, v7
	s_xor_b32 s41, exec_lo, s41
; %bb.2464:                             ;   in Loop: Header=BB12_2450 Depth=4
	v_bfe_u32 v7, v6, 16, 1
	s_delay_alu instid0(VALU_DEP_1)
	v_add3_u32 v115, v6, v7, 0x7fff
                                        ; implicit-def: $vgpr6
; %bb.2465:                             ;   in Loop: Header=BB12_2450 Depth=4
	s_and_not1_saveexec_b32 s41, s41
; %bb.2466:                             ;   in Loop: Header=BB12_2450 Depth=4
	v_and_b32_e32 v7, 0xffff, v6
	v_or_b32_e32 v14, 0x10000, v6
	s_delay_alu instid0(VALU_DEP_2) | instskip(NEXT) | instid1(VALU_DEP_2)
	v_cmp_eq_u32_e32 vcc_lo, 0, v7
	v_cndmask_b32_e32 v115, v14, v6, vcc_lo
; %bb.2467:                             ;   in Loop: Header=BB12_2450 Depth=4
	s_or_b32 exec_lo, exec_lo, s41
	v_lshlrev_b32_e32 v6, 16, v113
	s_mov_b32 s41, exec_lo
                                        ; implicit-def: $vgpr113
	s_delay_alu instid0(VALU_DEP_1) | instskip(NEXT) | instid1(VALU_DEP_1)
	v_mul_f32_e32 v6, v15, v6
	v_and_b32_e32 v7, 0x7f800000, v6
	s_delay_alu instid0(VALU_DEP_1)
	v_cmpx_ne_u32_e32 0x7f800000, v7
	s_xor_b32 s41, exec_lo, s41
; %bb.2468:                             ;   in Loop: Header=BB12_2450 Depth=4
	v_bfe_u32 v7, v6, 16, 1
	s_delay_alu instid0(VALU_DEP_1)
	v_add3_u32 v113, v6, v7, 0x7fff
                                        ; implicit-def: $vgpr6
; %bb.2469:                             ;   in Loop: Header=BB12_2450 Depth=4
	s_and_not1_saveexec_b32 s41, s41
; %bb.2470:                             ;   in Loop: Header=BB12_2450 Depth=4
	v_and_b32_e32 v7, 0xffff, v6
	v_or_b32_e32 v14, 0x10000, v6
	s_delay_alu instid0(VALU_DEP_2) | instskip(NEXT) | instid1(VALU_DEP_2)
	v_cmp_eq_u32_e32 vcc_lo, 0, v7
	v_cndmask_b32_e32 v113, v14, v6, vcc_lo
; %bb.2471:                             ;   in Loop: Header=BB12_2450 Depth=4
	s_or_b32 exec_lo, exec_lo, s41
	v_lshlrev_b32_e32 v6, 16, v103
	s_mov_b32 s41, exec_lo
                                        ; implicit-def: $vgpr103
	s_delay_alu instid0(VALU_DEP_1) | instskip(NEXT) | instid1(VALU_DEP_1)
	v_mul_f32_e32 v6, v15, v6
	v_and_b32_e32 v7, 0x7f800000, v6
	s_delay_alu instid0(VALU_DEP_1)
	v_cmpx_ne_u32_e32 0x7f800000, v7
	s_xor_b32 s41, exec_lo, s41
; %bb.2472:                             ;   in Loop: Header=BB12_2450 Depth=4
	v_bfe_u32 v7, v6, 16, 1
	s_delay_alu instid0(VALU_DEP_1)
	v_add3_u32 v103, v6, v7, 0x7fff
                                        ; implicit-def: $vgpr6
; %bb.2473:                             ;   in Loop: Header=BB12_2450 Depth=4
	s_and_not1_saveexec_b32 s41, s41
; %bb.2474:                             ;   in Loop: Header=BB12_2450 Depth=4
	v_and_b32_e32 v7, 0xffff, v6
	v_or_b32_e32 v14, 0x10000, v6
	s_delay_alu instid0(VALU_DEP_2) | instskip(NEXT) | instid1(VALU_DEP_2)
	v_cmp_eq_u32_e32 vcc_lo, 0, v7
	v_cndmask_b32_e32 v103, v14, v6, vcc_lo
; %bb.2475:                             ;   in Loop: Header=BB12_2450 Depth=4
	s_or_b32 exec_lo, exec_lo, s41
	v_lshlrev_b32_e32 v6, 16, v101
	s_mov_b32 s41, exec_lo
                                        ; implicit-def: $vgpr101
	s_delay_alu instid0(VALU_DEP_1) | instskip(NEXT) | instid1(VALU_DEP_1)
	v_mul_f32_e32 v6, v15, v6
	v_and_b32_e32 v7, 0x7f800000, v6
	s_delay_alu instid0(VALU_DEP_1)
	v_cmpx_ne_u32_e32 0x7f800000, v7
	s_xor_b32 s41, exec_lo, s41
; %bb.2476:                             ;   in Loop: Header=BB12_2450 Depth=4
	v_bfe_u32 v7, v6, 16, 1
	s_delay_alu instid0(VALU_DEP_1)
	v_add3_u32 v101, v6, v7, 0x7fff
                                        ; implicit-def: $vgpr6
; %bb.2477:                             ;   in Loop: Header=BB12_2450 Depth=4
	s_and_not1_saveexec_b32 s41, s41
; %bb.2478:                             ;   in Loop: Header=BB12_2450 Depth=4
	v_and_b32_e32 v7, 0xffff, v6
	v_or_b32_e32 v14, 0x10000, v6
	s_delay_alu instid0(VALU_DEP_2) | instskip(NEXT) | instid1(VALU_DEP_2)
	v_cmp_eq_u32_e32 vcc_lo, 0, v7
	v_cndmask_b32_e32 v101, v14, v6, vcc_lo
; %bb.2479:                             ;   in Loop: Header=BB12_2450 Depth=4
	s_or_b32 exec_lo, exec_lo, s41
	v_lshlrev_b32_e32 v6, 16, v99
	s_mov_b32 s41, exec_lo
                                        ; implicit-def: $vgpr99
	s_delay_alu instid0(VALU_DEP_1) | instskip(NEXT) | instid1(VALU_DEP_1)
	v_mul_f32_e32 v6, v15, v6
	v_and_b32_e32 v7, 0x7f800000, v6
	s_delay_alu instid0(VALU_DEP_1)
	v_cmpx_ne_u32_e32 0x7f800000, v7
	s_xor_b32 s41, exec_lo, s41
; %bb.2480:                             ;   in Loop: Header=BB12_2450 Depth=4
	v_bfe_u32 v7, v6, 16, 1
	s_delay_alu instid0(VALU_DEP_1)
	v_add3_u32 v99, v6, v7, 0x7fff
                                        ; implicit-def: $vgpr6
; %bb.2481:                             ;   in Loop: Header=BB12_2450 Depth=4
	s_and_not1_saveexec_b32 s41, s41
; %bb.2482:                             ;   in Loop: Header=BB12_2450 Depth=4
	v_and_b32_e32 v7, 0xffff, v6
	v_or_b32_e32 v14, 0x10000, v6
	s_delay_alu instid0(VALU_DEP_2) | instskip(NEXT) | instid1(VALU_DEP_2)
	v_cmp_eq_u32_e32 vcc_lo, 0, v7
	v_cndmask_b32_e32 v99, v14, v6, vcc_lo
; %bb.2483:                             ;   in Loop: Header=BB12_2450 Depth=4
	s_or_b32 exec_lo, exec_lo, s41
	v_lshlrev_b32_e32 v6, 16, v97
	s_mov_b32 s41, exec_lo
                                        ; implicit-def: $vgpr97
	s_delay_alu instid0(VALU_DEP_1) | instskip(NEXT) | instid1(VALU_DEP_1)
	v_mul_f32_e32 v6, v15, v6
	v_and_b32_e32 v7, 0x7f800000, v6
	s_delay_alu instid0(VALU_DEP_1)
	v_cmpx_ne_u32_e32 0x7f800000, v7
	s_xor_b32 s41, exec_lo, s41
; %bb.2484:                             ;   in Loop: Header=BB12_2450 Depth=4
	v_bfe_u32 v7, v6, 16, 1
	s_delay_alu instid0(VALU_DEP_1)
	v_add3_u32 v97, v6, v7, 0x7fff
                                        ; implicit-def: $vgpr6
; %bb.2485:                             ;   in Loop: Header=BB12_2450 Depth=4
	s_and_not1_saveexec_b32 s41, s41
; %bb.2486:                             ;   in Loop: Header=BB12_2450 Depth=4
	v_and_b32_e32 v7, 0xffff, v6
	v_or_b32_e32 v14, 0x10000, v6
	s_delay_alu instid0(VALU_DEP_2) | instskip(NEXT) | instid1(VALU_DEP_2)
	v_cmp_eq_u32_e32 vcc_lo, 0, v7
	v_cndmask_b32_e32 v97, v14, v6, vcc_lo
; %bb.2487:                             ;   in Loop: Header=BB12_2450 Depth=4
	s_or_b32 exec_lo, exec_lo, s41
	v_lshlrev_b32_e32 v6, 16, v87
	s_mov_b32 s41, exec_lo
                                        ; implicit-def: $vgpr87
	s_delay_alu instid0(VALU_DEP_1) | instskip(NEXT) | instid1(VALU_DEP_1)
	v_mul_f32_e32 v6, v15, v6
	v_and_b32_e32 v7, 0x7f800000, v6
	s_delay_alu instid0(VALU_DEP_1)
	v_cmpx_ne_u32_e32 0x7f800000, v7
	s_xor_b32 s41, exec_lo, s41
; %bb.2488:                             ;   in Loop: Header=BB12_2450 Depth=4
	v_bfe_u32 v7, v6, 16, 1
	s_delay_alu instid0(VALU_DEP_1)
	v_add3_u32 v87, v6, v7, 0x7fff
                                        ; implicit-def: $vgpr6
; %bb.2489:                             ;   in Loop: Header=BB12_2450 Depth=4
	s_and_not1_saveexec_b32 s41, s41
; %bb.2490:                             ;   in Loop: Header=BB12_2450 Depth=4
	v_and_b32_e32 v7, 0xffff, v6
	v_or_b32_e32 v14, 0x10000, v6
	s_delay_alu instid0(VALU_DEP_2) | instskip(NEXT) | instid1(VALU_DEP_2)
	v_cmp_eq_u32_e32 vcc_lo, 0, v7
	v_cndmask_b32_e32 v87, v14, v6, vcc_lo
; %bb.2491:                             ;   in Loop: Header=BB12_2450 Depth=4
	s_or_b32 exec_lo, exec_lo, s41
	v_lshlrev_b32_e32 v6, 16, v85
	s_mov_b32 s41, exec_lo
                                        ; implicit-def: $vgpr85
	s_delay_alu instid0(VALU_DEP_1) | instskip(NEXT) | instid1(VALU_DEP_1)
	v_mul_f32_e32 v6, v15, v6
	v_and_b32_e32 v7, 0x7f800000, v6
	s_delay_alu instid0(VALU_DEP_1)
	v_cmpx_ne_u32_e32 0x7f800000, v7
	s_xor_b32 s41, exec_lo, s41
; %bb.2492:                             ;   in Loop: Header=BB12_2450 Depth=4
	v_bfe_u32 v7, v6, 16, 1
	s_delay_alu instid0(VALU_DEP_1)
	v_add3_u32 v85, v6, v7, 0x7fff
                                        ; implicit-def: $vgpr6
; %bb.2493:                             ;   in Loop: Header=BB12_2450 Depth=4
	s_and_not1_saveexec_b32 s41, s41
; %bb.2494:                             ;   in Loop: Header=BB12_2450 Depth=4
	v_and_b32_e32 v7, 0xffff, v6
	v_or_b32_e32 v14, 0x10000, v6
	s_delay_alu instid0(VALU_DEP_2) | instskip(NEXT) | instid1(VALU_DEP_2)
	v_cmp_eq_u32_e32 vcc_lo, 0, v7
	v_cndmask_b32_e32 v85, v14, v6, vcc_lo
; %bb.2495:                             ;   in Loop: Header=BB12_2450 Depth=4
	s_or_b32 exec_lo, exec_lo, s41
	v_lshlrev_b32_e32 v6, 16, v83
	s_mov_b32 s41, exec_lo
                                        ; implicit-def: $vgpr17
	s_delay_alu instid0(VALU_DEP_1) | instskip(NEXT) | instid1(VALU_DEP_1)
	v_mul_f32_e32 v6, v15, v6
	v_and_b32_e32 v7, 0x7f800000, v6
	s_delay_alu instid0(VALU_DEP_1)
	v_cmpx_ne_u32_e32 0x7f800000, v7
	s_xor_b32 s41, exec_lo, s41
; %bb.2496:                             ;   in Loop: Header=BB12_2450 Depth=4
	v_bfe_u32 v7, v6, 16, 1
	s_delay_alu instid0(VALU_DEP_1)
	v_add3_u32 v17, v6, v7, 0x7fff
                                        ; implicit-def: $vgpr6
; %bb.2497:                             ;   in Loop: Header=BB12_2450 Depth=4
	s_and_not1_saveexec_b32 s41, s41
; %bb.2498:                             ;   in Loop: Header=BB12_2450 Depth=4
	v_and_b32_e32 v7, 0xffff, v6
	v_or_b32_e32 v14, 0x10000, v6
	s_delay_alu instid0(VALU_DEP_2) | instskip(NEXT) | instid1(VALU_DEP_2)
	v_cmp_eq_u32_e32 vcc_lo, 0, v7
	v_cndmask_b32_e32 v17, v14, v6, vcc_lo
; %bb.2499:                             ;   in Loop: Header=BB12_2450 Depth=4
	s_or_b32 exec_lo, exec_lo, s41
	v_lshlrev_b32_e32 v6, 16, v81
	s_mov_b32 s41, exec_lo
                                        ; implicit-def: $vgpr16
	s_delay_alu instid0(VALU_DEP_1) | instskip(NEXT) | instid1(VALU_DEP_1)
	v_mul_f32_e32 v6, v15, v6
	v_and_b32_e32 v7, 0x7f800000, v6
	s_delay_alu instid0(VALU_DEP_1)
	v_cmpx_ne_u32_e32 0x7f800000, v7
	s_xor_b32 s41, exec_lo, s41
; %bb.2500:                             ;   in Loop: Header=BB12_2450 Depth=4
	v_bfe_u32 v7, v6, 16, 1
	s_delay_alu instid0(VALU_DEP_1)
	v_add3_u32 v16, v6, v7, 0x7fff
                                        ; implicit-def: $vgpr6
; %bb.2501:                             ;   in Loop: Header=BB12_2450 Depth=4
	s_and_not1_saveexec_b32 s41, s41
; %bb.2502:                             ;   in Loop: Header=BB12_2450 Depth=4
	v_and_b32_e32 v7, 0xffff, v6
	v_or_b32_e32 v14, 0x10000, v6
	s_delay_alu instid0(VALU_DEP_2) | instskip(NEXT) | instid1(VALU_DEP_2)
	v_cmp_eq_u32_e32 vcc_lo, 0, v7
	v_cndmask_b32_e32 v16, v14, v6, vcc_lo
; %bb.2503:                             ;   in Loop: Header=BB12_2450 Depth=4
	s_or_b32 exec_lo, exec_lo, s41
	v_lshlrev_b32_e32 v6, 16, v71
	s_mov_b32 s41, exec_lo
                                        ; implicit-def: $vgpr14
	s_delay_alu instid0(VALU_DEP_1) | instskip(NEXT) | instid1(VALU_DEP_1)
	v_mul_f32_e32 v6, v15, v6
	v_and_b32_e32 v7, 0x7f800000, v6
	s_delay_alu instid0(VALU_DEP_1)
	v_cmpx_ne_u32_e32 0x7f800000, v7
	s_xor_b32 s41, exec_lo, s41
; %bb.2504:                             ;   in Loop: Header=BB12_2450 Depth=4
	v_bfe_u32 v7, v6, 16, 1
	s_delay_alu instid0(VALU_DEP_1)
	v_add3_u32 v14, v6, v7, 0x7fff
                                        ; implicit-def: $vgpr6
; %bb.2505:                             ;   in Loop: Header=BB12_2450 Depth=4
	s_and_not1_saveexec_b32 s41, s41
; %bb.2506:                             ;   in Loop: Header=BB12_2450 Depth=4
	v_and_b32_e32 v7, 0xffff, v6
	v_or_b32_e32 v14, 0x10000, v6
	s_delay_alu instid0(VALU_DEP_2) | instskip(NEXT) | instid1(VALU_DEP_2)
	v_cmp_eq_u32_e32 vcc_lo, 0, v7
	v_cndmask_b32_e32 v14, v14, v6, vcc_lo
; %bb.2507:                             ;   in Loop: Header=BB12_2450 Depth=4
	s_or_b32 exec_lo, exec_lo, s41
	v_lshlrev_b32_e32 v6, 16, v69
	s_delay_alu instid0(VALU_DEP_1) | instskip(NEXT) | instid1(VALU_DEP_1)
	v_mul_f32_e32 v6, v15, v6
	v_and_b32_e32 v7, 0x7f800000, v6
	s_delay_alu instid0(VALU_DEP_1) | instskip(SKIP_1) | instid1(SALU_CYCLE_1)
	v_cmp_ne_u32_e32 vcc_lo, 0x7f800000, v7
                                        ; implicit-def: $vgpr7
	s_and_saveexec_b32 s41, vcc_lo
	s_xor_b32 s41, exec_lo, s41
; %bb.2508:                             ;   in Loop: Header=BB12_2450 Depth=4
	v_bfe_u32 v7, v6, 16, 1
	s_delay_alu instid0(VALU_DEP_1)
	v_add3_u32 v7, v6, v7, 0x7fff
                                        ; implicit-def: $vgpr6
; %bb.2509:                             ;   in Loop: Header=BB12_2450 Depth=4
	s_and_not1_saveexec_b32 s41, s41
; %bb.2510:                             ;   in Loop: Header=BB12_2450 Depth=4
	v_and_b32_e32 v7, 0xffff, v6
	v_or_b32_e32 v69, 0x10000, v6
	s_delay_alu instid0(VALU_DEP_2) | instskip(NEXT) | instid1(VALU_DEP_2)
	v_cmp_eq_u32_e32 vcc_lo, 0, v7
	v_cndmask_b32_e32 v7, v69, v6, vcc_lo
; %bb.2511:                             ;   in Loop: Header=BB12_2450 Depth=4
	s_or_b32 exec_lo, exec_lo, s41
	v_lshlrev_b32_e32 v6, 16, v68
	s_delay_alu instid0(VALU_DEP_1) | instskip(NEXT) | instid1(VALU_DEP_1)
	v_mul_f32_e32 v15, v15, v6
	v_and_b32_e32 v6, 0x7f800000, v15
	s_delay_alu instid0(VALU_DEP_1) | instskip(SKIP_1) | instid1(SALU_CYCLE_1)
	v_cmp_ne_u32_e32 vcc_lo, 0x7f800000, v6
                                        ; implicit-def: $vgpr6
	s_and_saveexec_b32 s41, vcc_lo
	s_xor_b32 s41, exec_lo, s41
; %bb.2512:                             ;   in Loop: Header=BB12_2450 Depth=4
	v_bfe_u32 v6, v15, 16, 1
	s_delay_alu instid0(VALU_DEP_1)
	v_add3_u32 v6, v15, v6, 0x7fff
                                        ; implicit-def: $vgpr15
; %bb.2513:                             ;   in Loop: Header=BB12_2450 Depth=4
	s_and_not1_saveexec_b32 s41, s41
; %bb.2514:                             ;   in Loop: Header=BB12_2450 Depth=4
	v_and_b32_e32 v6, 0xffff, v15
	v_or_b32_e32 v68, 0x10000, v15
	s_delay_alu instid0(VALU_DEP_2) | instskip(NEXT) | instid1(VALU_DEP_2)
	v_cmp_eq_u32_e32 vcc_lo, 0, v6
	v_cndmask_b32_e32 v6, v68, v15, vcc_lo
; %bb.2515:                             ;   in Loop: Header=BB12_2450 Depth=4
	s_or_b32 exec_lo, exec_lo, s41
	v_and_b32_e32 v0, 0xffff0000, v0
	v_lshlrev_b32_e32 v15, 16, v21
	s_delay_alu instid0(VALU_DEP_1) | instskip(NEXT) | instid1(VALU_DEP_1)
	v_add_f32_e32 v15, v15, v0
	v_and_b32_e32 v0, 0x7f800000, v15
	s_delay_alu instid0(VALU_DEP_1) | instskip(SKIP_1) | instid1(SALU_CYCLE_1)
	v_cmp_ne_u32_e32 vcc_lo, 0x7f800000, v0
                                        ; implicit-def: $vgpr0
	s_and_saveexec_b32 s41, vcc_lo
	s_xor_b32 s41, exec_lo, s41
; %bb.2516:                             ;   in Loop: Header=BB12_2450 Depth=4
	v_bfe_u32 v0, v15, 16, 1
	s_delay_alu instid0(VALU_DEP_1)
	v_add3_u32 v0, v15, v0, 0x7fff
                                        ; implicit-def: $vgpr15
; %bb.2517:                             ;   in Loop: Header=BB12_2450 Depth=4
	s_and_not1_saveexec_b32 s41, s41
; %bb.2518:                             ;   in Loop: Header=BB12_2450 Depth=4
	v_and_b32_e32 v0, 0xffff, v15
	v_or_b32_e32 v68, 0x10000, v15
	s_delay_alu instid0(VALU_DEP_2) | instskip(NEXT) | instid1(VALU_DEP_2)
	v_cmp_eq_u32_e32 vcc_lo, 0, v0
	v_cndmask_b32_e32 v0, v68, v15, vcc_lo
; %bb.2519:                             ;   in Loop: Header=BB12_2450 Depth=4
	s_or_b32 exec_lo, exec_lo, s41
	v_and_b32_e32 v15, 0xffff0000, v119
	v_lshlrev_b32_e32 v68, 16, v22
	s_delay_alu instid0(VALU_DEP_1) | instskip(NEXT) | instid1(VALU_DEP_1)
	v_add_f32_e32 v68, v68, v15
	v_and_b32_e32 v15, 0x7f800000, v68
	s_delay_alu instid0(VALU_DEP_1) | instskip(SKIP_1) | instid1(SALU_CYCLE_1)
	v_cmp_ne_u32_e32 vcc_lo, 0x7f800000, v15
                                        ; implicit-def: $vgpr15
	s_and_saveexec_b32 s41, vcc_lo
	s_xor_b32 s41, exec_lo, s41
; %bb.2520:                             ;   in Loop: Header=BB12_2450 Depth=4
	v_bfe_u32 v15, v68, 16, 1
	s_delay_alu instid0(VALU_DEP_1)
	v_add3_u32 v15, v68, v15, 0x7fff
                                        ; implicit-def: $vgpr68
; %bb.2521:                             ;   in Loop: Header=BB12_2450 Depth=4
	s_and_not1_saveexec_b32 s41, s41
; %bb.2522:                             ;   in Loop: Header=BB12_2450 Depth=4
	v_and_b32_e32 v15, 0xffff, v68
	v_or_b32_e32 v69, 0x10000, v68
	s_delay_alu instid0(VALU_DEP_2) | instskip(NEXT) | instid1(VALU_DEP_2)
	v_cmp_eq_u32_e32 vcc_lo, 0, v15
	v_cndmask_b32_e32 v15, v69, v68, vcc_lo
; %bb.2523:                             ;   in Loop: Header=BB12_2450 Depth=4
	s_or_b32 exec_lo, exec_lo, s41
	v_and_b32_e32 v68, 0xffff0000, v118
	v_lshlrev_b32_e32 v69, 16, v23
	s_delay_alu instid0(VALU_DEP_1) | instskip(NEXT) | instid1(VALU_DEP_1)
	v_add_f32_e32 v69, v69, v68
	v_and_b32_e32 v68, 0x7f800000, v69
	s_delay_alu instid0(VALU_DEP_1) | instskip(SKIP_1) | instid1(SALU_CYCLE_1)
	v_cmp_ne_u32_e32 vcc_lo, 0x7f800000, v68
                                        ; implicit-def: $vgpr68
	s_and_saveexec_b32 s41, vcc_lo
	s_xor_b32 s41, exec_lo, s41
; %bb.2524:                             ;   in Loop: Header=BB12_2450 Depth=4
	v_bfe_u32 v68, v69, 16, 1
	s_delay_alu instid0(VALU_DEP_1)
	v_add3_u32 v68, v69, v68, 0x7fff
                                        ; implicit-def: $vgpr69
; %bb.2525:                             ;   in Loop: Header=BB12_2450 Depth=4
	s_and_not1_saveexec_b32 s41, s41
; %bb.2526:                             ;   in Loop: Header=BB12_2450 Depth=4
	v_and_b32_e32 v68, 0xffff, v69
	v_or_b32_e32 v71, 0x10000, v69
	s_delay_alu instid0(VALU_DEP_2) | instskip(NEXT) | instid1(VALU_DEP_2)
	v_cmp_eq_u32_e32 vcc_lo, 0, v68
	v_cndmask_b32_e32 v68, v71, v69, vcc_lo
; %bb.2527:                             ;   in Loop: Header=BB12_2450 Depth=4
	s_or_b32 exec_lo, exec_lo, s41
	v_and_b32_e32 v69, 0xffff0000, v115
	v_lshlrev_b32_e32 v71, 16, v24
	s_mov_b32 s41, exec_lo
                                        ; implicit-def: $vgpr115
	s_delay_alu instid0(VALU_DEP_1) | instskip(NEXT) | instid1(VALU_DEP_1)
	v_add_f32_e32 v69, v71, v69
	v_and_b32_e32 v71, 0x7f800000, v69
	s_delay_alu instid0(VALU_DEP_1)
	v_cmpx_ne_u32_e32 0x7f800000, v71
	s_xor_b32 s41, exec_lo, s41
; %bb.2528:                             ;   in Loop: Header=BB12_2450 Depth=4
	v_bfe_u32 v71, v69, 16, 1
	s_delay_alu instid0(VALU_DEP_1)
	v_add3_u32 v115, v69, v71, 0x7fff
                                        ; implicit-def: $vgpr69
; %bb.2529:                             ;   in Loop: Header=BB12_2450 Depth=4
	s_and_not1_saveexec_b32 s41, s41
; %bb.2530:                             ;   in Loop: Header=BB12_2450 Depth=4
	v_and_b32_e32 v71, 0xffff, v69
	v_or_b32_e32 v81, 0x10000, v69
	s_delay_alu instid0(VALU_DEP_2) | instskip(NEXT) | instid1(VALU_DEP_2)
	v_cmp_eq_u32_e32 vcc_lo, 0, v71
	v_cndmask_b32_e32 v115, v81, v69, vcc_lo
; %bb.2531:                             ;   in Loop: Header=BB12_2450 Depth=4
	s_or_b32 exec_lo, exec_lo, s41
	v_and_b32_e32 v69, 0xffff0000, v113
	v_lshlrev_b32_e32 v71, 16, v25
	s_mov_b32 s41, exec_lo
                                        ; implicit-def: $vgpr113
	s_delay_alu instid0(VALU_DEP_1) | instskip(NEXT) | instid1(VALU_DEP_1)
	v_add_f32_e32 v69, v71, v69
	v_and_b32_e32 v71, 0x7f800000, v69
	s_delay_alu instid0(VALU_DEP_1)
	v_cmpx_ne_u32_e32 0x7f800000, v71
	s_xor_b32 s41, exec_lo, s41
; %bb.2532:                             ;   in Loop: Header=BB12_2450 Depth=4
	v_bfe_u32 v71, v69, 16, 1
	s_delay_alu instid0(VALU_DEP_1)
	v_add3_u32 v113, v69, v71, 0x7fff
                                        ; implicit-def: $vgpr69
; %bb.2533:                             ;   in Loop: Header=BB12_2450 Depth=4
	s_and_not1_saveexec_b32 s41, s41
; %bb.2534:                             ;   in Loop: Header=BB12_2450 Depth=4
	v_and_b32_e32 v71, 0xffff, v69
	v_or_b32_e32 v81, 0x10000, v69
	s_delay_alu instid0(VALU_DEP_2) | instskip(NEXT) | instid1(VALU_DEP_2)
	v_cmp_eq_u32_e32 vcc_lo, 0, v71
	v_cndmask_b32_e32 v113, v81, v69, vcc_lo
; %bb.2535:                             ;   in Loop: Header=BB12_2450 Depth=4
	s_or_b32 exec_lo, exec_lo, s41
	v_and_b32_e32 v69, 0xffff0000, v103
	v_lshlrev_b32_e32 v71, 16, v26
	s_mov_b32 s41, exec_lo
                                        ; implicit-def: $vgpr103
	s_delay_alu instid0(VALU_DEP_1) | instskip(NEXT) | instid1(VALU_DEP_1)
	v_add_f32_e32 v69, v71, v69
	v_and_b32_e32 v71, 0x7f800000, v69
	s_delay_alu instid0(VALU_DEP_1)
	v_cmpx_ne_u32_e32 0x7f800000, v71
	s_xor_b32 s41, exec_lo, s41
; %bb.2536:                             ;   in Loop: Header=BB12_2450 Depth=4
	v_bfe_u32 v71, v69, 16, 1
	s_delay_alu instid0(VALU_DEP_1)
	v_add3_u32 v103, v69, v71, 0x7fff
                                        ; implicit-def: $vgpr69
; %bb.2537:                             ;   in Loop: Header=BB12_2450 Depth=4
	s_and_not1_saveexec_b32 s41, s41
; %bb.2538:                             ;   in Loop: Header=BB12_2450 Depth=4
	v_and_b32_e32 v71, 0xffff, v69
	v_or_b32_e32 v81, 0x10000, v69
	s_delay_alu instid0(VALU_DEP_2) | instskip(NEXT) | instid1(VALU_DEP_2)
	v_cmp_eq_u32_e32 vcc_lo, 0, v71
	v_cndmask_b32_e32 v103, v81, v69, vcc_lo
; %bb.2539:                             ;   in Loop: Header=BB12_2450 Depth=4
	s_or_b32 exec_lo, exec_lo, s41
	v_and_b32_e32 v69, 0xffff0000, v101
	v_lshlrev_b32_e32 v71, 16, v27
	s_mov_b32 s41, exec_lo
                                        ; implicit-def: $vgpr101
	s_delay_alu instid0(VALU_DEP_1) | instskip(NEXT) | instid1(VALU_DEP_1)
	v_add_f32_e32 v69, v71, v69
	v_and_b32_e32 v71, 0x7f800000, v69
	s_delay_alu instid0(VALU_DEP_1)
	v_cmpx_ne_u32_e32 0x7f800000, v71
	s_xor_b32 s41, exec_lo, s41
; %bb.2540:                             ;   in Loop: Header=BB12_2450 Depth=4
	v_bfe_u32 v71, v69, 16, 1
	s_delay_alu instid0(VALU_DEP_1)
	v_add3_u32 v101, v69, v71, 0x7fff
                                        ; implicit-def: $vgpr69
; %bb.2541:                             ;   in Loop: Header=BB12_2450 Depth=4
	s_and_not1_saveexec_b32 s41, s41
; %bb.2542:                             ;   in Loop: Header=BB12_2450 Depth=4
	v_and_b32_e32 v71, 0xffff, v69
	v_or_b32_e32 v81, 0x10000, v69
	s_delay_alu instid0(VALU_DEP_2) | instskip(NEXT) | instid1(VALU_DEP_2)
	v_cmp_eq_u32_e32 vcc_lo, 0, v71
	v_cndmask_b32_e32 v101, v81, v69, vcc_lo
; %bb.2543:                             ;   in Loop: Header=BB12_2450 Depth=4
	s_or_b32 exec_lo, exec_lo, s41
	v_and_b32_e32 v69, 0xffff0000, v99
	v_lshlrev_b32_e32 v71, 16, v29
	s_mov_b32 s41, exec_lo
                                        ; implicit-def: $vgpr99
	s_delay_alu instid0(VALU_DEP_1) | instskip(NEXT) | instid1(VALU_DEP_1)
	v_add_f32_e32 v69, v71, v69
	v_and_b32_e32 v71, 0x7f800000, v69
	s_delay_alu instid0(VALU_DEP_1)
	v_cmpx_ne_u32_e32 0x7f800000, v71
	s_xor_b32 s41, exec_lo, s41
; %bb.2544:                             ;   in Loop: Header=BB12_2450 Depth=4
	v_bfe_u32 v71, v69, 16, 1
	s_delay_alu instid0(VALU_DEP_1)
	v_add3_u32 v99, v69, v71, 0x7fff
                                        ; implicit-def: $vgpr69
; %bb.2545:                             ;   in Loop: Header=BB12_2450 Depth=4
	s_and_not1_saveexec_b32 s41, s41
; %bb.2546:                             ;   in Loop: Header=BB12_2450 Depth=4
	v_and_b32_e32 v71, 0xffff, v69
	v_or_b32_e32 v81, 0x10000, v69
	s_delay_alu instid0(VALU_DEP_2) | instskip(NEXT) | instid1(VALU_DEP_2)
	v_cmp_eq_u32_e32 vcc_lo, 0, v71
	v_cndmask_b32_e32 v99, v81, v69, vcc_lo
; %bb.2547:                             ;   in Loop: Header=BB12_2450 Depth=4
	s_or_b32 exec_lo, exec_lo, s41
	v_and_b32_e32 v69, 0xffff0000, v97
	v_lshlrev_b32_e32 v71, 16, v30
	s_mov_b32 s41, exec_lo
                                        ; implicit-def: $vgpr97
	s_delay_alu instid0(VALU_DEP_1) | instskip(NEXT) | instid1(VALU_DEP_1)
	v_add_f32_e32 v69, v71, v69
	v_and_b32_e32 v71, 0x7f800000, v69
	s_delay_alu instid0(VALU_DEP_1)
	v_cmpx_ne_u32_e32 0x7f800000, v71
	s_xor_b32 s41, exec_lo, s41
; %bb.2548:                             ;   in Loop: Header=BB12_2450 Depth=4
	v_bfe_u32 v71, v69, 16, 1
	s_delay_alu instid0(VALU_DEP_1)
	v_add3_u32 v97, v69, v71, 0x7fff
                                        ; implicit-def: $vgpr69
; %bb.2549:                             ;   in Loop: Header=BB12_2450 Depth=4
	s_and_not1_saveexec_b32 s41, s41
; %bb.2550:                             ;   in Loop: Header=BB12_2450 Depth=4
	v_and_b32_e32 v71, 0xffff, v69
	v_or_b32_e32 v81, 0x10000, v69
	s_delay_alu instid0(VALU_DEP_2) | instskip(NEXT) | instid1(VALU_DEP_2)
	v_cmp_eq_u32_e32 vcc_lo, 0, v71
	v_cndmask_b32_e32 v97, v81, v69, vcc_lo
; %bb.2551:                             ;   in Loop: Header=BB12_2450 Depth=4
	s_or_b32 exec_lo, exec_lo, s41
	v_and_b32_e32 v69, 0xffff0000, v87
	v_lshlrev_b32_e32 v71, 16, v31
	s_mov_b32 s41, exec_lo
                                        ; implicit-def: $vgpr87
	s_delay_alu instid0(VALU_DEP_1) | instskip(NEXT) | instid1(VALU_DEP_1)
	v_add_f32_e32 v69, v71, v69
	v_and_b32_e32 v71, 0x7f800000, v69
	s_delay_alu instid0(VALU_DEP_1)
	v_cmpx_ne_u32_e32 0x7f800000, v71
	s_xor_b32 s41, exec_lo, s41
; %bb.2552:                             ;   in Loop: Header=BB12_2450 Depth=4
	v_bfe_u32 v71, v69, 16, 1
	s_delay_alu instid0(VALU_DEP_1)
	v_add3_u32 v87, v69, v71, 0x7fff
                                        ; implicit-def: $vgpr69
; %bb.2553:                             ;   in Loop: Header=BB12_2450 Depth=4
	s_and_not1_saveexec_b32 s41, s41
; %bb.2554:                             ;   in Loop: Header=BB12_2450 Depth=4
	v_and_b32_e32 v71, 0xffff, v69
	v_or_b32_e32 v81, 0x10000, v69
	s_delay_alu instid0(VALU_DEP_2) | instskip(NEXT) | instid1(VALU_DEP_2)
	v_cmp_eq_u32_e32 vcc_lo, 0, v71
	v_cndmask_b32_e32 v87, v81, v69, vcc_lo
; %bb.2555:                             ;   in Loop: Header=BB12_2450 Depth=4
	s_or_b32 exec_lo, exec_lo, s41
	v_and_b32_e32 v69, 0xffff0000, v85
	v_lshlrev_b32_e32 v71, 16, v32
	s_mov_b32 s41, exec_lo
                                        ; implicit-def: $vgpr85
	s_delay_alu instid0(VALU_DEP_1) | instskip(NEXT) | instid1(VALU_DEP_1)
	v_add_f32_e32 v69, v71, v69
	v_and_b32_e32 v71, 0x7f800000, v69
	s_delay_alu instid0(VALU_DEP_1)
	v_cmpx_ne_u32_e32 0x7f800000, v71
	s_xor_b32 s41, exec_lo, s41
; %bb.2556:                             ;   in Loop: Header=BB12_2450 Depth=4
	v_bfe_u32 v71, v69, 16, 1
	s_delay_alu instid0(VALU_DEP_1)
	v_add3_u32 v85, v69, v71, 0x7fff
                                        ; implicit-def: $vgpr69
; %bb.2557:                             ;   in Loop: Header=BB12_2450 Depth=4
	s_and_not1_saveexec_b32 s41, s41
; %bb.2558:                             ;   in Loop: Header=BB12_2450 Depth=4
	v_and_b32_e32 v71, 0xffff, v69
	v_or_b32_e32 v81, 0x10000, v69
	s_delay_alu instid0(VALU_DEP_2) | instskip(NEXT) | instid1(VALU_DEP_2)
	v_cmp_eq_u32_e32 vcc_lo, 0, v71
	v_cndmask_b32_e32 v85, v81, v69, vcc_lo
; %bb.2559:                             ;   in Loop: Header=BB12_2450 Depth=4
	s_or_b32 exec_lo, exec_lo, s41
	v_and_b32_e32 v17, 0xffff0000, v17
	v_lshlrev_b32_e32 v69, 16, v33
	s_delay_alu instid0(VALU_DEP_1) | instskip(NEXT) | instid1(VALU_DEP_1)
	v_add_f32_e32 v69, v69, v17
	v_and_b32_e32 v17, 0x7f800000, v69
	s_delay_alu instid0(VALU_DEP_1) | instskip(SKIP_1) | instid1(SALU_CYCLE_1)
	v_cmp_ne_u32_e32 vcc_lo, 0x7f800000, v17
                                        ; implicit-def: $vgpr17
	s_and_saveexec_b32 s41, vcc_lo
	s_xor_b32 s41, exec_lo, s41
; %bb.2560:                             ;   in Loop: Header=BB12_2450 Depth=4
	v_bfe_u32 v17, v69, 16, 1
	s_delay_alu instid0(VALU_DEP_1)
	v_add3_u32 v17, v69, v17, 0x7fff
                                        ; implicit-def: $vgpr69
; %bb.2561:                             ;   in Loop: Header=BB12_2450 Depth=4
	s_and_not1_saveexec_b32 s41, s41
; %bb.2562:                             ;   in Loop: Header=BB12_2450 Depth=4
	v_and_b32_e32 v17, 0xffff, v69
	v_or_b32_e32 v71, 0x10000, v69
	s_delay_alu instid0(VALU_DEP_2) | instskip(NEXT) | instid1(VALU_DEP_2)
	v_cmp_eq_u32_e32 vcc_lo, 0, v17
	v_cndmask_b32_e32 v17, v71, v69, vcc_lo
; %bb.2563:                             ;   in Loop: Header=BB12_2450 Depth=4
	s_or_b32 exec_lo, exec_lo, s41
	v_and_b32_e32 v16, 0xffff0000, v16
	v_lshlrev_b32_e32 v69, 16, v34
	s_delay_alu instid0(VALU_DEP_1) | instskip(NEXT) | instid1(VALU_DEP_1)
	v_add_f32_e32 v69, v69, v16
	v_and_b32_e32 v16, 0x7f800000, v69
	s_delay_alu instid0(VALU_DEP_1) | instskip(SKIP_1) | instid1(SALU_CYCLE_1)
	v_cmp_ne_u32_e32 vcc_lo, 0x7f800000, v16
                                        ; implicit-def: $vgpr16
	s_and_saveexec_b32 s41, vcc_lo
	s_xor_b32 s41, exec_lo, s41
; %bb.2564:                             ;   in Loop: Header=BB12_2450 Depth=4
	v_bfe_u32 v16, v69, 16, 1
	s_delay_alu instid0(VALU_DEP_1)
	v_add3_u32 v16, v69, v16, 0x7fff
                                        ; implicit-def: $vgpr69
; %bb.2565:                             ;   in Loop: Header=BB12_2450 Depth=4
	s_and_not1_saveexec_b32 s41, s41
; %bb.2566:                             ;   in Loop: Header=BB12_2450 Depth=4
	v_and_b32_e32 v16, 0xffff, v69
	v_or_b32_e32 v71, 0x10000, v69
	s_delay_alu instid0(VALU_DEP_2) | instskip(NEXT) | instid1(VALU_DEP_2)
	v_cmp_eq_u32_e32 vcc_lo, 0, v16
	v_cndmask_b32_e32 v16, v71, v69, vcc_lo
; %bb.2567:                             ;   in Loop: Header=BB12_2450 Depth=4
	s_or_b32 exec_lo, exec_lo, s41
	v_and_b32_e32 v14, 0xffff0000, v14
	v_lshlrev_b32_e32 v69, 16, v35
	s_delay_alu instid0(VALU_DEP_1) | instskip(NEXT) | instid1(VALU_DEP_1)
	v_add_f32_e32 v69, v69, v14
	v_and_b32_e32 v14, 0x7f800000, v69
	s_delay_alu instid0(VALU_DEP_1) | instskip(SKIP_1) | instid1(SALU_CYCLE_1)
	v_cmp_ne_u32_e32 vcc_lo, 0x7f800000, v14
                                        ; implicit-def: $vgpr14
	s_and_saveexec_b32 s41, vcc_lo
	s_xor_b32 s41, exec_lo, s41
; %bb.2568:                             ;   in Loop: Header=BB12_2450 Depth=4
	v_bfe_u32 v14, v69, 16, 1
	s_delay_alu instid0(VALU_DEP_1)
	v_add3_u32 v14, v69, v14, 0x7fff
                                        ; implicit-def: $vgpr69
; %bb.2569:                             ;   in Loop: Header=BB12_2450 Depth=4
	s_and_not1_saveexec_b32 s41, s41
; %bb.2570:                             ;   in Loop: Header=BB12_2450 Depth=4
	v_and_b32_e32 v14, 0xffff, v69
	v_or_b32_e32 v71, 0x10000, v69
	s_delay_alu instid0(VALU_DEP_2) | instskip(NEXT) | instid1(VALU_DEP_2)
	v_cmp_eq_u32_e32 vcc_lo, 0, v14
	v_cndmask_b32_e32 v14, v71, v69, vcc_lo
; %bb.2571:                             ;   in Loop: Header=BB12_2450 Depth=4
	s_or_b32 exec_lo, exec_lo, s41
	v_and_b32_e32 v7, 0xffff0000, v7
	v_lshlrev_b32_e32 v69, 16, v36
	s_delay_alu instid0(VALU_DEP_1) | instskip(NEXT) | instid1(VALU_DEP_1)
	v_add_f32_e32 v69, v69, v7
	v_and_b32_e32 v7, 0x7f800000, v69
	s_delay_alu instid0(VALU_DEP_1) | instskip(SKIP_1) | instid1(SALU_CYCLE_1)
	v_cmp_ne_u32_e32 vcc_lo, 0x7f800000, v7
                                        ; implicit-def: $vgpr7
	s_and_saveexec_b32 s41, vcc_lo
	s_xor_b32 s41, exec_lo, s41
; %bb.2572:                             ;   in Loop: Header=BB12_2450 Depth=4
	v_bfe_u32 v7, v69, 16, 1
	s_delay_alu instid0(VALU_DEP_1)
	v_add3_u32 v7, v69, v7, 0x7fff
                                        ; implicit-def: $vgpr69
; %bb.2573:                             ;   in Loop: Header=BB12_2450 Depth=4
	s_and_not1_saveexec_b32 s41, s41
; %bb.2574:                             ;   in Loop: Header=BB12_2450 Depth=4
	v_and_b32_e32 v7, 0xffff, v69
	v_or_b32_e32 v71, 0x10000, v69
	s_delay_alu instid0(VALU_DEP_2) | instskip(NEXT) | instid1(VALU_DEP_2)
	v_cmp_eq_u32_e32 vcc_lo, 0, v7
	v_cndmask_b32_e32 v7, v71, v69, vcc_lo
; %bb.2575:                             ;   in Loop: Header=BB12_2450 Depth=4
	s_or_b32 exec_lo, exec_lo, s41
	v_and_b32_e32 v6, 0xffff0000, v6
	v_lshlrev_b32_e32 v69, 16, v37
	s_delay_alu instid0(VALU_DEP_1) | instskip(NEXT) | instid1(VALU_DEP_1)
	v_add_f32_e32 v69, v69, v6
	v_and_b32_e32 v6, 0x7f800000, v69
	s_delay_alu instid0(VALU_DEP_1) | instskip(SKIP_1) | instid1(SALU_CYCLE_1)
	v_cmp_ne_u32_e32 vcc_lo, 0x7f800000, v6
                                        ; implicit-def: $vgpr6
	s_and_saveexec_b32 s41, vcc_lo
	s_xor_b32 s41, exec_lo, s41
; %bb.2576:                             ;   in Loop: Header=BB12_2450 Depth=4
	v_bfe_u32 v6, v69, 16, 1
	s_delay_alu instid0(VALU_DEP_1)
	v_add3_u32 v6, v69, v6, 0x7fff
                                        ; implicit-def: $vgpr69
; %bb.2577:                             ;   in Loop: Header=BB12_2450 Depth=4
	s_and_not1_saveexec_b32 s41, s41
; %bb.2578:                             ;   in Loop: Header=BB12_2450 Depth=4
	v_and_b32_e32 v6, 0xffff, v69
	v_or_b32_e32 v71, 0x10000, v69
	s_delay_alu instid0(VALU_DEP_2) | instskip(NEXT) | instid1(VALU_DEP_2)
	v_cmp_eq_u32_e32 vcc_lo, 0, v6
	v_cndmask_b32_e32 v6, v71, v69, vcc_lo
; %bb.2579:                             ;   in Loop: Header=BB12_2450 Depth=4
	s_or_b32 exec_lo, exec_lo, s41
	v_dual_lshrrev_b32 v113, 16, v113 :: v_dual_lshrrev_b32 v125, 16, v0
	v_dual_lshrrev_b32 v77, 16, v15 :: v_dual_lshrrev_b32 v63, 16, v68
	s_delay_alu instid0(VALU_DEP_3)
	v_dual_lshrrev_b32 v115, 16, v115 :: v_dual_lshrrev_b32 v68, 16, v6
	v_dual_lshrrev_b32 v69, 16, v7 :: v_dual_lshrrev_b32 v71, 16, v14
	;; [unrolled: 1-line block ×6, first 2 shown]
	s_clause 0xf
	flat_store_b16 v[8:9], v125 th:TH_STORE_NT
	flat_store_b16 v[8:9], v77 offset:64 th:TH_STORE_NT
	flat_store_b16 v[8:9], v63 offset:128 th:TH_STORE_NT
	flat_store_b16 v[8:9], v115 offset:192 th:TH_STORE_NT
	flat_store_b16 v[8:9], v113 offset:256 th:TH_STORE_NT
	flat_store_b16 v[8:9], v103 offset:320 th:TH_STORE_NT
	flat_store_b16 v[8:9], v101 offset:384 th:TH_STORE_NT
	flat_store_b16 v[8:9], v99 offset:448 th:TH_STORE_NT
	flat_store_b16 v[8:9], v97 offset:512 th:TH_STORE_NT
	flat_store_b16 v[8:9], v87 offset:576 th:TH_STORE_NT
	flat_store_b16 v[8:9], v85 offset:640 th:TH_STORE_NT
	flat_store_b16 v[8:9], v83 offset:704 th:TH_STORE_NT
	flat_store_b16 v[8:9], v81 offset:768 th:TH_STORE_NT
	flat_store_b16 v[8:9], v71 offset:832 th:TH_STORE_NT
	flat_store_b16 v[8:9], v69 offset:896 th:TH_STORE_NT
	flat_store_b16 v[8:9], v68 offset:960 th:TH_STORE_NT
	s_wait_xcnt 0x0
	v_add_nc_u64_e32 v[8:9], v[8:9], v[108:109]
.LBB12_2580:                            ;   in Loop: Header=BB12_2450 Depth=4
	s_or_b32 exec_lo, exec_lo, s77
	v_sub_nc_u32_e32 v38, v38, v60
	v_add_nc_u64_e32 v[10:11], v[10:11], v[108:109]
	v_add_nc_u64_e32 v[12:13], v[12:13], v[108:109]
	s_delay_alu instid0(VALU_DEP_3)
	v_cmp_lt_i32_e64 s41, 0, v38
	s_and_saveexec_b32 s77, s41
	s_cbranch_execz .LBB12_2582
; %bb.2581:                             ;   in Loop: Header=BB12_2450 Depth=4
	s_clause 0xf
	flat_load_u16 v125, v[10:11] th:TH_LOAD_NT
	flat_load_u16 v77, v[10:11] offset:64 th:TH_LOAD_NT
	flat_load_u16 v63, v[10:11] offset:128 th:TH_LOAD_NT
	;; [unrolled: 1-line block ×15, first 2 shown]
	s_clause 0xf
	flat_load_u16 v21, v[12:13] th:TH_LOAD_NT
	flat_load_u16 v22, v[12:13] offset:64 th:TH_LOAD_NT
	flat_load_u16 v23, v[12:13] offset:128 th:TH_LOAD_NT
	;; [unrolled: 1-line block ×15, first 2 shown]
	s_wait_xcnt 0x10
	v_add_nc_u64_e32 v[10:11], 0x400, v[10:11]
	s_wait_xcnt 0x0
	v_add_nc_u64_e32 v[12:13], 0x400, v[12:13]
.LBB12_2582:                            ;   in Loop: Header=BB12_2450 Depth=4
	s_or_b32 exec_lo, exec_lo, s77
	s_trap 2
	ds_load_b32 v0, v0
	s_mov_b32 s77, exec_lo
                                        ; implicit-def: $vgpr47
	s_wait_loadcnt_dscnt 0x1f00
	v_dual_lshlrev_b32 v14, 16, v79 :: v_dual_lshlrev_b32 v15, 16, v0
	s_delay_alu instid0(VALU_DEP_1) | instskip(SKIP_1) | instid1(VALU_DEP_1)
	v_mov_b32_e32 v0, v15
	s_wait_loadcnt 0x1d
	v_pk_mul_f32 v[16:17], v[0:1], v[14:15]
	s_delay_alu instid0(VALU_DEP_1) | instskip(NEXT) | instid1(VALU_DEP_1)
	v_and_b32_e32 v0, 0x7f800000, v16
	v_cmpx_ne_u32_e32 0x7f800000, v0
	s_xor_b32 s77, exec_lo, s77
; %bb.2583:                             ;   in Loop: Header=BB12_2450 Depth=4
	v_bfe_u32 v0, v16, 16, 1
	s_delay_alu instid0(VALU_DEP_1)
	v_add3_u32 v47, v16, v0, 0x7fff
                                        ; implicit-def: $vgpr16_vgpr17
; %bb.2584:                             ;   in Loop: Header=BB12_2450 Depth=4
	s_and_not1_saveexec_b32 s77, s77
; %bb.2585:                             ;   in Loop: Header=BB12_2450 Depth=4
	v_and_b32_e32 v0, 0xffff, v16
	v_or_b32_e32 v6, 0x10000, v16
	s_delay_alu instid0(VALU_DEP_2) | instskip(NEXT) | instid1(VALU_DEP_2)
	v_cmp_eq_u32_e32 vcc_lo, 0, v0
	v_cndmask_b32_e32 v47, v6, v16, vcc_lo
; %bb.2586:                             ;   in Loop: Header=BB12_2450 Depth=4
	s_or_b32 exec_lo, exec_lo, s77
	v_lshlrev_b32_e32 v0, 16, v78
	s_mov_b32 s77, exec_lo
                                        ; implicit-def: $vgpr46
	s_delay_alu instid0(VALU_DEP_1) | instskip(NEXT) | instid1(VALU_DEP_1)
	v_mul_f32_e32 v0, v15, v0
	v_and_b32_e32 v6, 0x7f800000, v0
	s_delay_alu instid0(VALU_DEP_1)
	v_cmpx_ne_u32_e32 0x7f800000, v6
	s_xor_b32 s77, exec_lo, s77
; %bb.2587:                             ;   in Loop: Header=BB12_2450 Depth=4
	v_bfe_u32 v6, v0, 16, 1
	s_delay_alu instid0(VALU_DEP_1)
	v_add3_u32 v46, v0, v6, 0x7fff
                                        ; implicit-def: $vgpr0
; %bb.2588:                             ;   in Loop: Header=BB12_2450 Depth=4
	s_and_not1_saveexec_b32 s77, s77
; %bb.2589:                             ;   in Loop: Header=BB12_2450 Depth=4
	v_and_b32_e32 v6, 0xffff, v0
	v_or_b32_e32 v7, 0x10000, v0
	s_delay_alu instid0(VALU_DEP_2) | instskip(NEXT) | instid1(VALU_DEP_2)
	v_cmp_eq_u32_e32 vcc_lo, 0, v6
	v_cndmask_b32_e32 v46, v7, v0, vcc_lo
; %bb.2590:                             ;   in Loop: Header=BB12_2450 Depth=4
	s_or_b32 exec_lo, exec_lo, s77
	v_lshlrev_b32_e32 v0, 16, v1
	s_mov_b32 s77, exec_lo
                                        ; implicit-def: $vgpr45
	s_delay_alu instid0(VALU_DEP_1) | instskip(NEXT) | instid1(VALU_DEP_1)
	v_mul_f32_e32 v0, v15, v0
	v_and_b32_e32 v1, 0x7f800000, v0
	s_delay_alu instid0(VALU_DEP_1)
	v_cmpx_ne_u32_e32 0x7f800000, v1
	s_xor_b32 s77, exec_lo, s77
; %bb.2591:                             ;   in Loop: Header=BB12_2450 Depth=4
	v_bfe_u32 v1, v0, 16, 1
	s_delay_alu instid0(VALU_DEP_1)
	v_add3_u32 v45, v0, v1, 0x7fff
                                        ; implicit-def: $vgpr0
; %bb.2592:                             ;   in Loop: Header=BB12_2450 Depth=4
	s_and_not1_saveexec_b32 s77, s77
; %bb.2593:                             ;   in Loop: Header=BB12_2450 Depth=4
	v_and_b32_e32 v1, 0xffff, v0
	v_or_b32_e32 v6, 0x10000, v0
	s_delay_alu instid0(VALU_DEP_2) | instskip(NEXT) | instid1(VALU_DEP_2)
	v_cmp_eq_u32_e32 vcc_lo, 0, v1
	v_cndmask_b32_e32 v45, v6, v0, vcc_lo
; %bb.2594:                             ;   in Loop: Header=BB12_2450 Depth=4
	s_or_b32 exec_lo, exec_lo, s77
	s_wait_loadcnt 0x1c
	v_lshlrev_b32_e32 v0, 16, v43
	s_mov_b32 s77, exec_lo
                                        ; implicit-def: $vgpr44
	s_delay_alu instid0(VALU_DEP_1) | instskip(NEXT) | instid1(VALU_DEP_1)
	v_mul_f32_e32 v0, v15, v0
	v_and_b32_e32 v1, 0x7f800000, v0
	s_delay_alu instid0(VALU_DEP_1)
	v_cmpx_ne_u32_e32 0x7f800000, v1
	s_xor_b32 s77, exec_lo, s77
; %bb.2595:                             ;   in Loop: Header=BB12_2450 Depth=4
	v_bfe_u32 v1, v0, 16, 1
	s_delay_alu instid0(VALU_DEP_1)
	v_add3_u32 v44, v0, v1, 0x7fff
                                        ; implicit-def: $vgpr0
; %bb.2596:                             ;   in Loop: Header=BB12_2450 Depth=4
	s_and_not1_saveexec_b32 s77, s77
; %bb.2597:                             ;   in Loop: Header=BB12_2450 Depth=4
	v_and_b32_e32 v1, 0xffff, v0
	v_or_b32_e32 v6, 0x10000, v0
	s_delay_alu instid0(VALU_DEP_2) | instskip(NEXT) | instid1(VALU_DEP_2)
	v_cmp_eq_u32_e32 vcc_lo, 0, v1
	v_cndmask_b32_e32 v44, v6, v0, vcc_lo
; %bb.2598:                             ;   in Loop: Header=BB12_2450 Depth=4
	s_or_b32 exec_lo, exec_lo, s77
	s_wait_loadcnt 0x1b
	v_lshlrev_b32_e32 v0, 16, v42
	s_mov_b32 s77, exec_lo
                                        ; implicit-def: $vgpr43
	s_delay_alu instid0(VALU_DEP_1) | instskip(NEXT) | instid1(VALU_DEP_1)
	v_mul_f32_e32 v0, v15, v0
	v_and_b32_e32 v1, 0x7f800000, v0
	s_delay_alu instid0(VALU_DEP_1)
	v_cmpx_ne_u32_e32 0x7f800000, v1
	s_xor_b32 s77, exec_lo, s77
; %bb.2599:                             ;   in Loop: Header=BB12_2450 Depth=4
	v_bfe_u32 v1, v0, 16, 1
	s_delay_alu instid0(VALU_DEP_1)
	v_add3_u32 v43, v0, v1, 0x7fff
                                        ; implicit-def: $vgpr0
; %bb.2600:                             ;   in Loop: Header=BB12_2450 Depth=4
	s_and_not1_saveexec_b32 s77, s77
; %bb.2601:                             ;   in Loop: Header=BB12_2450 Depth=4
	v_and_b32_e32 v1, 0xffff, v0
	v_or_b32_e32 v6, 0x10000, v0
	s_delay_alu instid0(VALU_DEP_2) | instskip(NEXT) | instid1(VALU_DEP_2)
	v_cmp_eq_u32_e32 vcc_lo, 0, v1
	v_cndmask_b32_e32 v43, v6, v0, vcc_lo
; %bb.2602:                             ;   in Loop: Header=BB12_2450 Depth=4
	s_or_b32 exec_lo, exec_lo, s77
	s_wait_loadcnt 0x1a
	v_lshlrev_b32_e32 v0, 16, v124
	s_mov_b32 s77, exec_lo
                                        ; implicit-def: $vgpr42
	s_delay_alu instid0(VALU_DEP_1) | instskip(NEXT) | instid1(VALU_DEP_1)
	v_mul_f32_e32 v0, v15, v0
	v_and_b32_e32 v1, 0x7f800000, v0
	s_delay_alu instid0(VALU_DEP_1)
	v_cmpx_ne_u32_e32 0x7f800000, v1
	s_xor_b32 s77, exec_lo, s77
; %bb.2603:                             ;   in Loop: Header=BB12_2450 Depth=4
	v_bfe_u32 v1, v0, 16, 1
	s_delay_alu instid0(VALU_DEP_1)
	v_add3_u32 v42, v0, v1, 0x7fff
                                        ; implicit-def: $vgpr0
; %bb.2604:                             ;   in Loop: Header=BB12_2450 Depth=4
	s_and_not1_saveexec_b32 s77, s77
; %bb.2605:                             ;   in Loop: Header=BB12_2450 Depth=4
	v_and_b32_e32 v1, 0xffff, v0
	v_or_b32_e32 v6, 0x10000, v0
	s_delay_alu instid0(VALU_DEP_2) | instskip(NEXT) | instid1(VALU_DEP_2)
	v_cmp_eq_u32_e32 vcc_lo, 0, v1
	v_cndmask_b32_e32 v42, v6, v0, vcc_lo
; %bb.2606:                             ;   in Loop: Header=BB12_2450 Depth=4
	s_or_b32 exec_lo, exec_lo, s77
	s_wait_loadcnt 0x19
	v_lshlrev_b32_e32 v0, 16, v76
	s_mov_b32 s77, exec_lo
                                        ; implicit-def: $vgpr119
	s_delay_alu instid0(VALU_DEP_1) | instskip(NEXT) | instid1(VALU_DEP_1)
	v_mul_f32_e32 v0, v15, v0
	v_and_b32_e32 v1, 0x7f800000, v0
	s_delay_alu instid0(VALU_DEP_1)
	v_cmpx_ne_u32_e32 0x7f800000, v1
	s_xor_b32 s77, exec_lo, s77
; %bb.2607:                             ;   in Loop: Header=BB12_2450 Depth=4
	v_bfe_u32 v1, v0, 16, 1
	s_delay_alu instid0(VALU_DEP_1)
	v_add3_u32 v119, v0, v1, 0x7fff
                                        ; implicit-def: $vgpr0
; %bb.2608:                             ;   in Loop: Header=BB12_2450 Depth=4
	s_and_not1_saveexec_b32 s77, s77
; %bb.2609:                             ;   in Loop: Header=BB12_2450 Depth=4
	v_and_b32_e32 v1, 0xffff, v0
	v_or_b32_e32 v6, 0x10000, v0
	s_delay_alu instid0(VALU_DEP_2) | instskip(NEXT) | instid1(VALU_DEP_2)
	v_cmp_eq_u32_e32 vcc_lo, 0, v1
	v_cndmask_b32_e32 v119, v6, v0, vcc_lo
; %bb.2610:                             ;   in Loop: Header=BB12_2450 Depth=4
	s_or_b32 exec_lo, exec_lo, s77
	s_wait_loadcnt 0x18
	v_lshlrev_b32_e32 v0, 16, v62
	s_mov_b32 s77, exec_lo
                                        ; implicit-def: $vgpr118
	s_delay_alu instid0(VALU_DEP_1) | instskip(NEXT) | instid1(VALU_DEP_1)
	v_mul_f32_e32 v0, v15, v0
	v_and_b32_e32 v1, 0x7f800000, v0
	s_delay_alu instid0(VALU_DEP_1)
	v_cmpx_ne_u32_e32 0x7f800000, v1
	s_xor_b32 s77, exec_lo, s77
; %bb.2611:                             ;   in Loop: Header=BB12_2450 Depth=4
	v_bfe_u32 v1, v0, 16, 1
	s_delay_alu instid0(VALU_DEP_1)
	v_add3_u32 v118, v0, v1, 0x7fff
                                        ; implicit-def: $vgpr0
; %bb.2612:                             ;   in Loop: Header=BB12_2450 Depth=4
	s_and_not1_saveexec_b32 s77, s77
; %bb.2613:                             ;   in Loop: Header=BB12_2450 Depth=4
	v_and_b32_e32 v1, 0xffff, v0
	v_or_b32_e32 v6, 0x10000, v0
	s_delay_alu instid0(VALU_DEP_2) | instskip(NEXT) | instid1(VALU_DEP_2)
	v_cmp_eq_u32_e32 vcc_lo, 0, v1
	v_cndmask_b32_e32 v118, v6, v0, vcc_lo
; %bb.2614:                             ;   in Loop: Header=BB12_2450 Depth=4
	s_or_b32 exec_lo, exec_lo, s77
	s_wait_loadcnt 0x17
	v_lshlrev_b32_e32 v0, 16, v114
	s_mov_b32 s77, exec_lo
                                        ; implicit-def: $vgpr114
	s_delay_alu instid0(VALU_DEP_1) | instskip(NEXT) | instid1(VALU_DEP_1)
	v_mul_f32_e32 v0, v15, v0
	v_and_b32_e32 v1, 0x7f800000, v0
	s_delay_alu instid0(VALU_DEP_1)
	v_cmpx_ne_u32_e32 0x7f800000, v1
	s_xor_b32 s77, exec_lo, s77
; %bb.2615:                             ;   in Loop: Header=BB12_2450 Depth=4
	v_bfe_u32 v1, v0, 16, 1
	s_delay_alu instid0(VALU_DEP_1)
	v_add3_u32 v114, v0, v1, 0x7fff
                                        ; implicit-def: $vgpr0
; %bb.2616:                             ;   in Loop: Header=BB12_2450 Depth=4
	s_and_not1_saveexec_b32 s77, s77
; %bb.2617:                             ;   in Loop: Header=BB12_2450 Depth=4
	v_and_b32_e32 v1, 0xffff, v0
	v_or_b32_e32 v6, 0x10000, v0
	s_delay_alu instid0(VALU_DEP_2) | instskip(NEXT) | instid1(VALU_DEP_2)
	v_cmp_eq_u32_e32 vcc_lo, 0, v1
	v_cndmask_b32_e32 v114, v6, v0, vcc_lo
; %bb.2618:                             ;   in Loop: Header=BB12_2450 Depth=4
	s_or_b32 exec_lo, exec_lo, s77
	s_wait_loadcnt 0x16
	v_lshlrev_b32_e32 v0, 16, v112
	s_mov_b32 s77, exec_lo
                                        ; implicit-def: $vgpr112
	s_delay_alu instid0(VALU_DEP_1) | instskip(NEXT) | instid1(VALU_DEP_1)
	v_mul_f32_e32 v0, v15, v0
	v_and_b32_e32 v1, 0x7f800000, v0
	s_delay_alu instid0(VALU_DEP_1)
	v_cmpx_ne_u32_e32 0x7f800000, v1
	s_xor_b32 s77, exec_lo, s77
; %bb.2619:                             ;   in Loop: Header=BB12_2450 Depth=4
	v_bfe_u32 v1, v0, 16, 1
	s_delay_alu instid0(VALU_DEP_1)
	v_add3_u32 v112, v0, v1, 0x7fff
                                        ; implicit-def: $vgpr0
; %bb.2620:                             ;   in Loop: Header=BB12_2450 Depth=4
	s_and_not1_saveexec_b32 s77, s77
; %bb.2621:                             ;   in Loop: Header=BB12_2450 Depth=4
	v_and_b32_e32 v1, 0xffff, v0
	v_or_b32_e32 v6, 0x10000, v0
	s_delay_alu instid0(VALU_DEP_2) | instskip(NEXT) | instid1(VALU_DEP_2)
	v_cmp_eq_u32_e32 vcc_lo, 0, v1
	v_cndmask_b32_e32 v112, v6, v0, vcc_lo
; %bb.2622:                             ;   in Loop: Header=BB12_2450 Depth=4
	s_or_b32 exec_lo, exec_lo, s77
	s_wait_loadcnt 0x15
	v_lshlrev_b32_e32 v0, 16, v102
	s_mov_b32 s77, exec_lo
                                        ; implicit-def: $vgpr17
	s_delay_alu instid0(VALU_DEP_1) | instskip(NEXT) | instid1(VALU_DEP_1)
	v_mul_f32_e32 v0, v15, v0
	v_and_b32_e32 v1, 0x7f800000, v0
	s_delay_alu instid0(VALU_DEP_1)
	v_cmpx_ne_u32_e32 0x7f800000, v1
	s_xor_b32 s77, exec_lo, s77
; %bb.2623:                             ;   in Loop: Header=BB12_2450 Depth=4
	v_bfe_u32 v1, v0, 16, 1
	s_delay_alu instid0(VALU_DEP_1)
	v_add3_u32 v17, v0, v1, 0x7fff
                                        ; implicit-def: $vgpr0
; %bb.2624:                             ;   in Loop: Header=BB12_2450 Depth=4
	s_and_not1_saveexec_b32 s77, s77
; %bb.2625:                             ;   in Loop: Header=BB12_2450 Depth=4
	v_and_b32_e32 v1, 0xffff, v0
	v_or_b32_e32 v6, 0x10000, v0
	s_delay_alu instid0(VALU_DEP_2) | instskip(NEXT) | instid1(VALU_DEP_2)
	v_cmp_eq_u32_e32 vcc_lo, 0, v1
	v_cndmask_b32_e32 v17, v6, v0, vcc_lo
; %bb.2626:                             ;   in Loop: Header=BB12_2450 Depth=4
	s_or_b32 exec_lo, exec_lo, s77
	s_wait_loadcnt 0x14
	v_lshlrev_b32_e32 v0, 16, v100
	s_mov_b32 s77, exec_lo
                                        ; implicit-def: $vgpr16
	s_delay_alu instid0(VALU_DEP_1) | instskip(NEXT) | instid1(VALU_DEP_1)
	v_mul_f32_e32 v0, v15, v0
	v_and_b32_e32 v1, 0x7f800000, v0
	s_delay_alu instid0(VALU_DEP_1)
	v_cmpx_ne_u32_e32 0x7f800000, v1
	s_xor_b32 s77, exec_lo, s77
; %bb.2627:                             ;   in Loop: Header=BB12_2450 Depth=4
	v_bfe_u32 v1, v0, 16, 1
	s_delay_alu instid0(VALU_DEP_1)
	v_add3_u32 v16, v0, v1, 0x7fff
                                        ; implicit-def: $vgpr0
; %bb.2628:                             ;   in Loop: Header=BB12_2450 Depth=4
	s_and_not1_saveexec_b32 s77, s77
; %bb.2629:                             ;   in Loop: Header=BB12_2450 Depth=4
	v_and_b32_e32 v1, 0xffff, v0
	v_or_b32_e32 v6, 0x10000, v0
	s_delay_alu instid0(VALU_DEP_2) | instskip(NEXT) | instid1(VALU_DEP_2)
	v_cmp_eq_u32_e32 vcc_lo, 0, v1
	v_cndmask_b32_e32 v16, v6, v0, vcc_lo
; %bb.2630:                             ;   in Loop: Header=BB12_2450 Depth=4
	s_or_b32 exec_lo, exec_lo, s77
	s_wait_loadcnt 0x13
	v_lshlrev_b32_e32 v0, 16, v98
	s_mov_b32 s77, exec_lo
                                        ; implicit-def: $vgpr14
	s_delay_alu instid0(VALU_DEP_1) | instskip(NEXT) | instid1(VALU_DEP_1)
	v_mul_f32_e32 v0, v15, v0
	v_and_b32_e32 v1, 0x7f800000, v0
	s_delay_alu instid0(VALU_DEP_1)
	v_cmpx_ne_u32_e32 0x7f800000, v1
	s_xor_b32 s77, exec_lo, s77
; %bb.2631:                             ;   in Loop: Header=BB12_2450 Depth=4
	v_bfe_u32 v1, v0, 16, 1
	s_delay_alu instid0(VALU_DEP_1)
	v_add3_u32 v14, v0, v1, 0x7fff
                                        ; implicit-def: $vgpr0
; %bb.2632:                             ;   in Loop: Header=BB12_2450 Depth=4
	s_and_not1_saveexec_b32 s77, s77
; %bb.2633:                             ;   in Loop: Header=BB12_2450 Depth=4
	v_and_b32_e32 v1, 0xffff, v0
	v_or_b32_e32 v6, 0x10000, v0
	s_delay_alu instid0(VALU_DEP_2) | instskip(NEXT) | instid1(VALU_DEP_2)
	v_cmp_eq_u32_e32 vcc_lo, 0, v1
	v_cndmask_b32_e32 v14, v6, v0, vcc_lo
; %bb.2634:                             ;   in Loop: Header=BB12_2450 Depth=4
	s_or_b32 exec_lo, exec_lo, s77
	s_wait_loadcnt 0x12
	v_lshlrev_b32_e32 v0, 16, v96
	s_mov_b32 s77, exec_lo
                                        ; implicit-def: $vgpr7
	s_delay_alu instid0(VALU_DEP_1) | instskip(NEXT) | instid1(VALU_DEP_1)
	v_mul_f32_e32 v0, v15, v0
	v_and_b32_e32 v1, 0x7f800000, v0
	s_delay_alu instid0(VALU_DEP_1)
	v_cmpx_ne_u32_e32 0x7f800000, v1
	s_xor_b32 s77, exec_lo, s77
; %bb.2635:                             ;   in Loop: Header=BB12_2450 Depth=4
	v_bfe_u32 v1, v0, 16, 1
	s_delay_alu instid0(VALU_DEP_1)
	v_add3_u32 v7, v0, v1, 0x7fff
                                        ; implicit-def: $vgpr0
; %bb.2636:                             ;   in Loop: Header=BB12_2450 Depth=4
	s_and_not1_saveexec_b32 s77, s77
; %bb.2637:                             ;   in Loop: Header=BB12_2450 Depth=4
	v_and_b32_e32 v1, 0xffff, v0
	v_or_b32_e32 v6, 0x10000, v0
	s_delay_alu instid0(VALU_DEP_2) | instskip(NEXT) | instid1(VALU_DEP_2)
	v_cmp_eq_u32_e32 vcc_lo, 0, v1
	v_cndmask_b32_e32 v7, v6, v0, vcc_lo
; %bb.2638:                             ;   in Loop: Header=BB12_2450 Depth=4
	s_or_b32 exec_lo, exec_lo, s77
	s_wait_loadcnt 0x11
	v_lshlrev_b32_e32 v0, 16, v86
	s_mov_b32 s77, exec_lo
                                        ; implicit-def: $vgpr6
	s_delay_alu instid0(VALU_DEP_1) | instskip(NEXT) | instid1(VALU_DEP_1)
	v_mul_f32_e32 v0, v15, v0
	v_and_b32_e32 v1, 0x7f800000, v0
	s_delay_alu instid0(VALU_DEP_1)
	v_cmpx_ne_u32_e32 0x7f800000, v1
	s_xor_b32 s77, exec_lo, s77
; %bb.2639:                             ;   in Loop: Header=BB12_2450 Depth=4
	v_bfe_u32 v1, v0, 16, 1
	s_delay_alu instid0(VALU_DEP_1)
	v_add3_u32 v6, v0, v1, 0x7fff
                                        ; implicit-def: $vgpr0
; %bb.2640:                             ;   in Loop: Header=BB12_2450 Depth=4
	s_and_not1_saveexec_b32 s77, s77
; %bb.2641:                             ;   in Loop: Header=BB12_2450 Depth=4
	v_and_b32_e32 v1, 0xffff, v0
	v_or_b32_e32 v6, 0x10000, v0
	s_delay_alu instid0(VALU_DEP_2) | instskip(NEXT) | instid1(VALU_DEP_2)
	v_cmp_eq_u32_e32 vcc_lo, 0, v1
	v_cndmask_b32_e32 v6, v6, v0, vcc_lo
; %bb.2642:                             ;   in Loop: Header=BB12_2450 Depth=4
	s_or_b32 exec_lo, exec_lo, s77
	s_wait_loadcnt 0x10
	v_lshlrev_b32_e32 v0, 16, v84
	s_delay_alu instid0(VALU_DEP_1) | instskip(NEXT) | instid1(VALU_DEP_1)
	v_mul_f32_e32 v1, v15, v0
	v_and_b32_e32 v0, 0x7f800000, v1
	s_delay_alu instid0(VALU_DEP_1) | instskip(SKIP_1) | instid1(SALU_CYCLE_1)
	v_cmp_ne_u32_e32 vcc_lo, 0x7f800000, v0
                                        ; implicit-def: $vgpr0
	s_and_saveexec_b32 s77, vcc_lo
	s_xor_b32 s77, exec_lo, s77
; %bb.2643:                             ;   in Loop: Header=BB12_2450 Depth=4
	v_bfe_u32 v0, v1, 16, 1
	s_delay_alu instid0(VALU_DEP_1)
	v_add3_u32 v0, v1, v0, 0x7fff
                                        ; implicit-def: $vgpr1
; %bb.2644:                             ;   in Loop: Header=BB12_2450 Depth=4
	s_and_not1_saveexec_b32 s77, s77
; %bb.2645:                             ;   in Loop: Header=BB12_2450 Depth=4
	v_and_b32_e32 v0, 0xffff, v1
	v_or_b32_e32 v15, 0x10000, v1
	s_delay_alu instid0(VALU_DEP_2) | instskip(NEXT) | instid1(VALU_DEP_2)
	v_cmp_eq_u32_e32 vcc_lo, 0, v0
	v_cndmask_b32_e32 v0, v15, v1, vcc_lo
; %bb.2646:                             ;   in Loop: Header=BB12_2450 Depth=4
	s_or_b32 exec_lo, exec_lo, s77
	v_and_b32_e32 v1, 0xffff0000, v47
	s_wait_loadcnt 0xf
	v_lshlrev_b32_e32 v15, 16, v82
	s_delay_alu instid0(VALU_DEP_1) | instskip(NEXT) | instid1(VALU_DEP_1)
	v_add_f32_e32 v15, v15, v1
	v_and_b32_e32 v1, 0x7f800000, v15
	s_delay_alu instid0(VALU_DEP_1) | instskip(SKIP_1) | instid1(SALU_CYCLE_1)
	v_cmp_ne_u32_e32 vcc_lo, 0x7f800000, v1
                                        ; implicit-def: $vgpr1
	s_and_saveexec_b32 s77, vcc_lo
	s_xor_b32 s77, exec_lo, s77
; %bb.2647:                             ;   in Loop: Header=BB12_2450 Depth=4
	v_bfe_u32 v1, v15, 16, 1
	s_delay_alu instid0(VALU_DEP_1)
	v_add3_u32 v1, v15, v1, 0x7fff
                                        ; implicit-def: $vgpr15
; %bb.2648:                             ;   in Loop: Header=BB12_2450 Depth=4
	s_and_not1_saveexec_b32 s77, s77
; %bb.2649:                             ;   in Loop: Header=BB12_2450 Depth=4
	v_and_b32_e32 v1, 0xffff, v15
	v_or_b32_e32 v82, 0x10000, v15
	s_delay_alu instid0(VALU_DEP_2) | instskip(NEXT) | instid1(VALU_DEP_2)
	v_cmp_eq_u32_e32 vcc_lo, 0, v1
	v_cndmask_b32_e32 v1, v82, v15, vcc_lo
; %bb.2650:                             ;   in Loop: Header=BB12_2450 Depth=4
	s_or_b32 exec_lo, exec_lo, s77
	v_and_b32_e32 v15, 0xffff0000, v46
	s_wait_loadcnt 0xe
	v_lshlrev_b32_e32 v80, 16, v80
	s_delay_alu instid0(VALU_DEP_1) | instskip(NEXT) | instid1(VALU_DEP_1)
	v_add_f32_e32 v80, v80, v15
	v_and_b32_e32 v15, 0x7f800000, v80
	s_delay_alu instid0(VALU_DEP_1) | instskip(SKIP_1) | instid1(SALU_CYCLE_1)
	v_cmp_ne_u32_e32 vcc_lo, 0x7f800000, v15
                                        ; implicit-def: $vgpr15
	s_and_saveexec_b32 s77, vcc_lo
	s_xor_b32 s77, exec_lo, s77
; %bb.2651:                             ;   in Loop: Header=BB12_2450 Depth=4
	v_bfe_u32 v15, v80, 16, 1
	s_delay_alu instid0(VALU_DEP_1)
	v_add3_u32 v15, v80, v15, 0x7fff
                                        ; implicit-def: $vgpr80
; %bb.2652:                             ;   in Loop: Header=BB12_2450 Depth=4
	s_and_not1_saveexec_b32 s77, s77
; %bb.2653:                             ;   in Loop: Header=BB12_2450 Depth=4
	v_and_b32_e32 v15, 0xffff, v80
	v_or_b32_e32 v82, 0x10000, v80
	s_delay_alu instid0(VALU_DEP_2) | instskip(NEXT) | instid1(VALU_DEP_2)
	v_cmp_eq_u32_e32 vcc_lo, 0, v15
	v_cndmask_b32_e32 v15, v82, v80, vcc_lo
; %bb.2654:                             ;   in Loop: Header=BB12_2450 Depth=4
	s_or_b32 exec_lo, exec_lo, s77
	v_and_b32_e32 v80, 0xffff0000, v45
	s_wait_loadcnt 0xd
	v_lshlrev_b32_e32 v70, 16, v70
	s_delay_alu instid0(VALU_DEP_1) | instskip(NEXT) | instid1(VALU_DEP_1)
	v_add_f32_e32 v80, v70, v80
	v_and_b32_e32 v70, 0x7f800000, v80
	s_delay_alu instid0(VALU_DEP_1) | instskip(SKIP_1) | instid1(SALU_CYCLE_1)
	v_cmp_ne_u32_e32 vcc_lo, 0x7f800000, v70
                                        ; implicit-def: $vgpr70
	s_and_saveexec_b32 s77, vcc_lo
	s_xor_b32 s77, exec_lo, s77
; %bb.2655:                             ;   in Loop: Header=BB12_2450 Depth=4
	v_bfe_u32 v70, v80, 16, 1
	s_delay_alu instid0(VALU_DEP_1)
	v_add3_u32 v70, v80, v70, 0x7fff
                                        ; implicit-def: $vgpr80
; %bb.2656:                             ;   in Loop: Header=BB12_2450 Depth=4
	s_and_not1_saveexec_b32 s77, s77
; %bb.2657:                             ;   in Loop: Header=BB12_2450 Depth=4
	v_and_b32_e32 v70, 0xffff, v80
	v_or_b32_e32 v82, 0x10000, v80
	s_delay_alu instid0(VALU_DEP_2) | instskip(NEXT) | instid1(VALU_DEP_2)
	v_cmp_eq_u32_e32 vcc_lo, 0, v70
	v_cndmask_b32_e32 v70, v82, v80, vcc_lo
; %bb.2658:                             ;   in Loop: Header=BB12_2450 Depth=4
	s_or_b32 exec_lo, exec_lo, s77
	v_and_b32_e32 v80, 0xffff0000, v44
	s_wait_loadcnt 0xc
	v_lshlrev_b32_e32 v67, 16, v67
	s_delay_alu instid0(VALU_DEP_1) | instskip(NEXT) | instid1(VALU_DEP_1)
	v_add_f32_e32 v80, v67, v80
	v_and_b32_e32 v67, 0x7f800000, v80
	s_delay_alu instid0(VALU_DEP_1) | instskip(SKIP_1) | instid1(SALU_CYCLE_1)
	v_cmp_ne_u32_e32 vcc_lo, 0x7f800000, v67
                                        ; implicit-def: $vgpr67
	s_and_saveexec_b32 s77, vcc_lo
	s_xor_b32 s77, exec_lo, s77
; %bb.2659:                             ;   in Loop: Header=BB12_2450 Depth=4
	v_bfe_u32 v67, v80, 16, 1
	s_delay_alu instid0(VALU_DEP_1)
	v_add3_u32 v67, v80, v67, 0x7fff
                                        ; implicit-def: $vgpr80
; %bb.2660:                             ;   in Loop: Header=BB12_2450 Depth=4
	s_and_not1_saveexec_b32 s77, s77
; %bb.2661:                             ;   in Loop: Header=BB12_2450 Depth=4
	v_and_b32_e32 v67, 0xffff, v80
	v_or_b32_e32 v82, 0x10000, v80
	s_delay_alu instid0(VALU_DEP_2) | instskip(NEXT) | instid1(VALU_DEP_2)
	v_cmp_eq_u32_e32 vcc_lo, 0, v67
	v_cndmask_b32_e32 v67, v82, v80, vcc_lo
; %bb.2662:                             ;   in Loop: Header=BB12_2450 Depth=4
	s_or_b32 exec_lo, exec_lo, s77
	v_and_b32_e32 v80, 0xffff0000, v43
	s_wait_loadcnt 0xb
	v_lshlrev_b32_e32 v66, 16, v66
	s_delay_alu instid0(VALU_DEP_1) | instskip(NEXT) | instid1(VALU_DEP_1)
	v_add_f32_e32 v80, v66, v80
	v_and_b32_e32 v66, 0x7f800000, v80
	s_delay_alu instid0(VALU_DEP_1) | instskip(SKIP_1) | instid1(SALU_CYCLE_1)
	v_cmp_ne_u32_e32 vcc_lo, 0x7f800000, v66
                                        ; implicit-def: $vgpr66
	s_and_saveexec_b32 s77, vcc_lo
	s_xor_b32 s77, exec_lo, s77
; %bb.2663:                             ;   in Loop: Header=BB12_2450 Depth=4
	v_bfe_u32 v66, v80, 16, 1
	s_delay_alu instid0(VALU_DEP_1)
	v_add3_u32 v66, v80, v66, 0x7fff
                                        ; implicit-def: $vgpr80
; %bb.2664:                             ;   in Loop: Header=BB12_2450 Depth=4
	s_and_not1_saveexec_b32 s77, s77
; %bb.2665:                             ;   in Loop: Header=BB12_2450 Depth=4
	v_and_b32_e32 v66, 0xffff, v80
	v_or_b32_e32 v82, 0x10000, v80
	s_delay_alu instid0(VALU_DEP_2) | instskip(NEXT) | instid1(VALU_DEP_2)
	v_cmp_eq_u32_e32 vcc_lo, 0, v66
	v_cndmask_b32_e32 v66, v82, v80, vcc_lo
; %bb.2666:                             ;   in Loop: Header=BB12_2450 Depth=4
	s_or_b32 exec_lo, exec_lo, s77
	v_and_b32_e32 v80, 0xffff0000, v42
	s_wait_loadcnt 0xa
	v_lshlrev_b32_e32 v65, 16, v65
	s_delay_alu instid0(VALU_DEP_1) | instskip(NEXT) | instid1(VALU_DEP_1)
	v_add_f32_e32 v80, v65, v80
	v_and_b32_e32 v65, 0x7f800000, v80
	s_delay_alu instid0(VALU_DEP_1) | instskip(SKIP_1) | instid1(SALU_CYCLE_1)
	v_cmp_ne_u32_e32 vcc_lo, 0x7f800000, v65
                                        ; implicit-def: $vgpr65
	s_and_saveexec_b32 s77, vcc_lo
	s_xor_b32 s77, exec_lo, s77
; %bb.2667:                             ;   in Loop: Header=BB12_2450 Depth=4
	v_bfe_u32 v65, v80, 16, 1
	s_delay_alu instid0(VALU_DEP_1)
	v_add3_u32 v65, v80, v65, 0x7fff
                                        ; implicit-def: $vgpr80
; %bb.2668:                             ;   in Loop: Header=BB12_2450 Depth=4
	s_and_not1_saveexec_b32 s77, s77
; %bb.2669:                             ;   in Loop: Header=BB12_2450 Depth=4
	v_and_b32_e32 v65, 0xffff, v80
	v_or_b32_e32 v82, 0x10000, v80
	s_delay_alu instid0(VALU_DEP_2) | instskip(NEXT) | instid1(VALU_DEP_2)
	v_cmp_eq_u32_e32 vcc_lo, 0, v65
	v_cndmask_b32_e32 v65, v82, v80, vcc_lo
; %bb.2670:                             ;   in Loop: Header=BB12_2450 Depth=4
	s_or_b32 exec_lo, exec_lo, s77
	v_and_b32_e32 v80, 0xffff0000, v119
	s_wait_loadcnt 0x9
	v_lshlrev_b32_e32 v64, 16, v64
	s_delay_alu instid0(VALU_DEP_1) | instskip(NEXT) | instid1(VALU_DEP_1)
	v_add_f32_e32 v80, v64, v80
	v_and_b32_e32 v64, 0x7f800000, v80
	s_delay_alu instid0(VALU_DEP_1) | instskip(SKIP_1) | instid1(SALU_CYCLE_1)
	v_cmp_ne_u32_e32 vcc_lo, 0x7f800000, v64
                                        ; implicit-def: $vgpr64
	s_and_saveexec_b32 s77, vcc_lo
	s_xor_b32 s77, exec_lo, s77
; %bb.2671:                             ;   in Loop: Header=BB12_2450 Depth=4
	v_bfe_u32 v64, v80, 16, 1
	s_delay_alu instid0(VALU_DEP_1)
	v_add3_u32 v64, v80, v64, 0x7fff
                                        ; implicit-def: $vgpr80
; %bb.2672:                             ;   in Loop: Header=BB12_2450 Depth=4
	s_and_not1_saveexec_b32 s77, s77
; %bb.2673:                             ;   in Loop: Header=BB12_2450 Depth=4
	v_and_b32_e32 v64, 0xffff, v80
	v_or_b32_e32 v82, 0x10000, v80
	s_delay_alu instid0(VALU_DEP_2) | instskip(NEXT) | instid1(VALU_DEP_2)
	v_cmp_eq_u32_e32 vcc_lo, 0, v64
	v_cndmask_b32_e32 v64, v82, v80, vcc_lo
; %bb.2674:                             ;   in Loop: Header=BB12_2450 Depth=4
	s_or_b32 exec_lo, exec_lo, s77
	v_and_b32_e32 v80, 0xffff0000, v118
	s_wait_loadcnt 0x8
	v_lshlrev_b32_e32 v55, 16, v55
	s_delay_alu instid0(VALU_DEP_1) | instskip(NEXT) | instid1(VALU_DEP_1)
	v_add_f32_e32 v80, v55, v80
	v_and_b32_e32 v55, 0x7f800000, v80
	s_delay_alu instid0(VALU_DEP_1) | instskip(SKIP_1) | instid1(SALU_CYCLE_1)
	v_cmp_ne_u32_e32 vcc_lo, 0x7f800000, v55
                                        ; implicit-def: $vgpr55
	s_and_saveexec_b32 s77, vcc_lo
	s_xor_b32 s77, exec_lo, s77
; %bb.2675:                             ;   in Loop: Header=BB12_2450 Depth=4
	v_bfe_u32 v55, v80, 16, 1
	s_delay_alu instid0(VALU_DEP_1)
	v_add3_u32 v55, v80, v55, 0x7fff
                                        ; implicit-def: $vgpr80
; %bb.2676:                             ;   in Loop: Header=BB12_2450 Depth=4
	s_and_not1_saveexec_b32 s77, s77
; %bb.2677:                             ;   in Loop: Header=BB12_2450 Depth=4
	v_and_b32_e32 v55, 0xffff, v80
	v_or_b32_e32 v82, 0x10000, v80
	s_delay_alu instid0(VALU_DEP_2) | instskip(NEXT) | instid1(VALU_DEP_2)
	v_cmp_eq_u32_e32 vcc_lo, 0, v55
	v_cndmask_b32_e32 v55, v82, v80, vcc_lo
; %bb.2678:                             ;   in Loop: Header=BB12_2450 Depth=4
	s_or_b32 exec_lo, exec_lo, s77
	v_and_b32_e32 v80, 0xffff0000, v114
	s_wait_loadcnt 0x7
	v_lshlrev_b32_e32 v54, 16, v54
	s_delay_alu instid0(VALU_DEP_1) | instskip(NEXT) | instid1(VALU_DEP_1)
	v_add_f32_e32 v80, v54, v80
	v_and_b32_e32 v54, 0x7f800000, v80
	s_delay_alu instid0(VALU_DEP_1) | instskip(SKIP_1) | instid1(SALU_CYCLE_1)
	v_cmp_ne_u32_e32 vcc_lo, 0x7f800000, v54
                                        ; implicit-def: $vgpr54
	s_and_saveexec_b32 s77, vcc_lo
	s_xor_b32 s77, exec_lo, s77
; %bb.2679:                             ;   in Loop: Header=BB12_2450 Depth=4
	v_bfe_u32 v54, v80, 16, 1
	s_delay_alu instid0(VALU_DEP_1)
	v_add3_u32 v54, v80, v54, 0x7fff
                                        ; implicit-def: $vgpr80
; %bb.2680:                             ;   in Loop: Header=BB12_2450 Depth=4
	s_and_not1_saveexec_b32 s77, s77
; %bb.2681:                             ;   in Loop: Header=BB12_2450 Depth=4
	v_and_b32_e32 v54, 0xffff, v80
	v_or_b32_e32 v82, 0x10000, v80
	s_delay_alu instid0(VALU_DEP_2) | instskip(NEXT) | instid1(VALU_DEP_2)
	v_cmp_eq_u32_e32 vcc_lo, 0, v54
	v_cndmask_b32_e32 v54, v82, v80, vcc_lo
; %bb.2682:                             ;   in Loop: Header=BB12_2450 Depth=4
	s_or_b32 exec_lo, exec_lo, s77
	v_and_b32_e32 v80, 0xffff0000, v112
	s_wait_loadcnt 0x6
	v_lshlrev_b32_e32 v53, 16, v53
	s_delay_alu instid0(VALU_DEP_1) | instskip(NEXT) | instid1(VALU_DEP_1)
	v_add_f32_e32 v80, v53, v80
	v_and_b32_e32 v53, 0x7f800000, v80
	s_delay_alu instid0(VALU_DEP_1) | instskip(SKIP_1) | instid1(SALU_CYCLE_1)
	v_cmp_ne_u32_e32 vcc_lo, 0x7f800000, v53
                                        ; implicit-def: $vgpr53
	s_and_saveexec_b32 s77, vcc_lo
	s_xor_b32 s77, exec_lo, s77
; %bb.2683:                             ;   in Loop: Header=BB12_2450 Depth=4
	v_bfe_u32 v53, v80, 16, 1
	s_delay_alu instid0(VALU_DEP_1)
	v_add3_u32 v53, v80, v53, 0x7fff
                                        ; implicit-def: $vgpr80
; %bb.2684:                             ;   in Loop: Header=BB12_2450 Depth=4
	s_and_not1_saveexec_b32 s77, s77
; %bb.2685:                             ;   in Loop: Header=BB12_2450 Depth=4
	v_and_b32_e32 v53, 0xffff, v80
	v_or_b32_e32 v82, 0x10000, v80
	s_delay_alu instid0(VALU_DEP_2) | instskip(NEXT) | instid1(VALU_DEP_2)
	v_cmp_eq_u32_e32 vcc_lo, 0, v53
	v_cndmask_b32_e32 v53, v82, v80, vcc_lo
; %bb.2686:                             ;   in Loop: Header=BB12_2450 Depth=4
	s_or_b32 exec_lo, exec_lo, s77
	v_and_b32_e32 v17, 0xffff0000, v17
	s_wait_loadcnt 0x5
	v_lshlrev_b32_e32 v52, 16, v52
	s_delay_alu instid0(VALU_DEP_1) | instskip(NEXT) | instid1(VALU_DEP_1)
	v_add_f32_e32 v52, v52, v17
	v_and_b32_e32 v17, 0x7f800000, v52
	s_delay_alu instid0(VALU_DEP_1) | instskip(SKIP_1) | instid1(SALU_CYCLE_1)
	v_cmp_ne_u32_e32 vcc_lo, 0x7f800000, v17
                                        ; implicit-def: $vgpr17
	s_and_saveexec_b32 s77, vcc_lo
	s_xor_b32 s77, exec_lo, s77
; %bb.2687:                             ;   in Loop: Header=BB12_2450 Depth=4
	v_bfe_u32 v17, v52, 16, 1
	s_delay_alu instid0(VALU_DEP_1)
	v_add3_u32 v17, v52, v17, 0x7fff
                                        ; implicit-def: $vgpr52
; %bb.2688:                             ;   in Loop: Header=BB12_2450 Depth=4
	s_and_not1_saveexec_b32 s77, s77
; %bb.2689:                             ;   in Loop: Header=BB12_2450 Depth=4
	v_and_b32_e32 v17, 0xffff, v52
	v_or_b32_e32 v80, 0x10000, v52
	s_delay_alu instid0(VALU_DEP_2) | instskip(NEXT) | instid1(VALU_DEP_2)
	v_cmp_eq_u32_e32 vcc_lo, 0, v17
	v_cndmask_b32_e32 v17, v80, v52, vcc_lo
; %bb.2690:                             ;   in Loop: Header=BB12_2450 Depth=4
	s_or_b32 exec_lo, exec_lo, s77
	v_and_b32_e32 v16, 0xffff0000, v16
	s_wait_loadcnt 0x4
	v_lshlrev_b32_e32 v51, 16, v51
	s_delay_alu instid0(VALU_DEP_1) | instskip(NEXT) | instid1(VALU_DEP_1)
	v_add_f32_e32 v51, v51, v16
	v_and_b32_e32 v16, 0x7f800000, v51
	s_delay_alu instid0(VALU_DEP_1) | instskip(SKIP_1) | instid1(SALU_CYCLE_1)
	v_cmp_ne_u32_e32 vcc_lo, 0x7f800000, v16
                                        ; implicit-def: $vgpr16
	s_and_saveexec_b32 s77, vcc_lo
	s_xor_b32 s77, exec_lo, s77
; %bb.2691:                             ;   in Loop: Header=BB12_2450 Depth=4
	v_bfe_u32 v16, v51, 16, 1
	s_delay_alu instid0(VALU_DEP_1)
	v_add3_u32 v16, v51, v16, 0x7fff
                                        ; implicit-def: $vgpr51
; %bb.2692:                             ;   in Loop: Header=BB12_2450 Depth=4
	s_and_not1_saveexec_b32 s77, s77
; %bb.2693:                             ;   in Loop: Header=BB12_2450 Depth=4
	v_and_b32_e32 v16, 0xffff, v51
	v_or_b32_e32 v52, 0x10000, v51
	s_delay_alu instid0(VALU_DEP_2) | instskip(NEXT) | instid1(VALU_DEP_2)
	v_cmp_eq_u32_e32 vcc_lo, 0, v16
	v_cndmask_b32_e32 v16, v52, v51, vcc_lo
; %bb.2694:                             ;   in Loop: Header=BB12_2450 Depth=4
	s_or_b32 exec_lo, exec_lo, s77
	v_and_b32_e32 v14, 0xffff0000, v14
	s_wait_loadcnt 0x3
	v_lshlrev_b32_e32 v50, 16, v50
	s_delay_alu instid0(VALU_DEP_1) | instskip(NEXT) | instid1(VALU_DEP_1)
	v_add_f32_e32 v50, v50, v14
	v_and_b32_e32 v14, 0x7f800000, v50
	s_delay_alu instid0(VALU_DEP_1) | instskip(SKIP_1) | instid1(SALU_CYCLE_1)
	v_cmp_ne_u32_e32 vcc_lo, 0x7f800000, v14
                                        ; implicit-def: $vgpr14
	s_and_saveexec_b32 s77, vcc_lo
	s_xor_b32 s77, exec_lo, s77
; %bb.2695:                             ;   in Loop: Header=BB12_2450 Depth=4
	v_bfe_u32 v14, v50, 16, 1
	s_delay_alu instid0(VALU_DEP_1)
	v_add3_u32 v14, v50, v14, 0x7fff
                                        ; implicit-def: $vgpr50
; %bb.2696:                             ;   in Loop: Header=BB12_2450 Depth=4
	s_and_not1_saveexec_b32 s77, s77
; %bb.2697:                             ;   in Loop: Header=BB12_2450 Depth=4
	v_and_b32_e32 v14, 0xffff, v50
	v_or_b32_e32 v51, 0x10000, v50
	s_delay_alu instid0(VALU_DEP_2) | instskip(NEXT) | instid1(VALU_DEP_2)
	v_cmp_eq_u32_e32 vcc_lo, 0, v14
	v_cndmask_b32_e32 v14, v51, v50, vcc_lo
; %bb.2698:                             ;   in Loop: Header=BB12_2450 Depth=4
	s_or_b32 exec_lo, exec_lo, s77
	v_and_b32_e32 v7, 0xffff0000, v7
	s_wait_loadcnt 0x2
	v_lshlrev_b32_e32 v49, 16, v49
	s_delay_alu instid0(VALU_DEP_1) | instskip(NEXT) | instid1(VALU_DEP_1)
	v_add_f32_e32 v49, v49, v7
	v_and_b32_e32 v7, 0x7f800000, v49
	s_delay_alu instid0(VALU_DEP_1) | instskip(SKIP_1) | instid1(SALU_CYCLE_1)
	v_cmp_ne_u32_e32 vcc_lo, 0x7f800000, v7
                                        ; implicit-def: $vgpr7
	s_and_saveexec_b32 s77, vcc_lo
	s_xor_b32 s77, exec_lo, s77
; %bb.2699:                             ;   in Loop: Header=BB12_2450 Depth=4
	v_bfe_u32 v7, v49, 16, 1
	s_delay_alu instid0(VALU_DEP_1)
	v_add3_u32 v7, v49, v7, 0x7fff
                                        ; implicit-def: $vgpr49
; %bb.2700:                             ;   in Loop: Header=BB12_2450 Depth=4
	s_and_not1_saveexec_b32 s77, s77
; %bb.2701:                             ;   in Loop: Header=BB12_2450 Depth=4
	v_and_b32_e32 v7, 0xffff, v49
	v_or_b32_e32 v50, 0x10000, v49
	s_delay_alu instid0(VALU_DEP_2) | instskip(NEXT) | instid1(VALU_DEP_2)
	v_cmp_eq_u32_e32 vcc_lo, 0, v7
	v_cndmask_b32_e32 v7, v50, v49, vcc_lo
; %bb.2702:                             ;   in Loop: Header=BB12_2450 Depth=4
	s_or_b32 exec_lo, exec_lo, s77
	v_and_b32_e32 v6, 0xffff0000, v6
	s_wait_loadcnt 0x1
	v_lshlrev_b32_e32 v48, 16, v48
	s_delay_alu instid0(VALU_DEP_1) | instskip(NEXT) | instid1(VALU_DEP_1)
	v_add_f32_e32 v48, v48, v6
	v_and_b32_e32 v6, 0x7f800000, v48
	s_delay_alu instid0(VALU_DEP_1) | instskip(SKIP_1) | instid1(SALU_CYCLE_1)
	v_cmp_ne_u32_e32 vcc_lo, 0x7f800000, v6
                                        ; implicit-def: $vgpr6
	s_and_saveexec_b32 s77, vcc_lo
	s_xor_b32 s77, exec_lo, s77
; %bb.2703:                             ;   in Loop: Header=BB12_2450 Depth=4
	v_bfe_u32 v6, v48, 16, 1
	s_delay_alu instid0(VALU_DEP_1)
	v_add3_u32 v6, v48, v6, 0x7fff
                                        ; implicit-def: $vgpr48
; %bb.2704:                             ;   in Loop: Header=BB12_2450 Depth=4
	s_and_not1_saveexec_b32 s77, s77
; %bb.2705:                             ;   in Loop: Header=BB12_2450 Depth=4
	v_and_b32_e32 v6, 0xffff, v48
	v_or_b32_e32 v49, 0x10000, v48
	s_delay_alu instid0(VALU_DEP_2) | instskip(NEXT) | instid1(VALU_DEP_2)
	v_cmp_eq_u32_e32 vcc_lo, 0, v6
	v_cndmask_b32_e32 v6, v49, v48, vcc_lo
; %bb.2706:                             ;   in Loop: Header=BB12_2450 Depth=4
	s_or_b32 exec_lo, exec_lo, s77
	v_and_b32_e32 v0, 0xffff0000, v0
	s_wait_loadcnt 0x0
	v_lshlrev_b32_e32 v39, 16, v39
	s_delay_alu instid0(VALU_DEP_1) | instskip(NEXT) | instid1(VALU_DEP_1)
	v_add_f32_e32 v39, v39, v0
	v_and_b32_e32 v0, 0x7f800000, v39
	s_delay_alu instid0(VALU_DEP_1) | instskip(SKIP_1) | instid1(SALU_CYCLE_1)
	v_cmp_ne_u32_e32 vcc_lo, 0x7f800000, v0
                                        ; implicit-def: $vgpr0
	s_and_saveexec_b32 s77, vcc_lo
	s_xor_b32 s77, exec_lo, s77
; %bb.2707:                             ;   in Loop: Header=BB12_2450 Depth=4
	v_bfe_u32 v0, v39, 16, 1
	s_delay_alu instid0(VALU_DEP_1)
	v_add3_u32 v0, v39, v0, 0x7fff
                                        ; implicit-def: $vgpr39
; %bb.2708:                             ;   in Loop: Header=BB12_2450 Depth=4
	s_and_not1_saveexec_b32 s77, s77
	s_cbranch_execz .LBB12_2449
; %bb.2709:                             ;   in Loop: Header=BB12_2450 Depth=4
	v_and_b32_e32 v0, 0xffff, v39
	v_or_b32_e32 v48, 0x10000, v39
	s_delay_alu instid0(VALU_DEP_2) | instskip(NEXT) | instid1(VALU_DEP_2)
	v_cmp_eq_u32_e32 vcc_lo, 0, v0
	v_cndmask_b32_e32 v0, v48, v39, vcc_lo
	s_branch .LBB12_2449
.LBB12_2710:                            ;   in Loop: Header=BB12_1375 Depth=3
	s_or_b32 exec_lo, exec_lo, s40
	v_dual_lshlrev_b32 v96, 16, v125 :: v_dual_lshlrev_b32 v86, 16, v63
	v_dual_lshlrev_b32 v54, 16, v77 :: v_dual_lshlrev_b32 v84, 16, v115
	;; [unrolled: 1-line block ×16, first 2 shown]
	s_and_b32 s14, s14, exec_lo
.LBB12_2711:                            ;   in Loop: Header=BB12_1375 Depth=3
	s_or_b32 exec_lo, exec_lo, s13
	s_and_saveexec_b32 s13, s14
	s_cbranch_execz .LBB12_2841
; %bb.2712:                             ;   in Loop: Header=BB12_1375 Depth=3
	s_trap 2
	ds_load_b32 v12, v0
	s_wait_dscnt 0x0
	v_lshlrev_b32_e32 v12, 16, v12
	s_delay_alu instid0(VALU_DEP_1) | instskip(NEXT) | instid1(VALU_DEP_1)
	v_mul_f32_e32 v24, v96, v12
	v_and_b32_e32 v13, 0x7f800000, v24
	s_delay_alu instid0(VALU_DEP_1) | instskip(SKIP_1) | instid1(SALU_CYCLE_1)
	v_cmp_ne_u32_e32 vcc_lo, 0x7f800000, v13
                                        ; implicit-def: $vgpr13
	s_and_saveexec_b32 s14, vcc_lo
	s_xor_b32 s14, exec_lo, s14
; %bb.2713:                             ;   in Loop: Header=BB12_1375 Depth=3
	v_bfe_u32 v13, v24, 16, 1
	s_delay_alu instid0(VALU_DEP_1)
	v_add3_u32 v13, v24, v13, 0x7fff
                                        ; implicit-def: $vgpr24
; %bb.2714:                             ;   in Loop: Header=BB12_1375 Depth=3
	s_and_not1_saveexec_b32 s14, s14
; %bb.2715:                             ;   in Loop: Header=BB12_1375 Depth=3
	v_and_b32_e32 v13, 0xffff, v24
	v_or_b32_e32 v25, 0x10000, v24
	s_delay_alu instid0(VALU_DEP_2) | instskip(NEXT) | instid1(VALU_DEP_2)
	v_cmp_eq_u32_e32 vcc_lo, 0, v13
	v_cndmask_b32_e32 v13, v25, v24, vcc_lo
; %bb.2716:                             ;   in Loop: Header=BB12_1375 Depth=3
	s_or_b32 exec_lo, exec_lo, s14
	v_mul_f32_e32 v24, v54, v12
	s_mov_b32 s14, exec_lo
                                        ; implicit-def: $vgpr54
	s_delay_alu instid0(VALU_DEP_1) | instskip(NEXT) | instid1(VALU_DEP_1)
	v_and_b32_e32 v25, 0x7f800000, v24
	v_cmpx_ne_u32_e32 0x7f800000, v25
	s_xor_b32 s14, exec_lo, s14
; %bb.2717:                             ;   in Loop: Header=BB12_1375 Depth=3
	v_bfe_u32 v25, v24, 16, 1
	s_delay_alu instid0(VALU_DEP_1)
	v_add3_u32 v54, v24, v25, 0x7fff
                                        ; implicit-def: $vgpr24
; %bb.2718:                             ;   in Loop: Header=BB12_1375 Depth=3
	s_and_not1_saveexec_b32 s14, s14
; %bb.2719:                             ;   in Loop: Header=BB12_1375 Depth=3
	v_and_b32_e32 v25, 0xffff, v24
	v_or_b32_e32 v26, 0x10000, v24
	s_delay_alu instid0(VALU_DEP_2) | instskip(NEXT) | instid1(VALU_DEP_2)
	v_cmp_eq_u32_e32 vcc_lo, 0, v25
	v_cndmask_b32_e32 v54, v26, v24, vcc_lo
; %bb.2720:                             ;   in Loop: Header=BB12_1375 Depth=3
	s_or_b32 exec_lo, exec_lo, s14
	v_mul_f32_e32 v24, v86, v12
	s_mov_b32 s14, exec_lo
                                        ; implicit-def: $vgpr37
	s_delay_alu instid0(VALU_DEP_1) | instskip(NEXT) | instid1(VALU_DEP_1)
	v_and_b32_e32 v25, 0x7f800000, v24
	v_cmpx_ne_u32_e32 0x7f800000, v25
	s_xor_b32 s14, exec_lo, s14
; %bb.2721:                             ;   in Loop: Header=BB12_1375 Depth=3
	v_bfe_u32 v25, v24, 16, 1
	s_delay_alu instid0(VALU_DEP_1)
	v_add3_u32 v37, v24, v25, 0x7fff
                                        ; implicit-def: $vgpr24
; %bb.2722:                             ;   in Loop: Header=BB12_1375 Depth=3
	s_and_not1_saveexec_b32 s14, s14
; %bb.2723:                             ;   in Loop: Header=BB12_1375 Depth=3
	v_and_b32_e32 v25, 0xffff, v24
	v_or_b32_e32 v26, 0x10000, v24
	s_delay_alu instid0(VALU_DEP_2) | instskip(NEXT) | instid1(VALU_DEP_2)
	v_cmp_eq_u32_e32 vcc_lo, 0, v25
	v_cndmask_b32_e32 v37, v26, v24, vcc_lo
; %bb.2724:                             ;   in Loop: Header=BB12_1375 Depth=3
	s_or_b32 exec_lo, exec_lo, s14
	v_mul_f32_e32 v24, v84, v12
	s_mov_b32 s14, exec_lo
                                        ; implicit-def: $vgpr36
	s_delay_alu instid0(VALU_DEP_1) | instskip(NEXT) | instid1(VALU_DEP_1)
	v_and_b32_e32 v25, 0x7f800000, v24
	v_cmpx_ne_u32_e32 0x7f800000, v25
	s_xor_b32 s14, exec_lo, s14
; %bb.2725:                             ;   in Loop: Header=BB12_1375 Depth=3
	v_bfe_u32 v25, v24, 16, 1
	s_delay_alu instid0(VALU_DEP_1)
	v_add3_u32 v36, v24, v25, 0x7fff
                                        ; implicit-def: $vgpr24
; %bb.2726:                             ;   in Loop: Header=BB12_1375 Depth=3
	s_and_not1_saveexec_b32 s14, s14
; %bb.2727:                             ;   in Loop: Header=BB12_1375 Depth=3
	v_and_b32_e32 v25, 0xffff, v24
	v_or_b32_e32 v26, 0x10000, v24
	s_delay_alu instid0(VALU_DEP_2) | instskip(NEXT) | instid1(VALU_DEP_2)
	v_cmp_eq_u32_e32 vcc_lo, 0, v25
	v_cndmask_b32_e32 v36, v26, v24, vcc_lo
; %bb.2728:                             ;   in Loop: Header=BB12_1375 Depth=3
	s_or_b32 exec_lo, exec_lo, s14
	v_mul_f32_e32 v24, v82, v12
	s_mov_b32 s14, exec_lo
                                        ; implicit-def: $vgpr35
	s_delay_alu instid0(VALU_DEP_1) | instskip(NEXT) | instid1(VALU_DEP_1)
	v_and_b32_e32 v25, 0x7f800000, v24
	v_cmpx_ne_u32_e32 0x7f800000, v25
	s_xor_b32 s14, exec_lo, s14
; %bb.2729:                             ;   in Loop: Header=BB12_1375 Depth=3
	v_bfe_u32 v25, v24, 16, 1
	s_delay_alu instid0(VALU_DEP_1)
	v_add3_u32 v35, v24, v25, 0x7fff
                                        ; implicit-def: $vgpr24
; %bb.2730:                             ;   in Loop: Header=BB12_1375 Depth=3
	s_and_not1_saveexec_b32 s14, s14
; %bb.2731:                             ;   in Loop: Header=BB12_1375 Depth=3
	v_and_b32_e32 v25, 0xffff, v24
	v_or_b32_e32 v26, 0x10000, v24
	s_delay_alu instid0(VALU_DEP_2) | instskip(NEXT) | instid1(VALU_DEP_2)
	v_cmp_eq_u32_e32 vcc_lo, 0, v25
	v_cndmask_b32_e32 v35, v26, v24, vcc_lo
; %bb.2732:                             ;   in Loop: Header=BB12_1375 Depth=3
	s_or_b32 exec_lo, exec_lo, s14
	v_mul_f32_e32 v24, v80, v12
	s_mov_b32 s14, exec_lo
                                        ; implicit-def: $vgpr34
	s_delay_alu instid0(VALU_DEP_1) | instskip(NEXT) | instid1(VALU_DEP_1)
	v_and_b32_e32 v25, 0x7f800000, v24
	v_cmpx_ne_u32_e32 0x7f800000, v25
	s_xor_b32 s14, exec_lo, s14
; %bb.2733:                             ;   in Loop: Header=BB12_1375 Depth=3
	v_bfe_u32 v25, v24, 16, 1
	s_delay_alu instid0(VALU_DEP_1)
	v_add3_u32 v34, v24, v25, 0x7fff
                                        ; implicit-def: $vgpr24
; %bb.2734:                             ;   in Loop: Header=BB12_1375 Depth=3
	s_and_not1_saveexec_b32 s14, s14
; %bb.2735:                             ;   in Loop: Header=BB12_1375 Depth=3
	v_and_b32_e32 v25, 0xffff, v24
	v_or_b32_e32 v26, 0x10000, v24
	s_delay_alu instid0(VALU_DEP_2) | instskip(NEXT) | instid1(VALU_DEP_2)
	v_cmp_eq_u32_e32 vcc_lo, 0, v25
	v_cndmask_b32_e32 v34, v26, v24, vcc_lo
; %bb.2736:                             ;   in Loop: Header=BB12_1375 Depth=3
	s_or_b32 exec_lo, exec_lo, s14
	v_mul_f32_e32 v24, v70, v12
	s_mov_b32 s14, exec_lo
                                        ; implicit-def: $vgpr33
	s_delay_alu instid0(VALU_DEP_1) | instskip(NEXT) | instid1(VALU_DEP_1)
	v_and_b32_e32 v25, 0x7f800000, v24
	v_cmpx_ne_u32_e32 0x7f800000, v25
	s_xor_b32 s14, exec_lo, s14
; %bb.2737:                             ;   in Loop: Header=BB12_1375 Depth=3
	v_bfe_u32 v25, v24, 16, 1
	s_delay_alu instid0(VALU_DEP_1)
	v_add3_u32 v33, v24, v25, 0x7fff
                                        ; implicit-def: $vgpr24
; %bb.2738:                             ;   in Loop: Header=BB12_1375 Depth=3
	s_and_not1_saveexec_b32 s14, s14
; %bb.2739:                             ;   in Loop: Header=BB12_1375 Depth=3
	v_and_b32_e32 v25, 0xffff, v24
	v_or_b32_e32 v26, 0x10000, v24
	s_delay_alu instid0(VALU_DEP_2) | instskip(NEXT) | instid1(VALU_DEP_2)
	v_cmp_eq_u32_e32 vcc_lo, 0, v25
	v_cndmask_b32_e32 v33, v26, v24, vcc_lo
; %bb.2740:                             ;   in Loop: Header=BB12_1375 Depth=3
	s_or_b32 exec_lo, exec_lo, s14
	v_mul_f32_e32 v24, v67, v12
	s_mov_b32 s14, exec_lo
                                        ; implicit-def: $vgpr32
	s_delay_alu instid0(VALU_DEP_1) | instskip(NEXT) | instid1(VALU_DEP_1)
	v_and_b32_e32 v25, 0x7f800000, v24
	v_cmpx_ne_u32_e32 0x7f800000, v25
	s_xor_b32 s14, exec_lo, s14
; %bb.2741:                             ;   in Loop: Header=BB12_1375 Depth=3
	v_bfe_u32 v25, v24, 16, 1
	s_delay_alu instid0(VALU_DEP_1)
	v_add3_u32 v32, v24, v25, 0x7fff
                                        ; implicit-def: $vgpr24
; %bb.2742:                             ;   in Loop: Header=BB12_1375 Depth=3
	s_and_not1_saveexec_b32 s14, s14
; %bb.2743:                             ;   in Loop: Header=BB12_1375 Depth=3
	v_and_b32_e32 v25, 0xffff, v24
	v_or_b32_e32 v26, 0x10000, v24
	s_delay_alu instid0(VALU_DEP_2) | instskip(NEXT) | instid1(VALU_DEP_2)
	v_cmp_eq_u32_e32 vcc_lo, 0, v25
	v_cndmask_b32_e32 v32, v26, v24, vcc_lo
; %bb.2744:                             ;   in Loop: Header=BB12_1375 Depth=3
	s_or_b32 exec_lo, exec_lo, s14
	v_mul_f32_e32 v24, v66, v12
	s_mov_b32 s14, exec_lo
                                        ; implicit-def: $vgpr31
	s_delay_alu instid0(VALU_DEP_1) | instskip(NEXT) | instid1(VALU_DEP_1)
	v_and_b32_e32 v25, 0x7f800000, v24
	v_cmpx_ne_u32_e32 0x7f800000, v25
	s_xor_b32 s14, exec_lo, s14
; %bb.2745:                             ;   in Loop: Header=BB12_1375 Depth=3
	v_bfe_u32 v25, v24, 16, 1
	s_delay_alu instid0(VALU_DEP_1)
	v_add3_u32 v31, v24, v25, 0x7fff
                                        ; implicit-def: $vgpr24
; %bb.2746:                             ;   in Loop: Header=BB12_1375 Depth=3
	s_and_not1_saveexec_b32 s14, s14
; %bb.2747:                             ;   in Loop: Header=BB12_1375 Depth=3
	v_and_b32_e32 v25, 0xffff, v24
	v_or_b32_e32 v26, 0x10000, v24
	s_delay_alu instid0(VALU_DEP_2) | instskip(NEXT) | instid1(VALU_DEP_2)
	v_cmp_eq_u32_e32 vcc_lo, 0, v25
	v_cndmask_b32_e32 v31, v26, v24, vcc_lo
; %bb.2748:                             ;   in Loop: Header=BB12_1375 Depth=3
	s_or_b32 exec_lo, exec_lo, s14
	v_mul_f32_e32 v24, v65, v12
	s_mov_b32 s14, exec_lo
                                        ; implicit-def: $vgpr30
	s_delay_alu instid0(VALU_DEP_1) | instskip(NEXT) | instid1(VALU_DEP_1)
	v_and_b32_e32 v25, 0x7f800000, v24
	v_cmpx_ne_u32_e32 0x7f800000, v25
	s_xor_b32 s14, exec_lo, s14
; %bb.2749:                             ;   in Loop: Header=BB12_1375 Depth=3
	v_bfe_u32 v25, v24, 16, 1
	s_delay_alu instid0(VALU_DEP_1)
	v_add3_u32 v30, v24, v25, 0x7fff
                                        ; implicit-def: $vgpr24
; %bb.2750:                             ;   in Loop: Header=BB12_1375 Depth=3
	s_and_not1_saveexec_b32 s14, s14
; %bb.2751:                             ;   in Loop: Header=BB12_1375 Depth=3
	v_and_b32_e32 v25, 0xffff, v24
	v_or_b32_e32 v26, 0x10000, v24
	s_delay_alu instid0(VALU_DEP_2) | instskip(NEXT) | instid1(VALU_DEP_2)
	v_cmp_eq_u32_e32 vcc_lo, 0, v25
	v_cndmask_b32_e32 v30, v26, v24, vcc_lo
; %bb.2752:                             ;   in Loop: Header=BB12_1375 Depth=3
	s_or_b32 exec_lo, exec_lo, s14
	v_mul_f32_e32 v24, v64, v12
	s_mov_b32 s14, exec_lo
                                        ; implicit-def: $vgpr29
	s_delay_alu instid0(VALU_DEP_1) | instskip(NEXT) | instid1(VALU_DEP_1)
	v_and_b32_e32 v25, 0x7f800000, v24
	v_cmpx_ne_u32_e32 0x7f800000, v25
	s_xor_b32 s14, exec_lo, s14
; %bb.2753:                             ;   in Loop: Header=BB12_1375 Depth=3
	v_bfe_u32 v25, v24, 16, 1
	s_delay_alu instid0(VALU_DEP_1)
	v_add3_u32 v29, v24, v25, 0x7fff
                                        ; implicit-def: $vgpr24
; %bb.2754:                             ;   in Loop: Header=BB12_1375 Depth=3
	s_and_not1_saveexec_b32 s14, s14
; %bb.2755:                             ;   in Loop: Header=BB12_1375 Depth=3
	v_and_b32_e32 v25, 0xffff, v24
	v_or_b32_e32 v26, 0x10000, v24
	s_delay_alu instid0(VALU_DEP_2) | instskip(NEXT) | instid1(VALU_DEP_2)
	v_cmp_eq_u32_e32 vcc_lo, 0, v25
	v_cndmask_b32_e32 v29, v26, v24, vcc_lo
; %bb.2756:                             ;   in Loop: Header=BB12_1375 Depth=3
	s_or_b32 exec_lo, exec_lo, s14
	v_mul_f32_e32 v24, v55, v12
	s_mov_b32 s14, exec_lo
                                        ; implicit-def: $vgpr27
	s_delay_alu instid0(VALU_DEP_1) | instskip(NEXT) | instid1(VALU_DEP_1)
	v_and_b32_e32 v25, 0x7f800000, v24
	v_cmpx_ne_u32_e32 0x7f800000, v25
	s_xor_b32 s14, exec_lo, s14
; %bb.2757:                             ;   in Loop: Header=BB12_1375 Depth=3
	v_bfe_u32 v25, v24, 16, 1
	s_delay_alu instid0(VALU_DEP_1)
	v_add3_u32 v27, v24, v25, 0x7fff
                                        ; implicit-def: $vgpr24
; %bb.2758:                             ;   in Loop: Header=BB12_1375 Depth=3
	s_and_not1_saveexec_b32 s14, s14
; %bb.2759:                             ;   in Loop: Header=BB12_1375 Depth=3
	v_and_b32_e32 v25, 0xffff, v24
	v_or_b32_e32 v26, 0x10000, v24
	s_delay_alu instid0(VALU_DEP_2) | instskip(NEXT) | instid1(VALU_DEP_2)
	v_cmp_eq_u32_e32 vcc_lo, 0, v25
	v_cndmask_b32_e32 v27, v26, v24, vcc_lo
; %bb.2760:                             ;   in Loop: Header=BB12_1375 Depth=3
	s_or_b32 exec_lo, exec_lo, s14
	v_mul_f32_e32 v24, v53, v12
	s_mov_b32 s14, exec_lo
                                        ; implicit-def: $vgpr26
	s_delay_alu instid0(VALU_DEP_1) | instskip(NEXT) | instid1(VALU_DEP_1)
	v_and_b32_e32 v25, 0x7f800000, v24
	v_cmpx_ne_u32_e32 0x7f800000, v25
	s_xor_b32 s14, exec_lo, s14
; %bb.2761:                             ;   in Loop: Header=BB12_1375 Depth=3
	v_bfe_u32 v25, v24, 16, 1
	s_delay_alu instid0(VALU_DEP_1)
	v_add3_u32 v26, v24, v25, 0x7fff
                                        ; implicit-def: $vgpr24
; %bb.2762:                             ;   in Loop: Header=BB12_1375 Depth=3
	s_and_not1_saveexec_b32 s14, s14
; %bb.2763:                             ;   in Loop: Header=BB12_1375 Depth=3
	v_and_b32_e32 v25, 0xffff, v24
	v_or_b32_e32 v26, 0x10000, v24
	s_delay_alu instid0(VALU_DEP_2) | instskip(NEXT) | instid1(VALU_DEP_2)
	v_cmp_eq_u32_e32 vcc_lo, 0, v25
	v_cndmask_b32_e32 v26, v26, v24, vcc_lo
; %bb.2764:                             ;   in Loop: Header=BB12_1375 Depth=3
	s_or_b32 exec_lo, exec_lo, s14
	v_mul_f32_e32 v24, v52, v12
	s_delay_alu instid0(VALU_DEP_1) | instskip(NEXT) | instid1(VALU_DEP_1)
	v_and_b32_e32 v25, 0x7f800000, v24
	v_cmp_ne_u32_e32 vcc_lo, 0x7f800000, v25
                                        ; implicit-def: $vgpr25
	s_and_saveexec_b32 s14, vcc_lo
	s_delay_alu instid0(SALU_CYCLE_1)
	s_xor_b32 s14, exec_lo, s14
; %bb.2765:                             ;   in Loop: Header=BB12_1375 Depth=3
	v_bfe_u32 v25, v24, 16, 1
	s_delay_alu instid0(VALU_DEP_1)
	v_add3_u32 v25, v24, v25, 0x7fff
                                        ; implicit-def: $vgpr24
; %bb.2766:                             ;   in Loop: Header=BB12_1375 Depth=3
	s_and_not1_saveexec_b32 s14, s14
; %bb.2767:                             ;   in Loop: Header=BB12_1375 Depth=3
	v_and_b32_e32 v25, 0xffff, v24
	v_or_b32_e32 v52, 0x10000, v24
	s_delay_alu instid0(VALU_DEP_2) | instskip(NEXT) | instid1(VALU_DEP_2)
	v_cmp_eq_u32_e32 vcc_lo, 0, v25
	v_cndmask_b32_e32 v25, v52, v24, vcc_lo
; %bb.2768:                             ;   in Loop: Header=BB12_1375 Depth=3
	s_or_b32 exec_lo, exec_lo, s14
	v_mul_f32_e32 v51, v51, v12
	s_delay_alu instid0(VALU_DEP_1) | instskip(NEXT) | instid1(VALU_DEP_1)
	v_and_b32_e32 v24, 0x7f800000, v51
	v_cmp_ne_u32_e32 vcc_lo, 0x7f800000, v24
                                        ; implicit-def: $vgpr24
	s_and_saveexec_b32 s14, vcc_lo
	s_delay_alu instid0(SALU_CYCLE_1)
	s_xor_b32 s14, exec_lo, s14
; %bb.2769:                             ;   in Loop: Header=BB12_1375 Depth=3
	v_bfe_u32 v24, v51, 16, 1
	s_delay_alu instid0(VALU_DEP_1)
	v_add3_u32 v24, v51, v24, 0x7fff
                                        ; implicit-def: $vgpr51
; %bb.2770:                             ;   in Loop: Header=BB12_1375 Depth=3
	s_and_not1_saveexec_b32 s14, s14
; %bb.2771:                             ;   in Loop: Header=BB12_1375 Depth=3
	v_and_b32_e32 v24, 0xffff, v51
	v_or_b32_e32 v52, 0x10000, v51
	s_delay_alu instid0(VALU_DEP_2) | instskip(NEXT) | instid1(VALU_DEP_2)
	v_cmp_eq_u32_e32 vcc_lo, 0, v24
	v_cndmask_b32_e32 v24, v52, v51, vcc_lo
; %bb.2772:                             ;   in Loop: Header=BB12_1375 Depth=3
	s_or_b32 exec_lo, exec_lo, s14
	v_mul_f32_e32 v50, v50, v12
	s_delay_alu instid0(VALU_DEP_1) | instskip(NEXT) | instid1(VALU_DEP_1)
	v_and_b32_e32 v12, 0x7f800000, v50
	v_cmp_ne_u32_e32 vcc_lo, 0x7f800000, v12
                                        ; implicit-def: $vgpr12
	s_and_saveexec_b32 s14, vcc_lo
	s_delay_alu instid0(SALU_CYCLE_1)
	s_xor_b32 s14, exec_lo, s14
; %bb.2773:                             ;   in Loop: Header=BB12_1375 Depth=3
	v_bfe_u32 v12, v50, 16, 1
	s_delay_alu instid0(VALU_DEP_1)
	v_add3_u32 v12, v50, v12, 0x7fff
                                        ; implicit-def: $vgpr50
; %bb.2774:                             ;   in Loop: Header=BB12_1375 Depth=3
	s_and_not1_saveexec_b32 s14, s14
; %bb.2775:                             ;   in Loop: Header=BB12_1375 Depth=3
	v_and_b32_e32 v12, 0xffff, v50
	v_or_b32_e32 v51, 0x10000, v50
	s_delay_alu instid0(VALU_DEP_2) | instskip(NEXT) | instid1(VALU_DEP_2)
	v_cmp_eq_u32_e32 vcc_lo, 0, v12
	v_cndmask_b32_e32 v12, v51, v50, vcc_lo
; %bb.2776:                             ;   in Loop: Header=BB12_1375 Depth=3
	s_or_b32 exec_lo, exec_lo, s14
	v_and_b32_e32 v13, 0xffff0000, v13
	s_delay_alu instid0(VALU_DEP_1) | instskip(NEXT) | instid1(VALU_DEP_1)
	v_add_f32_e32 v49, v49, v13
	v_and_b32_e32 v13, 0x7f800000, v49
	s_delay_alu instid0(VALU_DEP_1) | instskip(SKIP_1) | instid1(SALU_CYCLE_1)
	v_cmp_ne_u32_e32 vcc_lo, 0x7f800000, v13
                                        ; implicit-def: $vgpr13
	s_and_saveexec_b32 s14, vcc_lo
	s_xor_b32 s14, exec_lo, s14
; %bb.2777:                             ;   in Loop: Header=BB12_1375 Depth=3
	v_bfe_u32 v13, v49, 16, 1
	s_delay_alu instid0(VALU_DEP_1)
	v_add3_u32 v13, v49, v13, 0x7fff
                                        ; implicit-def: $vgpr49
; %bb.2778:                             ;   in Loop: Header=BB12_1375 Depth=3
	s_and_not1_saveexec_b32 s14, s14
; %bb.2779:                             ;   in Loop: Header=BB12_1375 Depth=3
	v_and_b32_e32 v13, 0xffff, v49
	v_or_b32_e32 v50, 0x10000, v49
	s_delay_alu instid0(VALU_DEP_2) | instskip(NEXT) | instid1(VALU_DEP_2)
	v_cmp_eq_u32_e32 vcc_lo, 0, v13
	v_cndmask_b32_e32 v13, v50, v49, vcc_lo
; %bb.2780:                             ;   in Loop: Header=BB12_1375 Depth=3
	s_or_b32 exec_lo, exec_lo, s14
	v_and_b32_e32 v49, 0xffff0000, v54
	s_delay_alu instid0(VALU_DEP_1) | instskip(NEXT) | instid1(VALU_DEP_1)
	v_add_f32_e32 v49, v48, v49
	v_and_b32_e32 v48, 0x7f800000, v49
	s_delay_alu instid0(VALU_DEP_1) | instskip(SKIP_1) | instid1(SALU_CYCLE_1)
	v_cmp_ne_u32_e32 vcc_lo, 0x7f800000, v48
                                        ; implicit-def: $vgpr48
	s_and_saveexec_b32 s14, vcc_lo
	s_xor_b32 s14, exec_lo, s14
; %bb.2781:                             ;   in Loop: Header=BB12_1375 Depth=3
	v_bfe_u32 v48, v49, 16, 1
	s_delay_alu instid0(VALU_DEP_1)
	v_add3_u32 v48, v49, v48, 0x7fff
                                        ; implicit-def: $vgpr49
; %bb.2782:                             ;   in Loop: Header=BB12_1375 Depth=3
	s_and_not1_saveexec_b32 s14, s14
; %bb.2783:                             ;   in Loop: Header=BB12_1375 Depth=3
	v_and_b32_e32 v48, 0xffff, v49
	v_or_b32_e32 v50, 0x10000, v49
	s_delay_alu instid0(VALU_DEP_2) | instskip(NEXT) | instid1(VALU_DEP_2)
	v_cmp_eq_u32_e32 vcc_lo, 0, v48
	v_cndmask_b32_e32 v48, v50, v49, vcc_lo
; %bb.2784:                             ;   in Loop: Header=BB12_1375 Depth=3
	s_or_b32 exec_lo, exec_lo, s14
	v_and_b32_e32 v37, 0xffff0000, v37
	s_delay_alu instid0(VALU_DEP_1) | instskip(NEXT) | instid1(VALU_DEP_1)
	v_add_f32_e32 v39, v39, v37
	v_and_b32_e32 v37, 0x7f800000, v39
	s_delay_alu instid0(VALU_DEP_1) | instskip(SKIP_1) | instid1(SALU_CYCLE_1)
	v_cmp_ne_u32_e32 vcc_lo, 0x7f800000, v37
                                        ; implicit-def: $vgpr37
	s_and_saveexec_b32 s14, vcc_lo
	s_xor_b32 s14, exec_lo, s14
; %bb.2785:                             ;   in Loop: Header=BB12_1375 Depth=3
	v_bfe_u32 v37, v39, 16, 1
	s_delay_alu instid0(VALU_DEP_1)
	v_add3_u32 v37, v39, v37, 0x7fff
                                        ; implicit-def: $vgpr39
; %bb.2786:                             ;   in Loop: Header=BB12_1375 Depth=3
	s_and_not1_saveexec_b32 s14, s14
; %bb.2787:                             ;   in Loop: Header=BB12_1375 Depth=3
	v_and_b32_e32 v37, 0xffff, v39
	v_or_b32_e32 v49, 0x10000, v39
	s_delay_alu instid0(VALU_DEP_2) | instskip(NEXT) | instid1(VALU_DEP_2)
	v_cmp_eq_u32_e32 vcc_lo, 0, v37
	v_cndmask_b32_e32 v37, v49, v39, vcc_lo
; %bb.2788:                             ;   in Loop: Header=BB12_1375 Depth=3
	s_or_b32 exec_lo, exec_lo, s14
	v_and_b32_e32 v36, 0xffff0000, v36
	s_delay_alu instid0(VALU_DEP_1) | instskip(NEXT) | instid1(VALU_DEP_1)
	v_add_f32_e32 v36, v23, v36
	v_and_b32_e32 v23, 0x7f800000, v36
	s_delay_alu instid0(VALU_DEP_1) | instskip(SKIP_1) | instid1(SALU_CYCLE_1)
	v_cmp_ne_u32_e32 vcc_lo, 0x7f800000, v23
                                        ; implicit-def: $vgpr23
	s_and_saveexec_b32 s14, vcc_lo
	s_xor_b32 s14, exec_lo, s14
; %bb.2789:                             ;   in Loop: Header=BB12_1375 Depth=3
	v_bfe_u32 v23, v36, 16, 1
	s_delay_alu instid0(VALU_DEP_1)
	v_add3_u32 v23, v36, v23, 0x7fff
                                        ; implicit-def: $vgpr36
; %bb.2790:                             ;   in Loop: Header=BB12_1375 Depth=3
	s_and_not1_saveexec_b32 s14, s14
; %bb.2791:                             ;   in Loop: Header=BB12_1375 Depth=3
	v_and_b32_e32 v23, 0xffff, v36
	v_or_b32_e32 v39, 0x10000, v36
	s_delay_alu instid0(VALU_DEP_2) | instskip(NEXT) | instid1(VALU_DEP_2)
	v_cmp_eq_u32_e32 vcc_lo, 0, v23
	v_cndmask_b32_e32 v23, v39, v36, vcc_lo
; %bb.2792:                             ;   in Loop: Header=BB12_1375 Depth=3
	s_or_b32 exec_lo, exec_lo, s14
	v_and_b32_e32 v35, 0xffff0000, v35
	s_delay_alu instid0(VALU_DEP_1) | instskip(NEXT) | instid1(VALU_DEP_1)
	v_add_f32_e32 v35, v22, v35
	v_and_b32_e32 v22, 0x7f800000, v35
	s_delay_alu instid0(VALU_DEP_1) | instskip(SKIP_1) | instid1(SALU_CYCLE_1)
	v_cmp_ne_u32_e32 vcc_lo, 0x7f800000, v22
                                        ; implicit-def: $vgpr22
	s_and_saveexec_b32 s14, vcc_lo
	s_xor_b32 s14, exec_lo, s14
; %bb.2793:                             ;   in Loop: Header=BB12_1375 Depth=3
	v_bfe_u32 v22, v35, 16, 1
	s_delay_alu instid0(VALU_DEP_1)
	v_add3_u32 v22, v35, v22, 0x7fff
                                        ; implicit-def: $vgpr35
; %bb.2794:                             ;   in Loop: Header=BB12_1375 Depth=3
	s_and_not1_saveexec_b32 s14, s14
; %bb.2795:                             ;   in Loop: Header=BB12_1375 Depth=3
	v_and_b32_e32 v22, 0xffff, v35
	v_or_b32_e32 v36, 0x10000, v35
	s_delay_alu instid0(VALU_DEP_2) | instskip(NEXT) | instid1(VALU_DEP_2)
	v_cmp_eq_u32_e32 vcc_lo, 0, v22
	v_cndmask_b32_e32 v22, v36, v35, vcc_lo
; %bb.2796:                             ;   in Loop: Header=BB12_1375 Depth=3
	s_or_b32 exec_lo, exec_lo, s14
	v_and_b32_e32 v34, 0xffff0000, v34
	s_delay_alu instid0(VALU_DEP_1) | instskip(NEXT) | instid1(VALU_DEP_1)
	v_add_f32_e32 v34, v21, v34
	v_and_b32_e32 v21, 0x7f800000, v34
	s_delay_alu instid0(VALU_DEP_1) | instskip(SKIP_1) | instid1(SALU_CYCLE_1)
	v_cmp_ne_u32_e32 vcc_lo, 0x7f800000, v21
                                        ; implicit-def: $vgpr21
	s_and_saveexec_b32 s14, vcc_lo
	s_xor_b32 s14, exec_lo, s14
; %bb.2797:                             ;   in Loop: Header=BB12_1375 Depth=3
	v_bfe_u32 v21, v34, 16, 1
	s_delay_alu instid0(VALU_DEP_1)
	v_add3_u32 v21, v34, v21, 0x7fff
                                        ; implicit-def: $vgpr34
; %bb.2798:                             ;   in Loop: Header=BB12_1375 Depth=3
	s_and_not1_saveexec_b32 s14, s14
; %bb.2799:                             ;   in Loop: Header=BB12_1375 Depth=3
	v_and_b32_e32 v21, 0xffff, v34
	v_or_b32_e32 v35, 0x10000, v34
	s_delay_alu instid0(VALU_DEP_2) | instskip(NEXT) | instid1(VALU_DEP_2)
	v_cmp_eq_u32_e32 vcc_lo, 0, v21
	v_cndmask_b32_e32 v21, v35, v34, vcc_lo
; %bb.2800:                             ;   in Loop: Header=BB12_1375 Depth=3
	s_or_b32 exec_lo, exec_lo, s14
	v_and_b32_e32 v33, 0xffff0000, v33
	s_delay_alu instid0(VALU_DEP_1) | instskip(NEXT) | instid1(VALU_DEP_1)
	v_add_f32_e32 v33, v17, v33
	v_and_b32_e32 v17, 0x7f800000, v33
	s_delay_alu instid0(VALU_DEP_1) | instskip(SKIP_1) | instid1(SALU_CYCLE_1)
	v_cmp_ne_u32_e32 vcc_lo, 0x7f800000, v17
                                        ; implicit-def: $vgpr17
	s_and_saveexec_b32 s14, vcc_lo
	s_xor_b32 s14, exec_lo, s14
; %bb.2801:                             ;   in Loop: Header=BB12_1375 Depth=3
	v_bfe_u32 v17, v33, 16, 1
	s_delay_alu instid0(VALU_DEP_1)
	v_add3_u32 v17, v33, v17, 0x7fff
                                        ; implicit-def: $vgpr33
; %bb.2802:                             ;   in Loop: Header=BB12_1375 Depth=3
	s_and_not1_saveexec_b32 s14, s14
; %bb.2803:                             ;   in Loop: Header=BB12_1375 Depth=3
	v_and_b32_e32 v17, 0xffff, v33
	v_or_b32_e32 v34, 0x10000, v33
	s_delay_alu instid0(VALU_DEP_2) | instskip(NEXT) | instid1(VALU_DEP_2)
	v_cmp_eq_u32_e32 vcc_lo, 0, v17
	v_cndmask_b32_e32 v17, v34, v33, vcc_lo
; %bb.2804:                             ;   in Loop: Header=BB12_1375 Depth=3
	s_or_b32 exec_lo, exec_lo, s14
	v_and_b32_e32 v32, 0xffff0000, v32
	s_delay_alu instid0(VALU_DEP_1) | instskip(NEXT) | instid1(VALU_DEP_1)
	v_add_f32_e32 v32, v16, v32
	v_and_b32_e32 v16, 0x7f800000, v32
	s_delay_alu instid0(VALU_DEP_1) | instskip(SKIP_1) | instid1(SALU_CYCLE_1)
	v_cmp_ne_u32_e32 vcc_lo, 0x7f800000, v16
                                        ; implicit-def: $vgpr16
	s_and_saveexec_b32 s14, vcc_lo
	s_xor_b32 s14, exec_lo, s14
; %bb.2805:                             ;   in Loop: Header=BB12_1375 Depth=3
	v_bfe_u32 v16, v32, 16, 1
	s_delay_alu instid0(VALU_DEP_1)
	v_add3_u32 v16, v32, v16, 0x7fff
                                        ; implicit-def: $vgpr32
; %bb.2806:                             ;   in Loop: Header=BB12_1375 Depth=3
	s_and_not1_saveexec_b32 s14, s14
; %bb.2807:                             ;   in Loop: Header=BB12_1375 Depth=3
	v_and_b32_e32 v16, 0xffff, v32
	v_or_b32_e32 v33, 0x10000, v32
	s_delay_alu instid0(VALU_DEP_2) | instskip(NEXT) | instid1(VALU_DEP_2)
	v_cmp_eq_u32_e32 vcc_lo, 0, v16
	v_cndmask_b32_e32 v16, v33, v32, vcc_lo
; %bb.2808:                             ;   in Loop: Header=BB12_1375 Depth=3
	s_or_b32 exec_lo, exec_lo, s14
	v_and_b32_e32 v31, 0xffff0000, v31
	s_delay_alu instid0(VALU_DEP_1) | instskip(NEXT) | instid1(VALU_DEP_1)
	v_add_f32_e32 v31, v15, v31
	v_and_b32_e32 v15, 0x7f800000, v31
	s_delay_alu instid0(VALU_DEP_1) | instskip(SKIP_1) | instid1(SALU_CYCLE_1)
	v_cmp_ne_u32_e32 vcc_lo, 0x7f800000, v15
                                        ; implicit-def: $vgpr15
	s_and_saveexec_b32 s14, vcc_lo
	s_xor_b32 s14, exec_lo, s14
; %bb.2809:                             ;   in Loop: Header=BB12_1375 Depth=3
	v_bfe_u32 v15, v31, 16, 1
	s_delay_alu instid0(VALU_DEP_1)
	v_add3_u32 v15, v31, v15, 0x7fff
                                        ; implicit-def: $vgpr31
; %bb.2810:                             ;   in Loop: Header=BB12_1375 Depth=3
	s_and_not1_saveexec_b32 s14, s14
; %bb.2811:                             ;   in Loop: Header=BB12_1375 Depth=3
	v_and_b32_e32 v15, 0xffff, v31
	v_or_b32_e32 v32, 0x10000, v31
	s_delay_alu instid0(VALU_DEP_2) | instskip(NEXT) | instid1(VALU_DEP_2)
	v_cmp_eq_u32_e32 vcc_lo, 0, v15
	v_cndmask_b32_e32 v15, v32, v31, vcc_lo
; %bb.2812:                             ;   in Loop: Header=BB12_1375 Depth=3
	s_or_b32 exec_lo, exec_lo, s14
	v_and_b32_e32 v30, 0xffff0000, v30
	s_delay_alu instid0(VALU_DEP_1) | instskip(NEXT) | instid1(VALU_DEP_1)
	v_add_f32_e32 v30, v14, v30
	v_and_b32_e32 v14, 0x7f800000, v30
	s_delay_alu instid0(VALU_DEP_1) | instskip(SKIP_1) | instid1(SALU_CYCLE_1)
	v_cmp_ne_u32_e32 vcc_lo, 0x7f800000, v14
                                        ; implicit-def: $vgpr14
	s_and_saveexec_b32 s14, vcc_lo
	s_xor_b32 s14, exec_lo, s14
; %bb.2813:                             ;   in Loop: Header=BB12_1375 Depth=3
	v_bfe_u32 v14, v30, 16, 1
	s_delay_alu instid0(VALU_DEP_1)
	v_add3_u32 v14, v30, v14, 0x7fff
                                        ; implicit-def: $vgpr30
; %bb.2814:                             ;   in Loop: Header=BB12_1375 Depth=3
	s_and_not1_saveexec_b32 s14, s14
; %bb.2815:                             ;   in Loop: Header=BB12_1375 Depth=3
	v_and_b32_e32 v14, 0xffff, v30
	v_or_b32_e32 v31, 0x10000, v30
	s_delay_alu instid0(VALU_DEP_2) | instskip(NEXT) | instid1(VALU_DEP_2)
	v_cmp_eq_u32_e32 vcc_lo, 0, v14
	v_cndmask_b32_e32 v14, v31, v30, vcc_lo
; %bb.2816:                             ;   in Loop: Header=BB12_1375 Depth=3
	s_or_b32 exec_lo, exec_lo, s14
	v_and_b32_e32 v29, 0xffff0000, v29
	s_delay_alu instid0(VALU_DEP_1) | instskip(NEXT) | instid1(VALU_DEP_1)
	v_add_f32_e32 v29, v11, v29
	v_and_b32_e32 v11, 0x7f800000, v29
	s_delay_alu instid0(VALU_DEP_1) | instskip(SKIP_1) | instid1(SALU_CYCLE_1)
	v_cmp_ne_u32_e32 vcc_lo, 0x7f800000, v11
                                        ; implicit-def: $vgpr11
	s_and_saveexec_b32 s14, vcc_lo
	s_xor_b32 s14, exec_lo, s14
; %bb.2817:                             ;   in Loop: Header=BB12_1375 Depth=3
	v_bfe_u32 v11, v29, 16, 1
	s_delay_alu instid0(VALU_DEP_1)
	v_add3_u32 v11, v29, v11, 0x7fff
                                        ; implicit-def: $vgpr29
; %bb.2818:                             ;   in Loop: Header=BB12_1375 Depth=3
	s_and_not1_saveexec_b32 s14, s14
; %bb.2819:                             ;   in Loop: Header=BB12_1375 Depth=3
	v_and_b32_e32 v11, 0xffff, v29
	v_or_b32_e32 v30, 0x10000, v29
	s_delay_alu instid0(VALU_DEP_2) | instskip(NEXT) | instid1(VALU_DEP_2)
	v_cmp_eq_u32_e32 vcc_lo, 0, v11
	v_cndmask_b32_e32 v11, v30, v29, vcc_lo
; %bb.2820:                             ;   in Loop: Header=BB12_1375 Depth=3
	s_or_b32 exec_lo, exec_lo, s14
	v_and_b32_e32 v27, 0xffff0000, v27
	s_delay_alu instid0(VALU_DEP_1) | instskip(NEXT) | instid1(VALU_DEP_1)
	v_add_f32_e32 v27, v7, v27
	v_and_b32_e32 v7, 0x7f800000, v27
	s_delay_alu instid0(VALU_DEP_1) | instskip(SKIP_1) | instid1(SALU_CYCLE_1)
	v_cmp_ne_u32_e32 vcc_lo, 0x7f800000, v7
                                        ; implicit-def: $vgpr7
	s_and_saveexec_b32 s14, vcc_lo
	s_xor_b32 s14, exec_lo, s14
; %bb.2821:                             ;   in Loop: Header=BB12_1375 Depth=3
	v_bfe_u32 v7, v27, 16, 1
	s_delay_alu instid0(VALU_DEP_1)
	v_add3_u32 v7, v27, v7, 0x7fff
                                        ; implicit-def: $vgpr27
; %bb.2822:                             ;   in Loop: Header=BB12_1375 Depth=3
	s_and_not1_saveexec_b32 s14, s14
; %bb.2823:                             ;   in Loop: Header=BB12_1375 Depth=3
	v_and_b32_e32 v7, 0xffff, v27
	v_or_b32_e32 v29, 0x10000, v27
	s_delay_alu instid0(VALU_DEP_2) | instskip(NEXT) | instid1(VALU_DEP_2)
	v_cmp_eq_u32_e32 vcc_lo, 0, v7
	v_cndmask_b32_e32 v7, v29, v27, vcc_lo
; %bb.2824:                             ;   in Loop: Header=BB12_1375 Depth=3
	s_or_b32 exec_lo, exec_lo, s14
	v_and_b32_e32 v26, 0xffff0000, v26
	s_delay_alu instid0(VALU_DEP_1) | instskip(NEXT) | instid1(VALU_DEP_1)
	v_add_f32_e32 v26, v6, v26
	v_and_b32_e32 v6, 0x7f800000, v26
	s_delay_alu instid0(VALU_DEP_1) | instskip(SKIP_1) | instid1(SALU_CYCLE_1)
	v_cmp_ne_u32_e32 vcc_lo, 0x7f800000, v6
                                        ; implicit-def: $vgpr6
	s_and_saveexec_b32 s14, vcc_lo
	s_xor_b32 s14, exec_lo, s14
; %bb.2825:                             ;   in Loop: Header=BB12_1375 Depth=3
	v_bfe_u32 v6, v26, 16, 1
	s_delay_alu instid0(VALU_DEP_1)
	v_add3_u32 v6, v26, v6, 0x7fff
                                        ; implicit-def: $vgpr26
; %bb.2826:                             ;   in Loop: Header=BB12_1375 Depth=3
	s_and_not1_saveexec_b32 s14, s14
; %bb.2827:                             ;   in Loop: Header=BB12_1375 Depth=3
	v_and_b32_e32 v6, 0xffff, v26
	v_or_b32_e32 v27, 0x10000, v26
	s_delay_alu instid0(VALU_DEP_2) | instskip(NEXT) | instid1(VALU_DEP_2)
	v_cmp_eq_u32_e32 vcc_lo, 0, v6
	v_cndmask_b32_e32 v6, v27, v26, vcc_lo
; %bb.2828:                             ;   in Loop: Header=BB12_1375 Depth=3
	s_or_b32 exec_lo, exec_lo, s14
	v_and_b32_e32 v25, 0xffff0000, v25
	s_delay_alu instid0(VALU_DEP_1) | instskip(NEXT) | instid1(VALU_DEP_1)
	v_add_f32_e32 v25, v0, v25
	v_and_b32_e32 v0, 0x7f800000, v25
	s_delay_alu instid0(VALU_DEP_1) | instskip(SKIP_1) | instid1(SALU_CYCLE_1)
	v_cmp_ne_u32_e32 vcc_lo, 0x7f800000, v0
                                        ; implicit-def: $vgpr0
	s_and_saveexec_b32 s14, vcc_lo
	s_xor_b32 s14, exec_lo, s14
; %bb.2829:                             ;   in Loop: Header=BB12_1375 Depth=3
	v_bfe_u32 v0, v25, 16, 1
	s_delay_alu instid0(VALU_DEP_1)
	v_add3_u32 v0, v25, v0, 0x7fff
                                        ; implicit-def: $vgpr25
; %bb.2830:                             ;   in Loop: Header=BB12_1375 Depth=3
	s_and_not1_saveexec_b32 s14, s14
; %bb.2831:                             ;   in Loop: Header=BB12_1375 Depth=3
	v_and_b32_e32 v0, 0xffff, v25
	v_or_b32_e32 v26, 0x10000, v25
	s_delay_alu instid0(VALU_DEP_2) | instskip(NEXT) | instid1(VALU_DEP_2)
	v_cmp_eq_u32_e32 vcc_lo, 0, v0
	v_cndmask_b32_e32 v0, v26, v25, vcc_lo
; %bb.2832:                             ;   in Loop: Header=BB12_1375 Depth=3
	s_or_b32 exec_lo, exec_lo, s14
	v_and_b32_e32 v24, 0xffff0000, v24
	s_delay_alu instid0(VALU_DEP_1) | instskip(NEXT) | instid1(VALU_DEP_1)
	v_add_f32_e32 v24, v10, v24
	v_and_b32_e32 v10, 0x7f800000, v24
	s_delay_alu instid0(VALU_DEP_1) | instskip(SKIP_1) | instid1(SALU_CYCLE_1)
	v_cmp_ne_u32_e32 vcc_lo, 0x7f800000, v10
                                        ; implicit-def: $vgpr10
	s_and_saveexec_b32 s14, vcc_lo
	s_xor_b32 s14, exec_lo, s14
; %bb.2833:                             ;   in Loop: Header=BB12_1375 Depth=3
	v_bfe_u32 v10, v24, 16, 1
	s_delay_alu instid0(VALU_DEP_1)
	v_add3_u32 v10, v24, v10, 0x7fff
                                        ; implicit-def: $vgpr24
; %bb.2834:                             ;   in Loop: Header=BB12_1375 Depth=3
	s_and_not1_saveexec_b32 s14, s14
; %bb.2835:                             ;   in Loop: Header=BB12_1375 Depth=3
	v_and_b32_e32 v10, 0xffff, v24
	v_or_b32_e32 v25, 0x10000, v24
	s_delay_alu instid0(VALU_DEP_2) | instskip(NEXT) | instid1(VALU_DEP_2)
	v_cmp_eq_u32_e32 vcc_lo, 0, v10
	v_cndmask_b32_e32 v10, v25, v24, vcc_lo
; %bb.2836:                             ;   in Loop: Header=BB12_1375 Depth=3
	s_or_b32 exec_lo, exec_lo, s14
	v_and_b32_e32 v12, 0xffff0000, v12
	s_delay_alu instid0(VALU_DEP_1) | instskip(NEXT) | instid1(VALU_DEP_1)
	v_add_f32_e32 v12, v1, v12
	v_and_b32_e32 v1, 0x7f800000, v12
	s_delay_alu instid0(VALU_DEP_1) | instskip(SKIP_1) | instid1(SALU_CYCLE_1)
	v_cmp_ne_u32_e32 vcc_lo, 0x7f800000, v1
                                        ; implicit-def: $vgpr1
	s_and_saveexec_b32 s14, vcc_lo
	s_xor_b32 s14, exec_lo, s14
; %bb.2837:                             ;   in Loop: Header=BB12_1375 Depth=3
	v_bfe_u32 v1, v12, 16, 1
	s_delay_alu instid0(VALU_DEP_1)
	v_add3_u32 v1, v12, v1, 0x7fff
                                        ; implicit-def: $vgpr12
; %bb.2838:                             ;   in Loop: Header=BB12_1375 Depth=3
	s_and_not1_saveexec_b32 s14, s14
; %bb.2839:                             ;   in Loop: Header=BB12_1375 Depth=3
	v_and_b32_e32 v1, 0xffff, v12
	v_or_b32_e32 v24, 0x10000, v12
	s_delay_alu instid0(VALU_DEP_2) | instskip(NEXT) | instid1(VALU_DEP_2)
	v_cmp_eq_u32_e32 vcc_lo, 0, v1
	v_cndmask_b32_e32 v1, v24, v12, vcc_lo
; %bb.2840:                             ;   in Loop: Header=BB12_1375 Depth=3
	s_or_b32 exec_lo, exec_lo, s14
	s_clause 0xf
	flat_store_d16_hi_b16 v[8:9], v13 th:TH_STORE_NT
	flat_store_d16_hi_b16 v[8:9], v48 offset:64 th:TH_STORE_NT
	flat_store_d16_hi_b16 v[8:9], v37 offset:128 th:TH_STORE_NT
	;; [unrolled: 1-line block ×15, first 2 shown]
.LBB12_2841:                            ;   in Loop: Header=BB12_1375 Depth=3
	s_wait_xcnt 0x0
	s_or_b32 exec_lo, exec_lo, s13
	v_lshlrev_b32_e32 v0, 10, v20
	s_delay_alu instid0(VALU_DEP_1)
	v_cmp_ne_u32_e32 vcc_lo, v5, v0
	s_and_b32 exec_lo, exec_lo, vcc_lo
	s_cbranch_execz .LBB12_2878
; %bb.2842:                             ;   in Loop: Header=BB12_1375 Depth=3
	v_lshlrev_b32_e32 v1, 5, v38
	s_delay_alu instid0(VALU_DEP_1) | instskip(NEXT) | instid1(VALU_DEP_1)
	v_sub_nc_u32_e32 v1, v19, v1
	v_ashrrev_i32_e32 v6, 31, v1
	s_delay_alu instid0(VALU_DEP_1) | instskip(NEXT) | instid1(VALU_DEP_1)
	v_lshrrev_b32_e32 v6, 27, v6
	v_add_nc_u32_e32 v6, v1, v6
	s_delay_alu instid0(VALU_DEP_1) | instskip(NEXT) | instid1(VALU_DEP_1)
	v_and_b32_e32 v7, 0x7fffffe0, v6
	v_sub_nc_u32_e32 v1, v1, v7
	s_delay_alu instid0(VALU_DEP_1) | instskip(NEXT) | instid1(VALU_DEP_1)
	v_dual_lshlrev_b32 v1, 1, v1 :: v_dual_lshlrev_b32 v6, 1, v6
	v_and_b32_e32 v6, 0xffffffc0, v6
	s_delay_alu instid0(VALU_DEP_1) | instskip(NEXT) | instid1(VALU_DEP_1)
	v_add3_u32 v1, v6, v1, v0
	v_sub_nc_u32_e32 v0, v5, v1
	s_delay_alu instid0(VALU_DEP_1)
	v_cmp_lt_i32_e32 vcc_lo, 1, v0
	s_and_b32 exec_lo, exec_lo, vcc_lo
	s_cbranch_execz .LBB12_2878
; %bb.2843:                             ;   in Loop: Header=BB12_1375 Depth=3
	s_trap 2
	ds_load_b64 v[6:7], v0
	v_add_nc_u32_e32 v10, v1, v18
	s_mov_b32 s79, 0
	s_mov_b32 s77, 0
                                        ; implicit-def: $sgpr78
	s_delay_alu instid0(VALU_DEP_1) | instskip(NEXT) | instid1(VALU_DEP_1)
	v_ashrrev_i32_e32 v11, 31, v10
	v_add_nc_u64_e32 v[8:9], v[74:75], v[10:11]
	v_add_nc_u64_e32 v[12:13], v[10:11], v[72:73]
	s_wait_dscnt 0x0
	v_add_nc_u64_e32 v[10:11], v[6:7], v[10:11]
	s_branch .LBB12_2845
.LBB12_2844:                            ;   in Loop: Header=BB12_2845 Depth=4
	s_or_b32 exec_lo, exec_lo, s13
	s_delay_alu instid0(VALU_DEP_1) | instskip(SKIP_3) | instid1(VALU_DEP_4)
	v_dual_cndmask_b32 v5, 0, v111, s79 :: v_dual_lshrrev_b32 v1, 16, v1
	v_add_nc_u64_e32 v[14:15], 64, v[104:105]
	v_add_nc_u64_e32 v[6:7], v[10:11], v[104:105]
	;; [unrolled: 1-line block ×3, first 2 shown]
	v_sub_nc_u32_e32 v0, v0, v5
	flat_store_b16 v[8:9], v1 th:TH_STORE_NT
	scratch_store_b16 off, v1, s33 offset:192
	v_dual_cndmask_b32 v15, 0, v15, s79 :: v_dual_cndmask_b32 v14, 64, v14, s79
	v_cndmask_b32_e64 v11, v11, v7, s79
	v_cmp_gt_i32_e32 vcc_lo, 2, v0
	v_dual_cndmask_b32 v10, v10, v6, s79 :: v_dual_cndmask_b32 v13, v13, v17, s79
	s_wait_xcnt 0x1
	v_add_nc_u64_e32 v[8:9], v[8:9], v[14:15]
	v_cndmask_b32_e64 v12, v12, v16, s79
	s_or_b32 s77, vcc_lo, s77
	s_and_not1_b32 s13, s78, exec_lo
	s_and_b32 s14, s79, exec_lo
	s_delay_alu instid0(SALU_CYCLE_1)
	s_or_b32 s78, s13, s14
	s_wait_xcnt 0x0
	s_and_not1_b32 exec_lo, exec_lo, s77
	s_cbranch_execz .LBB12_2868
.LBB12_2845:                            ;   Parent Loop BB12_47 Depth=1
                                        ;     Parent Loop BB12_1372 Depth=2
                                        ;       Parent Loop BB12_1375 Depth=3
                                        ; =>      This Loop Header: Depth=4
                                        ;           Child Loop BB12_2846 Depth 5
                                        ;           Child Loop BB12_2859 Depth 5
	s_add_co_i32 s13, s33, 0xc0
	s_mov_b64 s[40:41], 0
	s_mov_b32 s88, s13
	s_mov_b32 s89, -1
.LBB12_2846:                            ;   Parent Loop BB12_47 Depth=1
                                        ;     Parent Loop BB12_1372 Depth=2
                                        ;       Parent Loop BB12_1375 Depth=3
                                        ;         Parent Loop BB12_2845 Depth=4
                                        ; =>        This Inner Loop Header: Depth=5
	s_cmp_eq_u32 s40, 1
	s_cselect_b32 vcc_lo, -1, 0
	s_cmp_eq_u32 s40, 0
	v_dual_cndmask_b32 v7, v13, v11 :: v_dual_cndmask_b32 v6, v12, v10
	s_cselect_b32 s13, -1, 0
	s_and_b32 s14, exec_lo, s89
	s_mov_b64 s[40:41], 1
	s_mov_b32 s89, 0
	flat_load_u16 v1, v[6:7] th:TH_LOAD_NT
	s_wait_xcnt 0x0
	v_add_nc_u64_e32 v[6:7], 64, v[6:7]
	s_delay_alu instid0(VALU_DEP_1)
	v_dual_cndmask_b32 v11, v11, v7 :: v_dual_cndmask_b32 v10, v10, v6
	v_dual_cndmask_b32 v13, v13, v7, s13 :: v_dual_cndmask_b32 v12, v12, v6, s13
	s_add_co_i32 s13, s33, 0xe0
	s_mov_b32 vcc_lo, s14
	s_wait_loadcnt_dscnt 0x0
	scratch_store_b16 off, v1, s88
	s_wait_xcnt 0x0
	s_mov_b32 s88, s13
	s_cbranch_vccnz .LBB12_2846
; %bb.2847:                             ;   in Loop: Header=BB12_2845 Depth=4
	s_and_saveexec_b32 s13, s79
	s_cbranch_execz .LBB12_2857
; %bb.2848:                             ;   in Loop: Header=BB12_2845 Depth=4
	s_trap 2
	scratch_load_u16 v1, off, s33 offset:188
	ds_load_b32 v5, v0
	s_wait_dscnt 0x0
	v_lshlrev_b32_e32 v5, 16, v5
	s_wait_loadcnt 0x0
	v_lshlrev_b32_e32 v1, 16, v1
	s_delay_alu instid0(VALU_DEP_1) | instskip(NEXT) | instid1(VALU_DEP_1)
	v_mul_f32_e32 v1, v5, v1
	v_and_b32_e32 v5, 0x7f800000, v1
	s_delay_alu instid0(VALU_DEP_1) | instskip(SKIP_2) | instid1(SALU_CYCLE_1)
	v_cmp_ne_u32_e32 vcc_lo, 0x7f800000, v5
                                        ; implicit-def: $vgpr5
	s_wait_xcnt 0x0
	s_and_saveexec_b32 s14, vcc_lo
	s_xor_b32 s14, exec_lo, s14
; %bb.2849:                             ;   in Loop: Header=BB12_2845 Depth=4
	v_bfe_u32 v5, v1, 16, 1
	s_delay_alu instid0(VALU_DEP_1)
	v_add3_u32 v5, v1, v5, 0x7fff
                                        ; implicit-def: $vgpr1
; %bb.2850:                             ;   in Loop: Header=BB12_2845 Depth=4
	s_and_not1_saveexec_b32 s14, s14
; %bb.2851:                             ;   in Loop: Header=BB12_2845 Depth=4
	v_and_b32_e32 v5, 0xffff, v1
	v_or_b32_e32 v6, 0x10000, v1
	s_delay_alu instid0(VALU_DEP_2) | instskip(NEXT) | instid1(VALU_DEP_2)
	v_cmp_eq_u32_e32 vcc_lo, 0, v5
	v_cndmask_b32_e32 v5, v6, v1, vcc_lo
; %bb.2852:                             ;   in Loop: Header=BB12_2845 Depth=4
	s_or_b32 exec_lo, exec_lo, s14
	scratch_load_u16 v1, off, s33 offset:190
	v_and_b32_e32 v5, 0xffff0000, v5
	s_wait_loadcnt 0x0
	v_lshlrev_b32_e32 v1, 16, v1
	s_delay_alu instid0(VALU_DEP_1) | instskip(NEXT) | instid1(VALU_DEP_1)
	v_add_f32_e32 v1, v5, v1
	v_and_b32_e32 v5, 0x7f800000, v1
	s_delay_alu instid0(VALU_DEP_1) | instskip(SKIP_2) | instid1(SALU_CYCLE_1)
	v_cmp_ne_u32_e32 vcc_lo, 0x7f800000, v5
                                        ; implicit-def: $vgpr5
	s_wait_xcnt 0x0
	s_and_saveexec_b32 s14, vcc_lo
	s_xor_b32 s14, exec_lo, s14
; %bb.2853:                             ;   in Loop: Header=BB12_2845 Depth=4
	v_bfe_u32 v5, v1, 16, 1
	s_delay_alu instid0(VALU_DEP_1)
	v_add3_u32 v5, v1, v5, 0x7fff
                                        ; implicit-def: $vgpr1
; %bb.2854:                             ;   in Loop: Header=BB12_2845 Depth=4
	s_and_not1_saveexec_b32 s14, s14
; %bb.2855:                             ;   in Loop: Header=BB12_2845 Depth=4
	v_and_b32_e32 v5, 0xffff, v1
	v_or_b32_e32 v6, 0x10000, v1
	s_delay_alu instid0(VALU_DEP_2) | instskip(NEXT) | instid1(VALU_DEP_2)
	v_cmp_eq_u32_e32 vcc_lo, 0, v5
	v_cndmask_b32_e32 v5, v6, v1, vcc_lo
; %bb.2856:                             ;   in Loop: Header=BB12_2845 Depth=4
	s_or_b32 exec_lo, exec_lo, s14
	v_add_nc_u64_e32 v[6:7], 64, v[104:105]
	s_delay_alu instid0(VALU_DEP_2)
	v_lshrrev_b32_e32 v1, 16, v5
	flat_store_b16 v[8:9], v1 th:TH_STORE_NT
	s_wait_xcnt 0x0
	v_add_nc_u64_e32 v[8:9], v[8:9], v[6:7]
	scratch_store_b16 off, v1, s33 offset:188
.LBB12_2857:                            ;   in Loop: Header=BB12_2845 Depth=4
	s_wait_xcnt 0x0
	s_or_b32 exec_lo, exec_lo, s13
	v_sub_nc_u32_e32 v0, v0, v111
	v_add_nc_u64_e32 v[12:13], v[12:13], v[104:105]
	v_add_nc_u64_e32 v[10:11], v[10:11], v[104:105]
	s_delay_alu instid0(VALU_DEP_3)
	v_cmp_lt_i32_e64 s79, 1, v0
	s_and_saveexec_b32 s88, s79
	s_cbranch_execz .LBB12_2860
; %bb.2858:                             ;   in Loop: Header=BB12_2845 Depth=4
	s_add_co_i32 s13, s33, 0xbc
	s_mov_b64 s[40:41], 0
	s_mov_b32 s89, s13
	s_mov_b32 s90, -1
.LBB12_2859:                            ;   Parent Loop BB12_47 Depth=1
                                        ;     Parent Loop BB12_1372 Depth=2
                                        ;       Parent Loop BB12_1375 Depth=3
                                        ;         Parent Loop BB12_2845 Depth=4
                                        ; =>        This Inner Loop Header: Depth=5
	s_cmp_eq_u32 s40, 1
	s_cselect_b32 vcc_lo, -1, 0
	s_cmp_eq_u32 s40, 0
	v_dual_cndmask_b32 v7, v13, v11 :: v_dual_cndmask_b32 v6, v12, v10
	s_cselect_b32 s13, -1, 0
	s_and_b32 s14, exec_lo, s90
	s_mov_b64 s[40:41], 1
	s_mov_b32 s90, 0
	flat_load_u16 v1, v[6:7] th:TH_LOAD_NT
	s_wait_xcnt 0x0
	v_add_nc_u64_e32 v[6:7], 64, v[6:7]
	s_delay_alu instid0(VALU_DEP_1)
	v_dual_cndmask_b32 v13, v13, v7, s13 :: v_dual_cndmask_b32 v12, v12, v6, s13
	v_dual_cndmask_b32 v11, v11, v7 :: v_dual_cndmask_b32 v10, v10, v6
	s_add_co_i32 s13, s33, 0xbe
	s_mov_b32 vcc_lo, s14
	s_wait_loadcnt_dscnt 0x0
	scratch_store_b16 off, v1, s89
	s_wait_xcnt 0x0
	s_mov_b32 s89, s13
	s_cbranch_vccnz .LBB12_2859
.LBB12_2860:                            ;   in Loop: Header=BB12_2845 Depth=4
	s_or_b32 exec_lo, exec_lo, s88
	s_trap 2
	scratch_load_u16 v1, off, s33 offset:192
	ds_load_b32 v5, v0
	s_wait_dscnt 0x0
	v_lshlrev_b32_e32 v5, 16, v5
	s_wait_loadcnt 0x0
	v_lshlrev_b32_e32 v1, 16, v1
	s_delay_alu instid0(VALU_DEP_1) | instskip(NEXT) | instid1(VALU_DEP_1)
	v_mul_f32_e32 v1, v5, v1
	v_and_b32_e32 v5, 0x7f800000, v1
	s_delay_alu instid0(VALU_DEP_1) | instskip(SKIP_2) | instid1(SALU_CYCLE_1)
	v_cmp_ne_u32_e32 vcc_lo, 0x7f800000, v5
                                        ; implicit-def: $vgpr5
	s_wait_xcnt 0x0
	s_and_saveexec_b32 s13, vcc_lo
	s_xor_b32 s13, exec_lo, s13
; %bb.2861:                             ;   in Loop: Header=BB12_2845 Depth=4
	v_bfe_u32 v5, v1, 16, 1
	s_delay_alu instid0(VALU_DEP_1)
	v_add3_u32 v5, v1, v5, 0x7fff
                                        ; implicit-def: $vgpr1
; %bb.2862:                             ;   in Loop: Header=BB12_2845 Depth=4
	s_and_not1_saveexec_b32 s13, s13
; %bb.2863:                             ;   in Loop: Header=BB12_2845 Depth=4
	v_and_b32_e32 v5, 0xffff, v1
	v_or_b32_e32 v6, 0x10000, v1
	s_delay_alu instid0(VALU_DEP_2) | instskip(NEXT) | instid1(VALU_DEP_2)
	v_cmp_eq_u32_e32 vcc_lo, 0, v5
	v_cndmask_b32_e32 v5, v6, v1, vcc_lo
; %bb.2864:                             ;   in Loop: Header=BB12_2845 Depth=4
	s_or_b32 exec_lo, exec_lo, s13
	scratch_load_u16 v1, off, s33 offset:224
	v_and_b32_e32 v5, 0xffff0000, v5
	s_wait_loadcnt 0x0
	v_lshlrev_b32_e32 v1, 16, v1
	s_delay_alu instid0(VALU_DEP_1) | instskip(NEXT) | instid1(VALU_DEP_1)
	v_add_f32_e32 v5, v5, v1
	v_and_b32_e32 v1, 0x7f800000, v5
	s_delay_alu instid0(VALU_DEP_1) | instskip(SKIP_2) | instid1(SALU_CYCLE_1)
	v_cmp_ne_u32_e32 vcc_lo, 0x7f800000, v1
                                        ; implicit-def: $vgpr1
	s_wait_xcnt 0x0
	s_and_saveexec_b32 s13, vcc_lo
	s_xor_b32 s13, exec_lo, s13
; %bb.2865:                             ;   in Loop: Header=BB12_2845 Depth=4
	v_bfe_u32 v1, v5, 16, 1
	s_delay_alu instid0(VALU_DEP_1)
	v_add3_u32 v1, v5, v1, 0x7fff
                                        ; implicit-def: $vgpr5
; %bb.2866:                             ;   in Loop: Header=BB12_2845 Depth=4
	s_and_not1_saveexec_b32 s13, s13
	s_cbranch_execz .LBB12_2844
; %bb.2867:                             ;   in Loop: Header=BB12_2845 Depth=4
	v_and_b32_e32 v1, 0xffff, v5
	v_or_b32_e32 v6, 0x10000, v5
	s_delay_alu instid0(VALU_DEP_2) | instskip(NEXT) | instid1(VALU_DEP_2)
	v_cmp_eq_u32_e32 vcc_lo, 0, v1
	v_cndmask_b32_e32 v1, v6, v5, vcc_lo
	s_branch .LBB12_2844
.LBB12_2868:                            ;   in Loop: Header=BB12_1375 Depth=3
	s_or_b32 exec_lo, exec_lo, s77
	s_delay_alu instid0(SALU_CYCLE_1)
	s_and_b32 exec_lo, exec_lo, s78
	s_cbranch_execz .LBB12_2878
; %bb.2869:                             ;   in Loop: Header=BB12_1375 Depth=3
	s_trap 2
	scratch_load_u16 v0, off, s33 offset:188
	s_wait_loadcnt 0x0
	ds_load_b32 v1, v0
	s_wait_dscnt 0x0
	v_dual_lshlrev_b32 v0, 16, v0 :: v_dual_lshlrev_b32 v1, 16, v1
	s_delay_alu instid0(VALU_DEP_1) | instskip(NEXT) | instid1(VALU_DEP_1)
	v_mul_f32_e32 v0, v1, v0
	v_and_b32_e32 v1, 0x7f800000, v0
	s_delay_alu instid0(VALU_DEP_1) | instskip(SKIP_2) | instid1(SALU_CYCLE_1)
	v_cmp_ne_u32_e32 vcc_lo, 0x7f800000, v1
                                        ; implicit-def: $vgpr1
	s_wait_xcnt 0x0
	s_and_saveexec_b32 s13, vcc_lo
	s_xor_b32 s13, exec_lo, s13
; %bb.2870:                             ;   in Loop: Header=BB12_1375 Depth=3
	v_bfe_u32 v1, v0, 16, 1
	s_delay_alu instid0(VALU_DEP_1)
	v_add3_u32 v1, v0, v1, 0x7fff
                                        ; implicit-def: $vgpr0
; %bb.2871:                             ;   in Loop: Header=BB12_1375 Depth=3
	s_and_not1_saveexec_b32 s13, s13
; %bb.2872:                             ;   in Loop: Header=BB12_1375 Depth=3
	v_and_b32_e32 v1, 0xffff, v0
	v_or_b32_e32 v5, 0x10000, v0
	s_delay_alu instid0(VALU_DEP_2) | instskip(NEXT) | instid1(VALU_DEP_2)
	v_cmp_eq_u32_e32 vcc_lo, 0, v1
	v_cndmask_b32_e32 v1, v5, v0, vcc_lo
; %bb.2873:                             ;   in Loop: Header=BB12_1375 Depth=3
	s_or_b32 exec_lo, exec_lo, s13
	scratch_load_u16 v0, off, s33 offset:190
	v_and_b32_e32 v1, 0xffff0000, v1
	s_wait_loadcnt 0x0
	v_lshlrev_b32_e32 v0, 16, v0
	s_delay_alu instid0(VALU_DEP_1) | instskip(NEXT) | instid1(VALU_DEP_1)
	v_add_f32_e32 v0, v1, v0
	v_and_b32_e32 v1, 0x7f800000, v0
	s_delay_alu instid0(VALU_DEP_1) | instskip(SKIP_2) | instid1(SALU_CYCLE_1)
	v_cmp_ne_u32_e32 vcc_lo, 0x7f800000, v1
                                        ; implicit-def: $vgpr1
	s_wait_xcnt 0x0
	s_and_saveexec_b32 s13, vcc_lo
	s_xor_b32 s13, exec_lo, s13
; %bb.2874:                             ;   in Loop: Header=BB12_1375 Depth=3
	v_bfe_u32 v1, v0, 16, 1
	s_delay_alu instid0(VALU_DEP_1)
	v_add3_u32 v1, v0, v1, 0x7fff
                                        ; implicit-def: $vgpr0
; %bb.2875:                             ;   in Loop: Header=BB12_1375 Depth=3
	s_and_not1_saveexec_b32 s13, s13
; %bb.2876:                             ;   in Loop: Header=BB12_1375 Depth=3
	v_and_b32_e32 v1, 0xffff, v0
	v_or_b32_e32 v5, 0x10000, v0
	s_delay_alu instid0(VALU_DEP_2) | instskip(NEXT) | instid1(VALU_DEP_2)
	v_cmp_eq_u32_e32 vcc_lo, 0, v1
	v_cndmask_b32_e32 v1, v5, v0, vcc_lo
; %bb.2877:                             ;   in Loop: Header=BB12_1375 Depth=3
	s_or_b32 exec_lo, exec_lo, s13
	flat_store_d16_hi_b16 v[8:9], v1 th:TH_STORE_NT
.LBB12_2878:                            ;   in Loop: Header=BB12_1375 Depth=3
	s_wait_xcnt 0x0
	s_or_b32 exec_lo, exec_lo, s15
	v_cmp_lt_i32_e64 s13, 0, v2
	s_and_saveexec_b32 s14, s2
	s_cbranch_execz .LBB12_1450
.LBB12_2879:                            ;   in Loop: Header=BB12_1375 Depth=3
	s_and_saveexec_b32 s15, s3
	s_delay_alu instid0(SALU_CYCLE_1)
	s_xor_b32 s15, exec_lo, s15
	s_cbranch_execz .LBB12_2894
; %bb.2880:                             ;   in Loop: Header=BB12_1375 Depth=3
	s_and_saveexec_b32 s40, s6
	s_cbranch_execz .LBB12_2893
; %bb.2881:                             ;   in Loop: Header=BB12_1375 Depth=3
	s_mov_b32 s77, exec_lo
	s_mov_b32 s41, exec_lo
	s_wait_loadcnt 0x1
	v_mbcnt_lo_u32_b32 v0, s77, 0
	global_wb scope:SCOPE_DEV
	s_wait_storecnt 0x0
	s_wait_loadcnt_dscnt 0x0
	global_inv scope:SCOPE_DEV
	v_cmpx_eq_u32_e32 0, v0
	s_cbranch_execz .LBB12_2883
; %bb.2882:                             ;   in Loop: Header=BB12_1375 Depth=3
	s_bcnt1_i32_b32 s77, s77
	s_delay_alu instid0(SALU_CYCLE_1)
	v_mov_b32_e32 v2, s77
	s_wait_loadcnt 0x0
	ds_add_u64 v0, v[2:3]
	s_trap 2
.LBB12_2883:                            ;   in Loop: Header=BB12_1375 Depth=3
	s_or_b32 exec_lo, exec_lo, s41
	s_trap 2
	ds_load_b64 v[0:1], v0
	s_wait_dscnt 0x0
	v_add_nc_u64_e32 v[56:57], v[56:57], v[60:61]
	s_mov_b32 s41, exec_lo
	s_delay_alu instid0(VALU_DEP_1)
	v_cmpx_lt_u64_e64 v[0:1], v[56:57]
	s_cbranch_execz .LBB12_2892
; %bb.2884:                             ;   in Loop: Header=BB12_1375 Depth=3
	s_mov_b32 s77, 0
	s_mov_b32 s88, 0
                                        ; implicit-def: $sgpr78
                                        ; implicit-def: $sgpr79
	s_branch .LBB12_2886
.LBB12_2885:                            ;   in Loop: Header=BB12_2886 Depth=4
	s_or_b32 exec_lo, exec_lo, s90
	s_delay_alu instid0(SALU_CYCLE_1) | instskip(NEXT) | instid1(SALU_CYCLE_1)
	s_and_b32 s89, exec_lo, s91
	s_or_b32 s77, s89, s77
	s_and_not1_b32 s78, s78, exec_lo
	s_and_b32 s89, s79, exec_lo
	s_delay_alu instid0(SALU_CYCLE_1)
	s_or_b32 s78, s78, s89
	s_and_not1_b32 exec_lo, exec_lo, s77
	s_cbranch_execz .LBB12_2890
.LBB12_2886:                            ;   Parent Loop BB12_47 Depth=1
                                        ;     Parent Loop BB12_1372 Depth=2
                                        ;       Parent Loop BB12_1375 Depth=3
                                        ; =>      This Inner Loop Header: Depth=4
	s_add_co_i32 s88, s88, 1
	s_delay_alu instid0(SALU_CYCLE_1) | instskip(SKIP_1) | instid1(SALU_CYCLE_1)
	s_cmp_lg_u32 s88, 0x2710
	s_cselect_b32 s89, -1, 0
	s_and_b32 vcc_lo, exec_lo, s89
	s_cbranch_vccz .LBB12_2888
; %bb.2887:                             ;   in Loop: Header=BB12_2886 Depth=4
	s_mov_b32 s91, -1
	s_or_b32 s79, s79, exec_lo
	s_and_saveexec_b32 s90, s89
	s_cbranch_execz .LBB12_2885
	s_branch .LBB12_2889
.LBB12_2888:                            ;   in Loop: Header=BB12_2886 Depth=4
	s_trap 2
	ds_load_b64 v[0:1], v0
	s_and_not1_b32 s89, s89, exec_lo
	s_mov_b32 s88, 0
	s_wait_loadcnt_dscnt 0x0
	flat_load_b32 v0, v[0:1] scope:SCOPE_SYS
	s_wait_loadcnt_dscnt 0x0
	global_inv scope:SCOPE_SYS
	v_cmp_eq_u32_e32 vcc_lo, 0, v0
	s_and_b32 s90, vcc_lo, exec_lo
	s_delay_alu instid0(SALU_CYCLE_1)
	s_or_b32 s89, s89, s90
	s_mov_b32 s91, -1
	s_or_b32 s79, s79, exec_lo
	s_wait_xcnt 0x0
	s_and_saveexec_b32 s90, s89
	s_cbranch_execz .LBB12_2885
.LBB12_2889:                            ;   in Loop: Header=BB12_2886 Depth=4
	s_sleep 1
	s_trap 2
	ds_load_b64 v[0:1], v0
	s_wait_dscnt 0x0
	s_and_not1_b32 s79, s79, exec_lo
	v_cmp_ge_u64_e32 vcc_lo, v[0:1], v[56:57]
	s_or_not1_b32 s91, vcc_lo, exec_lo
	s_branch .LBB12_2885
.LBB12_2890:                            ;   in Loop: Header=BB12_1375 Depth=3
	s_or_b32 exec_lo, exec_lo, s77
	s_and_saveexec_b32 s77, s78
	s_delay_alu instid0(SALU_CYCLE_1)
	s_xor_b32 s77, exec_lo, s77
	s_cbranch_execz .LBB12_2892
; %bb.2891:                             ;   in Loop: Header=BB12_1375 Depth=3
	v_mov_b32_e32 v0, 1
	ds_store_b32 v0, v0
	s_trap 2
.LBB12_2892:                            ;   in Loop: Header=BB12_1375 Depth=3
	s_or_b32 exec_lo, exec_lo, s41
	;;#ASMSTART
	s_wakeup
	;;#ASMEND
.LBB12_2893:                            ;   in Loop: Header=BB12_1375 Depth=3
	s_or_b32 exec_lo, exec_lo, s40
.LBB12_2894:                            ;   in Loop: Header=BB12_1375 Depth=3
	s_and_not1_saveexec_b32 s15, s15
	s_cbranch_execz .LBB12_2896
; %bb.2895:                             ;   in Loop: Header=BB12_1375 Depth=3
	global_wb scope:SCOPE_DEV
	s_wait_storecnt 0x0
	s_wait_loadcnt_dscnt 0x0
	global_inv scope:SCOPE_DEV
	s_barrier_signal -1
	s_barrier_wait -1
.LBB12_2896:                            ;   in Loop: Header=BB12_1375 Depth=3
	s_or_b32 exec_lo, exec_lo, s15
	s_delay_alu instid0(SALU_CYCLE_1) | instskip(SKIP_1) | instid1(SALU_CYCLE_1)
	s_or_b32 exec_lo, exec_lo, s14
                                        ; implicit-def: $vgpr0
	s_and_saveexec_b32 s14, s12
	s_xor_b32 s14, exec_lo, s14
	s_cbranch_execnz .LBB12_1451
.LBB12_2897:                            ;   in Loop: Header=BB12_1375 Depth=3
	s_and_not1_saveexec_b32 s13, s14
	s_cbranch_execz .LBB12_2916
.LBB12_2898:                            ;   in Loop: Header=BB12_1375 Depth=3
	s_and_saveexec_b32 s14, s3
	s_delay_alu instid0(SALU_CYCLE_1)
	s_xor_b32 s14, exec_lo, s14
	s_cbranch_execz .LBB12_2913
; %bb.2899:                             ;   in Loop: Header=BB12_1375 Depth=3
	s_and_saveexec_b32 s15, s6
	s_cbranch_execz .LBB12_2912
; %bb.2900:                             ;   in Loop: Header=BB12_1375 Depth=3
	s_mov_b32 s41, exec_lo
	s_mov_b32 s40, exec_lo
	s_wait_loadcnt 0x1
	v_mbcnt_lo_u32_b32 v0, s41, 0
	;;#ASMSTART
	s_waitcnt lgkmcnt(0) vmcnt(0)
	;;#ASMEND
	s_delay_alu instid0(VALU_DEP_1)
	v_cmpx_eq_u32_e32 0, v0
	s_cbranch_execz .LBB12_2902
; %bb.2901:                             ;   in Loop: Header=BB12_1375 Depth=3
	s_bcnt1_i32_b32 s41, s41
	s_delay_alu instid0(SALU_CYCLE_1)
	v_mov_b32_e32 v2, s41
	s_wait_storecnt 0x0
	s_wait_loadcnt_dscnt 0x0
	ds_add_u64 v0, v[2:3]
	s_trap 2
.LBB12_2902:                            ;   in Loop: Header=BB12_1375 Depth=3
	s_or_b32 exec_lo, exec_lo, s40
	s_trap 2
	ds_load_b64 v[0:1], v0
	s_wait_dscnt 0x0
	v_add_nc_u64_e32 v[56:57], v[56:57], v[60:61]
	s_mov_b32 s40, exec_lo
	s_delay_alu instid0(VALU_DEP_1)
	v_cmpx_lt_u64_e64 v[0:1], v[56:57]
	s_cbranch_execz .LBB12_2911
; %bb.2903:                             ;   in Loop: Header=BB12_1375 Depth=3
	s_mov_b32 s41, 0
	s_mov_b32 s79, 0
                                        ; implicit-def: $sgpr77
                                        ; implicit-def: $sgpr78
	s_branch .LBB12_2905
.LBB12_2904:                            ;   in Loop: Header=BB12_2905 Depth=4
	s_or_b32 exec_lo, exec_lo, s89
	s_delay_alu instid0(SALU_CYCLE_1) | instskip(NEXT) | instid1(SALU_CYCLE_1)
	s_and_b32 s88, exec_lo, s90
	s_or_b32 s41, s88, s41
	s_and_not1_b32 s77, s77, exec_lo
	s_and_b32 s88, s78, exec_lo
	s_delay_alu instid0(SALU_CYCLE_1)
	s_or_b32 s77, s77, s88
	s_and_not1_b32 exec_lo, exec_lo, s41
	s_cbranch_execz .LBB12_2909
.LBB12_2905:                            ;   Parent Loop BB12_47 Depth=1
                                        ;     Parent Loop BB12_1372 Depth=2
                                        ;       Parent Loop BB12_1375 Depth=3
                                        ; =>      This Inner Loop Header: Depth=4
	s_add_co_i32 s79, s79, 1
	s_delay_alu instid0(SALU_CYCLE_1) | instskip(SKIP_1) | instid1(SALU_CYCLE_1)
	s_cmp_lg_u32 s79, 0x2710
	s_cselect_b32 s88, -1, 0
	s_and_b32 vcc_lo, exec_lo, s88
	s_cbranch_vccz .LBB12_2907
; %bb.2906:                             ;   in Loop: Header=BB12_2905 Depth=4
	s_mov_b32 s90, -1
	s_or_b32 s78, s78, exec_lo
	s_and_saveexec_b32 s89, s88
	s_cbranch_execz .LBB12_2904
	s_branch .LBB12_2908
.LBB12_2907:                            ;   in Loop: Header=BB12_2905 Depth=4
	s_trap 2
	ds_load_b64 v[0:1], v0
	s_and_not1_b32 s88, s88, exec_lo
	s_mov_b32 s79, 0
	s_wait_storecnt 0x0
	s_wait_loadcnt_dscnt 0x0
	flat_load_b32 v0, v[0:1] scope:SCOPE_SYS
	s_wait_loadcnt_dscnt 0x0
	global_inv scope:SCOPE_SYS
	v_cmp_eq_u32_e32 vcc_lo, 0, v0
	s_and_b32 s89, vcc_lo, exec_lo
	s_delay_alu instid0(SALU_CYCLE_1)
	s_or_b32 s88, s88, s89
	s_mov_b32 s90, -1
	s_or_b32 s78, s78, exec_lo
	s_wait_xcnt 0x0
	s_and_saveexec_b32 s89, s88
	s_cbranch_execz .LBB12_2904
.LBB12_2908:                            ;   in Loop: Header=BB12_2905 Depth=4
	s_sleep 1
	s_trap 2
	ds_load_b64 v[0:1], v0
	s_wait_dscnt 0x0
	s_and_not1_b32 s78, s78, exec_lo
	v_cmp_ge_u64_e32 vcc_lo, v[0:1], v[56:57]
	s_or_not1_b32 s90, vcc_lo, exec_lo
	s_branch .LBB12_2904
.LBB12_2909:                            ;   in Loop: Header=BB12_1375 Depth=3
	s_or_b32 exec_lo, exec_lo, s41
	s_and_saveexec_b32 s41, s77
	s_delay_alu instid0(SALU_CYCLE_1)
	s_xor_b32 s41, exec_lo, s41
	s_cbranch_execz .LBB12_2911
; %bb.2910:                             ;   in Loop: Header=BB12_1375 Depth=3
	v_mov_b32_e32 v0, 1
	ds_store_b32 v0, v0
	s_trap 2
.LBB12_2911:                            ;   in Loop: Header=BB12_1375 Depth=3
	s_or_b32 exec_lo, exec_lo, s40
	;;#ASMSTART
	s_wakeup
	;;#ASMEND
.LBB12_2912:                            ;   in Loop: Header=BB12_1375 Depth=3
	s_or_b32 exec_lo, exec_lo, s15
.LBB12_2913:                            ;   in Loop: Header=BB12_1375 Depth=3
	s_and_not1_saveexec_b32 s14, s14
	s_cbranch_execz .LBB12_2915
; %bb.2914:                             ;   in Loop: Header=BB12_1375 Depth=3
	;;#ASMSTART
	s_waitcnt lgkmcnt(0) vmcnt(0)
	;;#ASMEND
	s_barrier_signal -1
	s_barrier_wait -1
.LBB12_2915:                            ;   in Loop: Header=BB12_1375 Depth=3
	s_or_b32 exec_lo, exec_lo, s14
	s_wait_loadcnt 0x1
	v_and_b32_e32 v0, 16, v126
.LBB12_2916:                            ;   in Loop: Header=BB12_1375 Depth=3
	s_or_b32 exec_lo, exec_lo, s13
	s_wait_loadcnt 0x1
	s_delay_alu instid0(VALU_DEP_1) | instskip(SKIP_1) | instid1(SALU_CYCLE_1)
	v_cmp_ne_u32_e32 vcc_lo, 0, v0
	s_xor_b32 s13, s4, -1
	s_and_b32 s14, vcc_lo, s13
	s_delay_alu instid0(SALU_CYCLE_1)
	s_and_saveexec_b32 s13, s14
	s_cbranch_execz .LBB12_2918
; %bb.2917:                             ;   in Loop: Header=BB12_1375 Depth=3
	scratch_load_b64 v[0:1], off, s33 offset:304 ; 8-byte Folded Reload
	v_mov_b32_e32 v2, 1
	global_wb scope:SCOPE_SYS
	s_wait_storecnt 0x0
	s_wait_xcnt 0x0
	s_wait_loadcnt_dscnt 0x0
	flat_store_b32 v[0:1], v2 scope:SCOPE_SYS
.LBB12_2918:                            ;   in Loop: Header=BB12_1375 Depth=3
	s_wait_xcnt 0x0
	s_or_b32 exec_lo, exec_lo, s13
	v_and_b32_e32 v0, 48, v126
	s_mov_b32 s13, exec_lo
	s_delay_alu instid0(VALU_DEP_1)
	v_cmpx_ne_u32_e32 0, v0
	s_cbranch_execz .LBB12_1374
; %bb.2919:                             ;   in Loop: Header=BB12_1375 Depth=3
	v_add_nc_u64_e32 v[116:117], 2, v[116:117]
	global_wb scope:SCOPE_SYS
	s_wait_storecnt 0x0
	s_wait_loadcnt_dscnt 0x0
	flat_store_b64 v[40:41], v[116:117] scope:SCOPE_SYS
	s_branch .LBB12_1374
.LBB12_2920:                            ;   in Loop: Header=BB12_1372 Depth=2
	s_or_b32 exec_lo, exec_lo, s74
.LBB12_2921:                            ;   in Loop: Header=BB12_1372 Depth=2
	s_delay_alu instid0(SALU_CYCLE_1) | instskip(NEXT) | instid1(SALU_CYCLE_1)
	s_or_b32 exec_lo, exec_lo, s27
	s_mov_b32 s14, exec_lo
	v_cmpx_gt_i32_e32 2, v0
	s_cbranch_execz .LBB12_1371
; %bb.2922:                             ;   in Loop: Header=BB12_1372 Depth=2
	v_cmp_eq_u32_e64 s27, 0, v0
	s_mov_b32 s15, 0
	s_branch .LBB12_2924
.LBB12_2923:                            ;   in Loop: Header=BB12_2924 Depth=3
	s_wait_xcnt 0x0
	s_or_b32 exec_lo, exec_lo, s13
	v_add_nc_u32_e32 v28, v4, v28
	s_mov_b32 s27, 0
	s_and_not1_b32 exec_lo, exec_lo, s15
	s_cbranch_execz .LBB12_1370
.LBB12_2924:                            ;   Parent Loop BB12_47 Depth=1
                                        ;     Parent Loop BB12_1372 Depth=2
                                        ; =>    This Loop Header: Depth=3
                                        ;         Child Loop BB12_2930 Depth 4
                                        ;         Child Loop BB12_2958 Depth 4
	;; [unrolled: 1-line block ×3, first 2 shown]
	s_delay_alu instid0(VALU_DEP_1) | instskip(SKIP_1) | instid1(VALU_DEP_1)
	v_dual_sub_nc_u32 v0, v91, v28 :: v_dual_bitop2_b32 v1, 12, v126 bitop3:0x40
	s_mov_b32 s40, exec_lo
	v_min_i32_e32 v4, v4, v0
	s_delay_alu instid0(VALU_DEP_2)
	v_cmpx_ne_u32_e32 0, v1
	s_cbranch_execz .LBB12_2950
; %bb.2925:                             ;   in Loop: Header=BB12_2924 Depth=3
	v_and_b32_e32 v2, 8, v126
	v_add_nc_u64_e32 v[8:9], 2, v[116:117]
	s_mov_b32 s41, exec_lo
	s_wait_dscnt 0x1
	s_delay_alu instid0(VALU_DEP_2) | instskip(NEXT) | instid1(VALU_DEP_1)
	v_add_nc_u64_e32 v[0:1], v[58:59], v[2:3]
	v_cmpx_lt_u64_e64 v[0:1], v[8:9]
	s_cbranch_execz .LBB12_2937
; %bb.2926:                             ;   in Loop: Header=BB12_2924 Depth=3
	v_and_b32_e32 v0, 64, v126
	s_mov_b32 s74, 0
	s_mov_b32 s78, 0
                                        ; implicit-def: $sgpr75
                                        ; implicit-def: $sgpr76
                                        ; implicit-def: $sgpr77
	s_delay_alu instid0(VALU_DEP_1)
	v_cmp_eq_u32_e32 vcc_lo, 0, v0
	s_branch .LBB12_2930
.LBB12_2927:                            ;   in Loop: Header=BB12_2930 Depth=4
	s_wait_loadcnt_dscnt 0x0
	v_add_nc_u64_e32 v[6:7], v[58:59], v[2:3]
	s_or_b32 s89, s89, exec_lo
	s_delay_alu instid0(VALU_DEP_1)
	v_cmp_ge_u64_e64 s13, v[6:7], v[8:9]
	s_or_not1_b32 s88, s13, exec_lo
.LBB12_2928:                            ;   in Loop: Header=BB12_2930 Depth=4
	s_or_b32 exec_lo, exec_lo, s91
	s_delay_alu instid0(SALU_CYCLE_1)
	s_and_not1_b32 s13, s77, exec_lo
	s_and_b32 s77, s89, exec_lo
	s_and_not1_b32 s76, s76, exec_lo
	s_and_b32 s88, s88, exec_lo
	s_or_b32 s77, s13, s77
	s_or_b32 s76, s76, s88
.LBB12_2929:                            ;   in Loop: Header=BB12_2930 Depth=4
	s_or_b32 exec_lo, exec_lo, s79
	s_delay_alu instid0(SALU_CYCLE_1) | instskip(NEXT) | instid1(SALU_CYCLE_1)
	s_and_b32 s13, exec_lo, s76
	s_or_b32 s74, s13, s74
	s_and_not1_b32 s13, s75, exec_lo
	s_and_b32 s75, s77, exec_lo
	s_delay_alu instid0(SALU_CYCLE_1)
	s_or_b32 s75, s13, s75
	s_and_not1_b32 exec_lo, exec_lo, s74
	s_cbranch_execz .LBB12_2934
.LBB12_2930:                            ;   Parent Loop BB12_47 Depth=1
                                        ;     Parent Loop BB12_1372 Depth=2
                                        ;       Parent Loop BB12_2924 Depth=3
                                        ; =>      This Inner Loop Header: Depth=4
	s_sleep 1
	s_wait_loadcnt_dscnt 0x0
	flat_load_b64 v[58:59], v[40:41] scope:SCOPE_SYS
	s_or_b32 s77, s77, exec_lo
	s_or_b32 s76, s76, exec_lo
                                        ; implicit-def: $vgpr0
	s_wait_xcnt 0x0
	s_and_saveexec_b32 s79, vcc_lo
	s_cbranch_execz .LBB12_2929
; %bb.2931:                             ;   in Loop: Header=BB12_2930 Depth=4
	s_cmp_lt_i32 s78, 0x270f
	s_mov_b32 s88, -1
	s_cselect_b32 s90, -1, 0
	s_cmp_gt_i32 s78, 0x270e
	s_cbranch_scc0 .LBB12_2933
; %bb.2932:                             ;   in Loop: Header=BB12_2930 Depth=4
	s_trap 2
	ds_load_b64 v[0:1], v0
	s_and_not1_b32 s78, s90, exec_lo
	s_mov_b32 s89, 0
	s_wait_storecnt 0x0
	s_wait_loadcnt_dscnt 0x0
	flat_load_b32 v0, v[0:1] scope:SCOPE_SYS
	s_wait_loadcnt_dscnt 0x0
	global_inv scope:SCOPE_SYS
	v_cmp_eq_u32_e64 s13, 0, v0
	s_and_b32 s13, s13, exec_lo
	s_delay_alu instid0(SALU_CYCLE_1)
	s_or_b32 s90, s78, s13
	s_mov_b32 s78, 0
	s_wait_xcnt 0x0
	s_and_saveexec_b32 s91, s90
	s_cbranch_execz .LBB12_2928
	s_branch .LBB12_2927
.LBB12_2933:                            ;   in Loop: Header=BB12_2930 Depth=4
	s_add_co_i32 s78, s78, 1
	s_mov_b32 s89, -1
                                        ; implicit-def: $vgpr0
	s_and_saveexec_b32 s91, s90
	s_cbranch_execz .LBB12_2928
	s_branch .LBB12_2927
.LBB12_2934:                            ;   in Loop: Header=BB12_2924 Depth=3
	s_or_b32 exec_lo, exec_lo, s74
	s_xor_b32 s13, s75, -1
	s_delay_alu instid0(SALU_CYCLE_1) | instskip(NEXT) | instid1(SALU_CYCLE_1)
	s_and_saveexec_b32 s74, s13
	s_xor_b32 s13, exec_lo, s74
	s_cbranch_execz .LBB12_2936
; %bb.2935:                             ;   in Loop: Header=BB12_2924 Depth=3
	v_or_b32_e32 v126, 64, v126
	s_wait_storecnt 0x0
	s_wait_loadcnt_dscnt 0x0
	ds_store_b32 v0, v0
	s_trap 2
.LBB12_2936:                            ;   in Loop: Header=BB12_2924 Depth=3
	s_or_b32 exec_lo, exec_lo, s13
.LBB12_2937:                            ;   in Loop: Header=BB12_2924 Depth=3
	s_delay_alu instid0(SALU_CYCLE_1) | instskip(SKIP_3) | instid1(VALU_DEP_1)
	s_or_b32 exec_lo, exec_lo, s41
	v_and_b32_e32 v0, 0x108, v126
	s_mov_b32 s13, exec_lo
	;;#ASMSTART
	s_wakeup
	;;#ASMEND
                                        ; implicit-def: $vgpr10_vgpr11
	v_cmpx_ne_u32_e32 0x108, v0
	s_xor_b32 s13, exec_lo, s13
; %bb.2938:                             ;   in Loop: Header=BB12_2924 Depth=3
	v_dual_mov_b32 v11, v3 :: v_dual_bitop2_b32 v10, 7, v116 bitop3:0x40
                                        ; implicit-def: $vgpr116_vgpr117
; %bb.2939:                             ;   in Loop: Header=BB12_2924 Depth=3
	s_and_not1_saveexec_b32 s13, s13
	s_cbranch_execz .LBB12_2941
; %bb.2940:                             ;   in Loop: Header=BB12_2924 Depth=3
	scratch_load_b128 v[12:15], off, s33 offset:288 ; 16-byte Folded Reload
	v_dual_mov_b32 v11, v3 :: v_dual_bitop2_b32 v10, 7, v116 bitop3:0x40
	v_ashrrev_i32_e32 v5, 31, v4
	s_delay_alu instid0(VALU_DEP_1) | instskip(SKIP_1) | instid1(VALU_DEP_3)
	v_lshlrev_b64_e32 v[6:7], 1, v[4:5]
	s_wait_loadcnt 0x0
	v_mad_nc_u64_u32 v[0:1], v10, 24, v[12:13]
	flat_store_b64 v[0:1], v[6:7] offset:8
.LBB12_2941:                            ;   in Loop: Header=BB12_2924 Depth=3
	s_wait_xcnt 0x0
	s_or_b32 exec_lo, exec_lo, s13
	v_and_b32_e32 v0, 0x100, v126
	s_mov_b32 s13, -1
	s_mov_b32 s41, exec_lo
                                        ; implicit-def: $vgpr12_vgpr13
	s_delay_alu instid0(VALU_DEP_1)
	v_cmpx_ne_u32_e32 0, v0
	s_cbranch_execz .LBB12_2945
; %bb.2942:                             ;   in Loop: Header=BB12_2924 Depth=3
	scratch_load_b128 v[12:15], off, s33 offset:288 ; 16-byte Folded Reload
	s_mov_b32 s74, exec_lo
	s_wait_loadcnt 0x0
	v_mad_nc_u64_u32 v[14:15], v10, 24, v[12:13]
                                        ; implicit-def: $vgpr12_vgpr13
	s_delay_alu instid0(VALU_DEP_1)
	v_mad_u32 v15, v11, 24, v15
	flat_load_b32 v0, v[14:15]
	s_wait_loadcnt_dscnt 0x0
	v_cmp_ne_u32_e32 vcc_lo, 1, v0
	s_wait_xcnt 0x0
	v_cmpx_eq_u32_e32 1, v0
	s_cbranch_execz .LBB12_2944
; %bb.2943:                             ;   in Loop: Header=BB12_2924 Depth=3
	flat_load_b32 v0, v[14:15] offset:4 scope:SCOPE_SYS
	s_wait_loadcnt_dscnt 0x0
	v_ashrrev_i32_e32 v1, 31, v0
	s_delay_alu instid0(VALU_DEP_1)
	v_lshrrev_b64 v[12:13], 1, v[0:1]
.LBB12_2944:                            ;   in Loop: Header=BB12_2924 Depth=3
	s_wait_xcnt 0x0
	s_or_b32 exec_lo, exec_lo, s74
	s_delay_alu instid0(SALU_CYCLE_1)
	s_or_not1_b32 s13, vcc_lo, exec_lo
.LBB12_2945:                            ;   in Loop: Header=BB12_2924 Depth=3
	s_or_b32 exec_lo, exec_lo, s41
	s_and_saveexec_b32 s41, s13
	s_cbranch_execz .LBB12_2947
; %bb.2946:                             ;   in Loop: Header=BB12_2924 Depth=3
	scratch_load_b64 v[0:1], off, s33 offset:312 ; 8-byte Folded Reload
	s_wait_loadcnt 0x0
	v_mul_u64_e32 v[12:13], v[10:11], v[0:1]
.LBB12_2947:                            ;   in Loop: Header=BB12_2924 Depth=3
	s_wait_xcnt 0x0
	s_or_b32 exec_lo, exec_lo, s41
	v_cmp_eq_u32_e32 vcc_lo, 0, v2
	v_mov_b32_e32 v0, 0x90
	v_and_b32_e32 v5, 0x2000, v126
	s_mov_b32 s13, exec_lo
	s_delay_alu instid0(VALU_DEP_2) | instskip(SKIP_3) | instid1(VALU_DEP_1)
	v_cndmask_b32_e32 v2, 0xc8, v0, vcc_lo
	scratch_load_b64 v[0:1], off, s33 offset:280 ; 8-byte Folded Reload
	s_wait_loadcnt 0x0
	v_lshl_add_u64 v[0:1], v[12:13], 1, v[0:1]
	v_add_nc_u32_e32 v2, v0, v2
	ds_store_b64 v2, v[0:1] offset:584
	s_wait_xcnt 0x0
	v_cmpx_ne_u32_e32 0, v5
	s_cbranch_execz .LBB12_2949
; %bb.2948:                             ;   in Loop: Header=BB12_2924 Depth=3
	ds_load_b64 v[0:1], v0 offset:872
	s_wait_dscnt 0x0
	v_add_nc_u64_e32 v[0:1], 1, v[0:1]
	ds_store_b64 v0, v[0:1] offset:872
.LBB12_2949:                            ;   in Loop: Header=BB12_2924 Depth=3
	s_or_b32 exec_lo, exec_lo, s13
	v_mov_b64_e32 v[116:117], v[8:9]
.LBB12_2950:                            ;   in Loop: Header=BB12_2924 Depth=3
	s_or_b32 exec_lo, exec_lo, s40
	s_xor_b32 s13, s27, -1
	s_delay_alu instid0(SALU_CYCLE_1) | instskip(NEXT) | instid1(SALU_CYCLE_1)
	s_and_b32 s13, exec_lo, s13
	s_or_b32 s15, s13, s15
	s_and_saveexec_b32 s13, s2
	s_cbranch_execz .LBB12_2969
; %bb.2951:                             ;   in Loop: Header=BB12_2924 Depth=3
	s_and_saveexec_b32 s27, s3
	s_delay_alu instid0(SALU_CYCLE_1)
	s_xor_b32 s27, exec_lo, s27
	s_cbranch_execz .LBB12_2966
; %bb.2952:                             ;   in Loop: Header=BB12_2924 Depth=3
	s_and_saveexec_b32 s40, s6
	s_cbranch_execz .LBB12_2965
; %bb.2953:                             ;   in Loop: Header=BB12_2924 Depth=3
	s_mov_b32 s74, exec_lo
	s_mov_b32 s41, exec_lo
	v_mbcnt_lo_u32_b32 v0, s74, 0
	global_wb scope:SCOPE_DEV
	s_wait_storecnt 0x0
	s_wait_loadcnt_dscnt 0x0
	global_inv scope:SCOPE_DEV
	v_cmpx_eq_u32_e32 0, v0
	s_cbranch_execz .LBB12_2955
; %bb.2954:                             ;   in Loop: Header=BB12_2924 Depth=3
	s_bcnt1_i32_b32 s74, s74
	s_delay_alu instid0(SALU_CYCLE_1)
	v_mov_b32_e32 v2, s74
	s_wait_loadcnt 0x0
	ds_add_u64 v0, v[2:3]
	s_trap 2
.LBB12_2955:                            ;   in Loop: Header=BB12_2924 Depth=3
	s_or_b32 exec_lo, exec_lo, s41
	s_trap 2
	ds_load_b64 v[0:1], v0
	s_wait_dscnt 0x0
	v_add_nc_u64_e32 v[56:57], v[56:57], v[60:61]
	s_mov_b32 s41, exec_lo
	s_delay_alu instid0(VALU_DEP_1)
	v_cmpx_lt_u64_e64 v[0:1], v[56:57]
	s_cbranch_execz .LBB12_2964
; %bb.2956:                             ;   in Loop: Header=BB12_2924 Depth=3
	s_mov_b32 s74, 0
	s_mov_b32 s77, 0
                                        ; implicit-def: $sgpr75
                                        ; implicit-def: $sgpr76
	s_branch .LBB12_2958
.LBB12_2957:                            ;   in Loop: Header=BB12_2958 Depth=4
	s_or_b32 exec_lo, exec_lo, s79
	s_delay_alu instid0(SALU_CYCLE_1) | instskip(NEXT) | instid1(SALU_CYCLE_1)
	s_and_b32 s78, exec_lo, s88
	s_or_b32 s74, s78, s74
	s_and_not1_b32 s75, s75, exec_lo
	s_and_b32 s78, s76, exec_lo
	s_delay_alu instid0(SALU_CYCLE_1)
	s_or_b32 s75, s75, s78
	s_and_not1_b32 exec_lo, exec_lo, s74
	s_cbranch_execz .LBB12_2962
.LBB12_2958:                            ;   Parent Loop BB12_47 Depth=1
                                        ;     Parent Loop BB12_1372 Depth=2
                                        ;       Parent Loop BB12_2924 Depth=3
                                        ; =>      This Inner Loop Header: Depth=4
	s_add_co_i32 s77, s77, 1
	s_delay_alu instid0(SALU_CYCLE_1) | instskip(SKIP_1) | instid1(SALU_CYCLE_1)
	s_cmp_lg_u32 s77, 0x2710
	s_cselect_b32 s78, -1, 0
	s_and_b32 vcc_lo, exec_lo, s78
	s_cbranch_vccz .LBB12_2960
; %bb.2959:                             ;   in Loop: Header=BB12_2958 Depth=4
	s_mov_b32 s88, -1
	s_or_b32 s76, s76, exec_lo
	s_and_saveexec_b32 s79, s78
	s_cbranch_execz .LBB12_2957
	s_branch .LBB12_2961
.LBB12_2960:                            ;   in Loop: Header=BB12_2958 Depth=4
	s_trap 2
	ds_load_b64 v[0:1], v0
	s_and_not1_b32 s78, s78, exec_lo
	s_mov_b32 s77, 0
	s_wait_loadcnt_dscnt 0x0
	flat_load_b32 v0, v[0:1] scope:SCOPE_SYS
	s_wait_loadcnt_dscnt 0x0
	global_inv scope:SCOPE_SYS
	v_cmp_eq_u32_e32 vcc_lo, 0, v0
	s_and_b32 s79, vcc_lo, exec_lo
	s_delay_alu instid0(SALU_CYCLE_1)
	s_or_b32 s78, s78, s79
	s_mov_b32 s88, -1
	s_or_b32 s76, s76, exec_lo
	s_wait_xcnt 0x0
	s_and_saveexec_b32 s79, s78
	s_cbranch_execz .LBB12_2957
.LBB12_2961:                            ;   in Loop: Header=BB12_2958 Depth=4
	s_sleep 1
	s_trap 2
	ds_load_b64 v[0:1], v0
	s_wait_dscnt 0x0
	s_and_not1_b32 s76, s76, exec_lo
	v_cmp_ge_u64_e32 vcc_lo, v[0:1], v[56:57]
	s_or_not1_b32 s88, vcc_lo, exec_lo
	s_branch .LBB12_2957
.LBB12_2962:                            ;   in Loop: Header=BB12_2924 Depth=3
	s_or_b32 exec_lo, exec_lo, s74
	s_and_saveexec_b32 s74, s75
	s_delay_alu instid0(SALU_CYCLE_1)
	s_xor_b32 s74, exec_lo, s74
	s_cbranch_execz .LBB12_2964
; %bb.2963:                             ;   in Loop: Header=BB12_2924 Depth=3
	v_mov_b32_e32 v0, 1
	ds_store_b32 v0, v0
	s_trap 2
.LBB12_2964:                            ;   in Loop: Header=BB12_2924 Depth=3
	s_or_b32 exec_lo, exec_lo, s41
	;;#ASMSTART
	s_wakeup
	;;#ASMEND
.LBB12_2965:                            ;   in Loop: Header=BB12_2924 Depth=3
	s_or_b32 exec_lo, exec_lo, s40
.LBB12_2966:                            ;   in Loop: Header=BB12_2924 Depth=3
	s_and_not1_saveexec_b32 s27, s27
	s_cbranch_execz .LBB12_2968
; %bb.2967:                             ;   in Loop: Header=BB12_2924 Depth=3
	global_wb scope:SCOPE_DEV
	s_wait_storecnt 0x0
	s_wait_loadcnt_dscnt 0x0
	global_inv scope:SCOPE_DEV
	s_barrier_signal -1
	s_barrier_wait -1
.LBB12_2968:                            ;   in Loop: Header=BB12_2924 Depth=3
	s_or_b32 exec_lo, exec_lo, s27
.LBB12_2969:                            ;   in Loop: Header=BB12_2924 Depth=3
	s_delay_alu instid0(SALU_CYCLE_1) | instskip(SKIP_1) | instid1(SALU_CYCLE_1)
	s_or_b32 exec_lo, exec_lo, s13
                                        ; implicit-def: $vgpr0
	s_and_saveexec_b32 s13, s61
	s_xor_b32 s13, exec_lo, s13
	s_cbranch_execz .LBB12_2981
; %bb.2970:                             ;   in Loop: Header=BB12_2924 Depth=3
	s_and_saveexec_b32 s27, s3
	s_delay_alu instid0(SALU_CYCLE_1)
	s_xor_b32 s27, exec_lo, s27
	s_cbranch_execz .LBB12_2986
; %bb.2971:                             ;   in Loop: Header=BB12_2924 Depth=3
	s_and_saveexec_b32 s40, s6
	s_cbranch_execz .LBB12_2985
; %bb.2972:                             ;   in Loop: Header=BB12_2924 Depth=3
	s_mov_b32 s74, exec_lo
	s_mov_b32 s41, exec_lo
	v_mbcnt_lo_u32_b32 v0, s74, 0
	;;#ASMSTART
	s_waitcnt lgkmcnt(0) vmcnt(0)
	;;#ASMEND
	s_delay_alu instid0(VALU_DEP_1)
	v_cmpx_eq_u32_e32 0, v0
	s_cbranch_execz .LBB12_2974
; %bb.2973:                             ;   in Loop: Header=BB12_2924 Depth=3
	s_bcnt1_i32_b32 s74, s74
	s_delay_alu instid0(SALU_CYCLE_1)
	v_mov_b32_e32 v2, s74
	s_wait_storecnt 0x0
	s_wait_loadcnt_dscnt 0x0
	ds_add_u64 v0, v[2:3]
	s_trap 2
.LBB12_2974:                            ;   in Loop: Header=BB12_2924 Depth=3
	s_or_b32 exec_lo, exec_lo, s41
	s_trap 2
	ds_load_b64 v[0:1], v0
	s_wait_dscnt 0x0
	v_add_nc_u64_e32 v[56:57], v[56:57], v[60:61]
	s_mov_b32 s41, exec_lo
	s_delay_alu instid0(VALU_DEP_1)
	v_cmpx_lt_u64_e64 v[0:1], v[56:57]
	s_cbranch_execz .LBB12_2984
; %bb.2975:                             ;   in Loop: Header=BB12_2924 Depth=3
	s_mov_b32 s74, 0
	s_mov_b32 s77, 0
                                        ; implicit-def: $sgpr75
                                        ; implicit-def: $sgpr76
	s_branch .LBB12_2977
.LBB12_2976:                            ;   in Loop: Header=BB12_2977 Depth=4
	s_or_b32 exec_lo, exec_lo, s79
	s_delay_alu instid0(SALU_CYCLE_1) | instskip(NEXT) | instid1(SALU_CYCLE_1)
	s_and_b32 s78, exec_lo, s88
	s_or_b32 s74, s78, s74
	s_and_not1_b32 s75, s75, exec_lo
	s_and_b32 s78, s76, exec_lo
	s_delay_alu instid0(SALU_CYCLE_1)
	s_or_b32 s75, s75, s78
	s_and_not1_b32 exec_lo, exec_lo, s74
	s_cbranch_execz .LBB12_2982
.LBB12_2977:                            ;   Parent Loop BB12_47 Depth=1
                                        ;     Parent Loop BB12_1372 Depth=2
                                        ;       Parent Loop BB12_2924 Depth=3
                                        ; =>      This Inner Loop Header: Depth=4
	s_add_co_i32 s77, s77, 1
	s_delay_alu instid0(SALU_CYCLE_1) | instskip(SKIP_1) | instid1(SALU_CYCLE_1)
	s_cmp_lg_u32 s77, 0x2710
	s_cselect_b32 s78, -1, 0
	s_and_b32 vcc_lo, exec_lo, s78
	s_cbranch_vccz .LBB12_2979
; %bb.2978:                             ;   in Loop: Header=BB12_2977 Depth=4
	s_mov_b32 s88, -1
	s_or_b32 s76, s76, exec_lo
	s_and_saveexec_b32 s79, s78
	s_cbranch_execz .LBB12_2976
	s_branch .LBB12_2980
.LBB12_2979:                            ;   in Loop: Header=BB12_2977 Depth=4
	s_trap 2
	ds_load_b64 v[0:1], v0
	s_and_not1_b32 s78, s78, exec_lo
	s_mov_b32 s77, 0
	s_wait_storecnt 0x0
	s_wait_loadcnt_dscnt 0x0
	flat_load_b32 v0, v[0:1] scope:SCOPE_SYS
	s_wait_loadcnt_dscnt 0x0
	global_inv scope:SCOPE_SYS
	v_cmp_eq_u32_e32 vcc_lo, 0, v0
	s_and_b32 s79, vcc_lo, exec_lo
	s_delay_alu instid0(SALU_CYCLE_1)
	s_or_b32 s78, s78, s79
	s_mov_b32 s88, -1
	s_or_b32 s76, s76, exec_lo
	s_wait_xcnt 0x0
	s_and_saveexec_b32 s79, s78
	s_cbranch_execz .LBB12_2976
.LBB12_2980:                            ;   in Loop: Header=BB12_2977 Depth=4
	s_sleep 1
	s_trap 2
	ds_load_b64 v[0:1], v0
	s_wait_dscnt 0x0
	s_and_not1_b32 s76, s76, exec_lo
	v_cmp_ge_u64_e32 vcc_lo, v[0:1], v[56:57]
	s_or_not1_b32 s88, vcc_lo, exec_lo
	s_branch .LBB12_2976
.LBB12_2981:                            ;   in Loop: Header=BB12_2924 Depth=3
	s_and_not1_saveexec_b32 s27, s13
	s_cbranch_execnz .LBB12_2989
	s_branch .LBB12_2992
.LBB12_2982:                            ;   in Loop: Header=BB12_2924 Depth=3
	s_or_b32 exec_lo, exec_lo, s74
	s_and_saveexec_b32 s74, s75
	s_delay_alu instid0(SALU_CYCLE_1)
	s_xor_b32 s74, exec_lo, s74
	s_cbranch_execz .LBB12_2984
; %bb.2983:                             ;   in Loop: Header=BB12_2924 Depth=3
	v_mov_b32_e32 v0, 1
	ds_store_b32 v0, v0
	s_trap 2
.LBB12_2984:                            ;   in Loop: Header=BB12_2924 Depth=3
	s_or_b32 exec_lo, exec_lo, s41
	;;#ASMSTART
	s_wakeup
	;;#ASMEND
.LBB12_2985:                            ;   in Loop: Header=BB12_2924 Depth=3
	s_or_b32 exec_lo, exec_lo, s40
.LBB12_2986:                            ;   in Loop: Header=BB12_2924 Depth=3
	s_and_not1_saveexec_b32 s27, s27
	s_cbranch_execz .LBB12_2988
; %bb.2987:                             ;   in Loop: Header=BB12_2924 Depth=3
	;;#ASMSTART
	s_waitcnt lgkmcnt(0) vmcnt(0)
	;;#ASMEND
	s_barrier_signal -1
	s_barrier_wait -1
.LBB12_2988:                            ;   in Loop: Header=BB12_2924 Depth=3
	s_or_b32 exec_lo, exec_lo, s27
	v_and_b32_e32 v0, 16, v126
	s_and_not1_saveexec_b32 s27, s13
	s_cbranch_execz .LBB12_2992
.LBB12_2989:                            ;   in Loop: Header=BB12_2924 Depth=3
	s_trap 2
	ds_load_b32 v0, v0
	v_cmp_lt_i32_e32 vcc_lo, 0, v4
	s_wait_dscnt 0x0
	v_readfirstlane_b32 s13, v0
	v_and_b32_e32 v0, 16, v126
	s_cmp_eq_u32 s13, 0
	s_delay_alu instid0(VALU_DEP_1) | instskip(SKIP_3) | instid1(SALU_CYCLE_1)
	v_cmp_ne_u32_e64 s13, 0, v0
	s_cselect_b32 s40, -1, 0
	v_and_b32_e32 v0, 16, v126
	s_and_b32 s40, vcc_lo, s40
	s_and_b32 s40, s13, s40
	s_delay_alu instid0(SALU_CYCLE_1)
	s_and_saveexec_b32 s13, s40
	s_cbranch_execz .LBB12_2991
; %bb.2990:                             ;   in Loop: Header=BB12_2924 Depth=3
	v_mov_b32_e32 v0, 1
	global_wb scope:SCOPE_SYS
	s_wait_loadcnt 0x0
	s_wait_storecnt 0x0
	global_inv scope:SCOPE_SYS
.LBB12_2991:                            ;   in Loop: Header=BB12_2924 Depth=3
	s_or_b32 exec_lo, exec_lo, s13
.LBB12_2992:                            ;   in Loop: Header=BB12_2924 Depth=3
	s_delay_alu instid0(SALU_CYCLE_1) | instskip(NEXT) | instid1(VALU_DEP_1)
	s_or_b32 exec_lo, exec_lo, s27
	v_cmp_ne_u32_e32 vcc_lo, 0, v0
	s_xor_b32 s13, s4, -1
	s_delay_alu instid0(SALU_CYCLE_1) | instskip(NEXT) | instid1(SALU_CYCLE_1)
	s_and_b32 s27, vcc_lo, s13
	s_and_saveexec_b32 s13, s27
	s_cbranch_execz .LBB12_2994
; %bb.2993:                             ;   in Loop: Header=BB12_2924 Depth=3
	scratch_load_b64 v[0:1], off, s33 offset:304 ; 8-byte Folded Reload
	v_mov_b32_e32 v2, 1
	global_wb scope:SCOPE_SYS
	s_wait_storecnt 0x0
	s_wait_xcnt 0x0
	s_wait_loadcnt_dscnt 0x0
	flat_store_b32 v[0:1], v2 scope:SCOPE_SYS
.LBB12_2994:                            ;   in Loop: Header=BB12_2924 Depth=3
	s_wait_xcnt 0x0
	s_or_b32 exec_lo, exec_lo, s13
	v_and_b32_e32 v0, 48, v126
	s_mov_b32 s13, exec_lo
	s_delay_alu instid0(VALU_DEP_1)
	v_cmpx_ne_u32_e32 0, v0
	s_cbranch_execz .LBB12_2923
; %bb.2995:                             ;   in Loop: Header=BB12_2924 Depth=3
	v_add_nc_u64_e32 v[116:117], 2, v[116:117]
	global_wb scope:SCOPE_SYS
	s_wait_storecnt 0x0
	s_wait_loadcnt_dscnt 0x0
	flat_store_b64 v[40:41], v[116:117] scope:SCOPE_SYS
	s_branch .LBB12_2923
.LBB12_2996:                            ;   in Loop: Header=BB12_47 Depth=1
	s_clause 0x1
	scratch_load_b64 v[6:7], off, s33 offset:380
	scratch_load_b64 v[0:1], off, s33 offset:372
	v_mov_b32_e32 v74, 0
	s_wait_loadcnt 0x1
	v_mul_u64_e32 v[4:5], s[16:17], v[6:7]
	s_wait_loadcnt 0x0
	s_delay_alu instid0(VALU_DEP_1) | instskip(NEXT) | instid1(VALU_DEP_1)
	v_sub_nc_u64_e32 v[0:1], v[0:1], v[4:5]
	v_min_i64 v[6:7], v[6:7], v[0:1]
	s_delay_alu instid0(VALU_DEP_1) | instskip(SKIP_1) | instid1(VALU_DEP_2)
	v_max_i32_e32 v91, 0, v6
	v_cmp_lt_i32_e32 vcc_lo, 0, v6
	v_add_nc_u32_e32 v0, 31, v91
	s_and_b32 s13, s63, vcc_lo
	s_delay_alu instid0(VALU_DEP_1) | instskip(NEXT) | instid1(VALU_DEP_1)
	v_lshrrev_b32_e32 v0, 1, v0
	v_and_b32_e32 v1, 0x3ffffff0, v0
	s_delay_alu instid0(VALU_DEP_1)
	v_dual_mov_b32 v0, 0 :: v_dual_max_i32 v28, s45, v1
	s_wait_xcnt 0x0
	s_and_saveexec_b32 s18, s13
	s_cbranch_execz .LBB12_5993
; %bb.2997:                             ;   in Loop: Header=BB12_47 Depth=1
	scratch_load_b64 v[0:1], off, s33 offset:332 ; 8-byte Folded Reload
	v_mov_b32_e32 v74, 0
	s_mov_b32 s75, 1
	s_mov_b32 s74, -1
	s_mov_b32 s27, 0
	s_wait_loadcnt 0x0
	v_add_nc_u64_e32 v[0:1], v[4:5], v[0:1]
	s_delay_alu instid0(VALU_DEP_1)
	v_lshlrev_b64_e32 v[0:1], 1, v[0:1]
	scratch_store_b64 off, v[0:1], s33 offset:388 ; 8-byte Folded Spill
	s_branch .LBB12_2999
.LBB12_2998:                            ;   in Loop: Header=BB12_2999 Depth=2
	s_wait_xcnt 0x0
	s_or_b32 exec_lo, exec_lo, s13
	v_dual_add_nc_u32 v74, v28, v74 :: v_dual_mov_b32 v0, s75
	s_xor_b32 s13, s74, -1
	s_mov_b32 s74, 0
	s_mov_b32 s75, 2
	s_delay_alu instid0(VALU_DEP_1) | instskip(SKIP_1) | instid1(SALU_CYCLE_1)
	v_cmp_ge_i32_e32 vcc_lo, v74, v91
	s_or_b32 s13, s13, vcc_lo
	s_and_b32 s13, exec_lo, s13
	s_delay_alu instid0(SALU_CYCLE_1) | instskip(NEXT) | instid1(SALU_CYCLE_1)
	s_or_b32 s27, s13, s27
	s_and_not1_b32 exec_lo, exec_lo, s27
	s_cbranch_execz .LBB12_5992
.LBB12_2999:                            ;   Parent Loop BB12_47 Depth=1
                                        ; =>  This Loop Header: Depth=2
                                        ;       Child Loop BB12_3007 Depth 3
                                        ;       Child Loop BB12_3035 Depth 3
	;; [unrolled: 1-line block ×5, first 2 shown]
                                        ;         Child Loop BB12_3862 Depth 4
                                        ;         Child Loop BB12_3929 Depth 4
                                        ;         Child Loop BB12_3933 Depth 4
                                        ;         Child Loop BB12_3999 Depth 4
                                        ;       Child Loop BB12_4069 Depth 3
                                        ;       Child Loop BB12_4077 Depth 3
	;; [unrolled: 1-line block ×3, first 2 shown]
                                        ;         Child Loop BB12_4475 Depth 4
                                        ;         Child Loop BB12_4486 Depth 4
	;; [unrolled: 1-line block ×4, first 2 shown]
                                        ;       Child Loop BB12_4513 Depth 3
                                        ;       Child Loop BB12_4525 Depth 3
	;; [unrolled: 1-line block ×3, first 2 shown]
                                        ;         Child Loop BB12_5308 Depth 4
                                        ;         Child Loop BB12_5377 Depth 4
                                        ;       Child Loop BB12_5518 Depth 3
                                        ;       Child Loop BB12_5913 Depth 3
                                        ;         Child Loop BB12_5914 Depth 4
                                        ;         Child Loop BB12_5927 Depth 4
                                        ;       Child Loop BB12_5954 Depth 3
                                        ;       Child Loop BB12_5977 Depth 3
	s_wait_xcnt 0x0
	s_and_saveexec_b32 s13, s0
	s_cbranch_execz .LBB12_3001
; %bb.3000:                             ;   in Loop: Header=BB12_2999 Depth=2
	s_trap 2
	scratch_load_b64 v[12:13], off, s33 offset:388 ; 8-byte Folded Reload
	ds_load_b64 v[0:1], v0
	s_wait_dscnt 0x0
	ds_load_2addr_b64 v[4:7], v0 offset1:1
	v_cmp_ne_u64_e32 vcc_lo, 0, v[0:1]
	v_ashrrev_i32_e32 v75, 31, v74
	s_delay_alu instid0(VALU_DEP_1)
	v_lshlrev_b64_e32 v[8:9], 1, v[74:75]
	s_wait_loadcnt 0x0
	v_add_nc_u64_e32 v[10:11], v[0:1], v[12:13]
	s_wait_dscnt 0x0
	v_add_nc_u64_e32 v[4:5], v[4:5], v[12:13]
	v_add_nc_u64_e32 v[6:7], v[6:7], v[12:13]
	s_delay_alu instid0(VALU_DEP_3) | instskip(NEXT) | instid1(VALU_DEP_3)
	v_add_nc_u64_e32 v[10:11], v[10:11], v[8:9]
	v_add_nc_u64_e32 v[0:1], v[4:5], v[8:9]
	s_delay_alu instid0(VALU_DEP_3) | instskip(NEXT) | instid1(VALU_DEP_3)
	v_add_nc_u64_e32 v[4:5], v[6:7], v[8:9]
	v_dual_cndmask_b32 v7, 0, v11 :: v_dual_cndmask_b32 v6, 0, v10
	ds_store_b64 v0, v[0:1]
	ds_store_b64 v0, v[4:5]
	;; [unrolled: 1-line block ×3, first 2 shown]
.LBB12_3001:                            ;   in Loop: Header=BB12_2999 Depth=2
	s_wait_xcnt 0x0
	s_or_b32 exec_lo, exec_lo, s13
	v_sub_nc_u32_e32 v0, v91, v74
	v_and_b32_e32 v1, 12, v126
	s_mov_b32 s14, exec_lo
	s_delay_alu instid0(VALU_DEP_2) | instskip(NEXT) | instid1(VALU_DEP_2)
	v_min_i32_e32 v28, v28, v0
	v_cmpx_ne_u32_e32 0, v1
	s_cbranch_execz .LBB12_3027
; %bb.3002:                             ;   in Loop: Header=BB12_2999 Depth=2
	v_and_b32_e32 v2, 8, v126
	v_add_nc_u64_e32 v[4:5], 2, v[116:117]
	s_mov_b32 s15, exec_lo
	s_wait_dscnt 0x1
	s_delay_alu instid0(VALU_DEP_2) | instskip(NEXT) | instid1(VALU_DEP_1)
	v_add_nc_u64_e32 v[0:1], v[58:59], v[2:3]
	v_cmpx_lt_u64_e64 v[0:1], v[4:5]
	s_cbranch_execz .LBB12_3014
; %bb.3003:                             ;   in Loop: Header=BB12_2999 Depth=2
	v_and_b32_e32 v0, 64, v126
	s_mov_b32 s40, 0
	s_mov_b32 s78, 0
                                        ; implicit-def: $sgpr41
                                        ; implicit-def: $sgpr76
                                        ; implicit-def: $sgpr77
	s_delay_alu instid0(VALU_DEP_1)
	v_cmp_eq_u32_e32 vcc_lo, 0, v0
	s_branch .LBB12_3007
.LBB12_3004:                            ;   in Loop: Header=BB12_3007 Depth=3
	s_wait_loadcnt_dscnt 0x0
	v_add_nc_u64_e32 v[6:7], v[58:59], v[2:3]
	s_or_b32 s89, s89, exec_lo
	s_delay_alu instid0(VALU_DEP_1)
	v_cmp_ge_u64_e64 s13, v[6:7], v[4:5]
	s_or_not1_b32 s88, s13, exec_lo
.LBB12_3005:                            ;   in Loop: Header=BB12_3007 Depth=3
	s_or_b32 exec_lo, exec_lo, s91
	s_delay_alu instid0(SALU_CYCLE_1)
	s_and_not1_b32 s13, s77, exec_lo
	s_and_b32 s77, s89, exec_lo
	s_and_not1_b32 s76, s76, exec_lo
	s_and_b32 s88, s88, exec_lo
	s_or_b32 s77, s13, s77
	s_or_b32 s76, s76, s88
.LBB12_3006:                            ;   in Loop: Header=BB12_3007 Depth=3
	s_or_b32 exec_lo, exec_lo, s79
	s_delay_alu instid0(SALU_CYCLE_1) | instskip(NEXT) | instid1(SALU_CYCLE_1)
	s_and_b32 s13, exec_lo, s76
	s_or_b32 s40, s13, s40
	s_and_not1_b32 s13, s41, exec_lo
	s_and_b32 s41, s77, exec_lo
	s_delay_alu instid0(SALU_CYCLE_1)
	s_or_b32 s41, s13, s41
	s_and_not1_b32 exec_lo, exec_lo, s40
	s_cbranch_execz .LBB12_3011
.LBB12_3007:                            ;   Parent Loop BB12_47 Depth=1
                                        ;     Parent Loop BB12_2999 Depth=2
                                        ; =>    This Inner Loop Header: Depth=3
	s_sleep 1
	s_wait_loadcnt_dscnt 0x0
	flat_load_b64 v[58:59], v[40:41] scope:SCOPE_SYS
	s_or_b32 s77, s77, exec_lo
	s_or_b32 s76, s76, exec_lo
                                        ; implicit-def: $vgpr0
	s_wait_xcnt 0x0
	s_and_saveexec_b32 s79, vcc_lo
	s_cbranch_execz .LBB12_3006
; %bb.3008:                             ;   in Loop: Header=BB12_3007 Depth=3
	s_cmp_lt_i32 s78, 0x270f
	s_mov_b32 s88, -1
	s_cselect_b32 s90, -1, 0
	s_cmp_gt_i32 s78, 0x270e
	s_cbranch_scc0 .LBB12_3010
; %bb.3009:                             ;   in Loop: Header=BB12_3007 Depth=3
	s_trap 2
	ds_load_b64 v[0:1], v0
	s_and_not1_b32 s78, s90, exec_lo
	s_mov_b32 s89, 0
	s_wait_storecnt 0x0
	s_wait_loadcnt_dscnt 0x0
	flat_load_b32 v0, v[0:1] scope:SCOPE_SYS
	s_wait_loadcnt_dscnt 0x0
	global_inv scope:SCOPE_SYS
	v_cmp_eq_u32_e64 s13, 0, v0
	s_and_b32 s13, s13, exec_lo
	s_delay_alu instid0(SALU_CYCLE_1)
	s_or_b32 s90, s78, s13
	s_mov_b32 s78, 0
	s_wait_xcnt 0x0
	s_and_saveexec_b32 s91, s90
	s_cbranch_execz .LBB12_3005
	s_branch .LBB12_3004
.LBB12_3010:                            ;   in Loop: Header=BB12_3007 Depth=3
	s_add_co_i32 s78, s78, 1
	s_mov_b32 s89, -1
                                        ; implicit-def: $vgpr0
	s_and_saveexec_b32 s91, s90
	s_cbranch_execz .LBB12_3005
	s_branch .LBB12_3004
.LBB12_3011:                            ;   in Loop: Header=BB12_2999 Depth=2
	s_or_b32 exec_lo, exec_lo, s40
	s_xor_b32 s13, s41, -1
	s_delay_alu instid0(SALU_CYCLE_1) | instskip(NEXT) | instid1(SALU_CYCLE_1)
	s_and_saveexec_b32 s40, s13
	s_xor_b32 s13, exec_lo, s40
	s_cbranch_execz .LBB12_3013
; %bb.3012:                             ;   in Loop: Header=BB12_2999 Depth=2
	v_or_b32_e32 v126, 64, v126
	s_wait_storecnt 0x0
	s_wait_loadcnt_dscnt 0x0
	ds_store_b32 v0, v0
	s_trap 2
.LBB12_3013:                            ;   in Loop: Header=BB12_2999 Depth=2
	s_or_b32 exec_lo, exec_lo, s13
.LBB12_3014:                            ;   in Loop: Header=BB12_2999 Depth=2
	s_delay_alu instid0(SALU_CYCLE_1) | instskip(SKIP_4) | instid1(VALU_DEP_2)
	s_or_b32 exec_lo, exec_lo, s15
	v_and_b32_e32 v0, 0x108, v126
	v_and_b32_e32 v8, 7, v116
	s_mov_b32 s13, exec_lo
	;;#ASMSTART
	s_wakeup
	;;#ASMEND
	v_cmpx_ne_u32_e32 0x108, v0
	s_xor_b32 s13, exec_lo, s13
; %bb.3015:                             ;   in Loop: Header=BB12_2999 Depth=2
	v_mov_b32_e32 v9, v3
; %bb.3016:                             ;   in Loop: Header=BB12_2999 Depth=2
	s_and_not1_saveexec_b32 s13, s13
	s_cbranch_execz .LBB12_3018
; %bb.3017:                             ;   in Loop: Header=BB12_2999 Depth=2
	scratch_load_b128 v[10:13], off, s33 offset:288 ; 16-byte Folded Reload
	v_dual_ashrrev_i32 v29, 31, v28 :: v_dual_mov_b32 v9, v3
	s_delay_alu instid0(VALU_DEP_1)
	v_lshlrev_b64_e32 v[6:7], 1, v[28:29]
	s_wait_loadcnt 0x0
	v_mad_nc_u64_u32 v[0:1], v8, 24, v[10:11]
	flat_store_b64 v[0:1], v[6:7] offset:8
.LBB12_3018:                            ;   in Loop: Header=BB12_2999 Depth=2
	s_wait_xcnt 0x0
	s_or_b32 exec_lo, exec_lo, s13
	v_and_b32_e32 v0, 0x100, v126
	s_mov_b32 s13, -1
	s_mov_b32 s15, exec_lo
                                        ; implicit-def: $vgpr10_vgpr11
	s_delay_alu instid0(VALU_DEP_1)
	v_cmpx_ne_u32_e32 0, v0
	s_cbranch_execz .LBB12_3022
; %bb.3019:                             ;   in Loop: Header=BB12_2999 Depth=2
	scratch_load_b128 v[10:13], off, s33 offset:288 ; 16-byte Folded Reload
	s_mov_b32 s40, exec_lo
	s_wait_loadcnt 0x0
	v_mad_nc_u64_u32 v[12:13], v8, 24, v[10:11]
                                        ; implicit-def: $vgpr10_vgpr11
	s_delay_alu instid0(VALU_DEP_1)
	v_mad_u32 v13, v9, 24, v13
	flat_load_b32 v0, v[12:13]
	s_wait_loadcnt_dscnt 0x0
	v_cmp_ne_u32_e32 vcc_lo, 1, v0
	s_wait_xcnt 0x0
	v_cmpx_eq_u32_e32 1, v0
	s_cbranch_execz .LBB12_3021
; %bb.3020:                             ;   in Loop: Header=BB12_2999 Depth=2
	flat_load_b32 v0, v[12:13] offset:4 scope:SCOPE_SYS
	s_wait_loadcnt_dscnt 0x0
	v_ashrrev_i32_e32 v1, 31, v0
	s_delay_alu instid0(VALU_DEP_1)
	v_lshrrev_b64 v[10:11], 1, v[0:1]
.LBB12_3021:                            ;   in Loop: Header=BB12_2999 Depth=2
	s_wait_xcnt 0x0
	s_or_b32 exec_lo, exec_lo, s40
	s_delay_alu instid0(SALU_CYCLE_1)
	s_or_not1_b32 s13, vcc_lo, exec_lo
.LBB12_3022:                            ;   in Loop: Header=BB12_2999 Depth=2
	s_or_b32 exec_lo, exec_lo, s15
	s_and_saveexec_b32 s15, s13
	s_cbranch_execz .LBB12_3024
; %bb.3023:                             ;   in Loop: Header=BB12_2999 Depth=2
	scratch_load_b64 v[0:1], off, s33 offset:312 ; 8-byte Folded Reload
	s_wait_loadcnt 0x0
	v_mul_u64_e32 v[10:11], v[8:9], v[0:1]
.LBB12_3024:                            ;   in Loop: Header=BB12_2999 Depth=2
	s_wait_xcnt 0x0
	s_or_b32 exec_lo, exec_lo, s15
	v_cmp_eq_u32_e32 vcc_lo, 0, v2
	v_mov_b32_e32 v0, 0x90
	v_and_b32_e32 v6, 0x2000, v126
	s_mov_b32 s13, exec_lo
	s_delay_alu instid0(VALU_DEP_2) | instskip(SKIP_3) | instid1(VALU_DEP_1)
	v_cndmask_b32_e32 v2, 0xd0, v0, vcc_lo
	scratch_load_b64 v[0:1], off, s33 offset:280 ; 8-byte Folded Reload
	s_wait_loadcnt 0x0
	v_lshl_add_u64 v[0:1], v[10:11], 1, v[0:1]
	v_add_nc_u32_e32 v2, v0, v2
	ds_store_b64 v2, v[0:1] offset:584
	s_wait_xcnt 0x0
	v_cmpx_ne_u32_e32 0, v6
	s_cbranch_execz .LBB12_3026
; %bb.3025:                             ;   in Loop: Header=BB12_2999 Depth=2
	ds_load_b64 v[0:1], v0 offset:872
	s_wait_dscnt 0x0
	v_add_nc_u64_e32 v[0:1], 1, v[0:1]
	ds_store_b64 v0, v[0:1] offset:872
.LBB12_3026:                            ;   in Loop: Header=BB12_2999 Depth=2
	s_or_b32 exec_lo, exec_lo, s13
	v_mov_b64_e32 v[116:117], v[4:5]
.LBB12_3027:                            ;   in Loop: Header=BB12_2999 Depth=2
	s_or_b32 exec_lo, exec_lo, s14
	s_and_saveexec_b32 s13, s2
	s_cbranch_execz .LBB12_3046
; %bb.3028:                             ;   in Loop: Header=BB12_2999 Depth=2
	s_and_saveexec_b32 s14, s3
	s_delay_alu instid0(SALU_CYCLE_1)
	s_xor_b32 s14, exec_lo, s14
	s_cbranch_execz .LBB12_3043
; %bb.3029:                             ;   in Loop: Header=BB12_2999 Depth=2
	s_and_saveexec_b32 s15, s6
	s_cbranch_execz .LBB12_3042
; %bb.3030:                             ;   in Loop: Header=BB12_2999 Depth=2
	s_mov_b32 s41, exec_lo
	s_mov_b32 s40, exec_lo
	v_mbcnt_lo_u32_b32 v0, s41, 0
	global_wb scope:SCOPE_DEV
	s_wait_storecnt_dscnt 0x0
	global_inv scope:SCOPE_DEV
	v_cmpx_eq_u32_e32 0, v0
	s_cbranch_execz .LBB12_3032
; %bb.3031:                             ;   in Loop: Header=BB12_2999 Depth=2
	s_bcnt1_i32_b32 s41, s41
	s_delay_alu instid0(SALU_CYCLE_1)
	v_mov_b32_e32 v2, s41
	s_wait_loadcnt 0x0
	ds_add_u64 v0, v[2:3]
	s_trap 2
.LBB12_3032:                            ;   in Loop: Header=BB12_2999 Depth=2
	s_or_b32 exec_lo, exec_lo, s40
	s_trap 2
	ds_load_b64 v[0:1], v0
	s_wait_dscnt 0x0
	v_add_nc_u64_e32 v[56:57], v[56:57], v[60:61]
	s_mov_b32 s40, exec_lo
	s_delay_alu instid0(VALU_DEP_1)
	v_cmpx_lt_u64_e64 v[0:1], v[56:57]
	s_cbranch_execz .LBB12_3041
; %bb.3033:                             ;   in Loop: Header=BB12_2999 Depth=2
	s_mov_b32 s41, 0
	s_mov_b32 s78, 0
                                        ; implicit-def: $sgpr76
                                        ; implicit-def: $sgpr77
	s_branch .LBB12_3035
.LBB12_3034:                            ;   in Loop: Header=BB12_3035 Depth=3
	s_or_b32 exec_lo, exec_lo, s88
	s_delay_alu instid0(SALU_CYCLE_1) | instskip(NEXT) | instid1(SALU_CYCLE_1)
	s_and_b32 s79, exec_lo, s89
	s_or_b32 s41, s79, s41
	s_and_not1_b32 s76, s76, exec_lo
	s_and_b32 s79, s77, exec_lo
	s_delay_alu instid0(SALU_CYCLE_1)
	s_or_b32 s76, s76, s79
	s_and_not1_b32 exec_lo, exec_lo, s41
	s_cbranch_execz .LBB12_3039
.LBB12_3035:                            ;   Parent Loop BB12_47 Depth=1
                                        ;     Parent Loop BB12_2999 Depth=2
                                        ; =>    This Inner Loop Header: Depth=3
	s_add_co_i32 s78, s78, 1
	s_delay_alu instid0(SALU_CYCLE_1) | instskip(SKIP_1) | instid1(SALU_CYCLE_1)
	s_cmp_lg_u32 s78, 0x2710
	s_cselect_b32 s79, -1, 0
	s_and_b32 vcc_lo, exec_lo, s79
	s_cbranch_vccz .LBB12_3037
; %bb.3036:                             ;   in Loop: Header=BB12_3035 Depth=3
	s_mov_b32 s89, -1
	s_or_b32 s77, s77, exec_lo
	s_and_saveexec_b32 s88, s79
	s_cbranch_execz .LBB12_3034
	s_branch .LBB12_3038
.LBB12_3037:                            ;   in Loop: Header=BB12_3035 Depth=3
	s_trap 2
	ds_load_b64 v[0:1], v0
	s_and_not1_b32 s79, s79, exec_lo
	s_mov_b32 s78, 0
	s_wait_loadcnt_dscnt 0x0
	flat_load_b32 v0, v[0:1] scope:SCOPE_SYS
	s_wait_loadcnt_dscnt 0x0
	global_inv scope:SCOPE_SYS
	v_cmp_eq_u32_e32 vcc_lo, 0, v0
	s_and_b32 s88, vcc_lo, exec_lo
	s_delay_alu instid0(SALU_CYCLE_1)
	s_or_b32 s79, s79, s88
	s_mov_b32 s89, -1
	s_or_b32 s77, s77, exec_lo
	s_wait_xcnt 0x0
	s_and_saveexec_b32 s88, s79
	s_cbranch_execz .LBB12_3034
.LBB12_3038:                            ;   in Loop: Header=BB12_3035 Depth=3
	s_sleep 1
	s_trap 2
	ds_load_b64 v[0:1], v0
	s_wait_dscnt 0x0
	s_and_not1_b32 s77, s77, exec_lo
	v_cmp_ge_u64_e32 vcc_lo, v[0:1], v[56:57]
	s_or_not1_b32 s89, vcc_lo, exec_lo
	s_branch .LBB12_3034
.LBB12_3039:                            ;   in Loop: Header=BB12_2999 Depth=2
	s_or_b32 exec_lo, exec_lo, s41
	s_and_saveexec_b32 s41, s76
	s_delay_alu instid0(SALU_CYCLE_1)
	s_xor_b32 s41, exec_lo, s41
	s_cbranch_execz .LBB12_3041
; %bb.3040:                             ;   in Loop: Header=BB12_2999 Depth=2
	v_mov_b32_e32 v0, 1
	ds_store_b32 v0, v0
	s_trap 2
.LBB12_3041:                            ;   in Loop: Header=BB12_2999 Depth=2
	s_or_b32 exec_lo, exec_lo, s40
	;;#ASMSTART
	s_wakeup
	;;#ASMEND
.LBB12_3042:                            ;   in Loop: Header=BB12_2999 Depth=2
	s_or_b32 exec_lo, exec_lo, s15
.LBB12_3043:                            ;   in Loop: Header=BB12_2999 Depth=2
	s_and_not1_saveexec_b32 s14, s14
	s_cbranch_execz .LBB12_3045
; %bb.3044:                             ;   in Loop: Header=BB12_2999 Depth=2
	global_wb scope:SCOPE_DEV
	s_wait_storecnt 0x0
	s_wait_loadcnt_dscnt 0x0
	global_inv scope:SCOPE_DEV
	s_barrier_signal -1
	s_barrier_wait -1
.LBB12_3045:                            ;   in Loop: Header=BB12_2999 Depth=2
	s_or_b32 exec_lo, exec_lo, s14
.LBB12_3046:                            ;   in Loop: Header=BB12_2999 Depth=2
	s_delay_alu instid0(SALU_CYCLE_1) | instskip(SKIP_4) | instid1(VALU_DEP_1)
	s_or_b32 exec_lo, exec_lo, s13
	s_trap 2
	ds_load_b32 v0, v0
	v_and_b32_e32 v1, 0x4000, v126
	s_xor_b32 s13, s1, -1
	v_cmp_ne_u32_e32 vcc_lo, 0, v1
	s_and_b32 s14, s13, vcc_lo
	s_delay_alu instid0(SALU_CYCLE_1)
	s_and_saveexec_b32 s13, s14
	s_cbranch_execz .LBB12_3065
; %bb.3047:                             ;   in Loop: Header=BB12_2999 Depth=2
	s_and_saveexec_b32 s14, s3
	s_delay_alu instid0(SALU_CYCLE_1)
	s_xor_b32 s14, exec_lo, s14
	s_cbranch_execz .LBB12_3062
; %bb.3048:                             ;   in Loop: Header=BB12_2999 Depth=2
	s_and_saveexec_b32 s15, s6
	s_cbranch_execz .LBB12_3061
; %bb.3049:                             ;   in Loop: Header=BB12_2999 Depth=2
	s_mov_b32 s41, exec_lo
	s_mov_b32 s40, exec_lo
	v_mbcnt_lo_u32_b32 v1, s41, 0
	global_wb scope:SCOPE_DEV
	s_wait_storecnt 0x0
	s_wait_loadcnt_dscnt 0x0
	global_inv scope:SCOPE_DEV
	v_cmpx_eq_u32_e32 0, v1
	s_cbranch_execz .LBB12_3051
; %bb.3050:                             ;   in Loop: Header=BB12_2999 Depth=2
	s_bcnt1_i32_b32 s41, s41
	s_delay_alu instid0(SALU_CYCLE_1)
	v_mov_b32_e32 v2, s41
	s_wait_loadcnt 0x0
	ds_add_u64 v0, v[2:3]
	s_trap 2
.LBB12_3051:                            ;   in Loop: Header=BB12_2999 Depth=2
	s_or_b32 exec_lo, exec_lo, s40
	s_trap 2
	ds_load_b64 v[4:5], v0
	s_wait_dscnt 0x0
	v_add_nc_u64_e32 v[56:57], v[56:57], v[60:61]
	s_mov_b32 s40, exec_lo
	s_delay_alu instid0(VALU_DEP_1)
	v_cmpx_lt_u64_e64 v[4:5], v[56:57]
	s_cbranch_execz .LBB12_3060
; %bb.3052:                             ;   in Loop: Header=BB12_2999 Depth=2
	s_mov_b32 s41, 0
	s_mov_b32 s78, 0
                                        ; implicit-def: $sgpr76
                                        ; implicit-def: $sgpr77
	s_branch .LBB12_3054
.LBB12_3053:                            ;   in Loop: Header=BB12_3054 Depth=3
	s_or_b32 exec_lo, exec_lo, s88
	s_delay_alu instid0(SALU_CYCLE_1) | instskip(NEXT) | instid1(SALU_CYCLE_1)
	s_and_b32 s79, exec_lo, s89
	s_or_b32 s41, s79, s41
	s_and_not1_b32 s76, s76, exec_lo
	s_and_b32 s79, s77, exec_lo
	s_delay_alu instid0(SALU_CYCLE_1)
	s_or_b32 s76, s76, s79
	s_and_not1_b32 exec_lo, exec_lo, s41
	s_cbranch_execz .LBB12_3058
.LBB12_3054:                            ;   Parent Loop BB12_47 Depth=1
                                        ;     Parent Loop BB12_2999 Depth=2
                                        ; =>    This Inner Loop Header: Depth=3
	s_add_co_i32 s78, s78, 1
	s_delay_alu instid0(SALU_CYCLE_1) | instskip(SKIP_1) | instid1(SALU_CYCLE_1)
	s_cmp_lg_u32 s78, 0x2710
	s_cselect_b32 s79, -1, 0
	s_and_b32 vcc_lo, exec_lo, s79
	s_cbranch_vccz .LBB12_3056
; %bb.3055:                             ;   in Loop: Header=BB12_3054 Depth=3
	s_mov_b32 s89, -1
	s_or_b32 s77, s77, exec_lo
	s_and_saveexec_b32 s88, s79
	s_cbranch_execz .LBB12_3053
	s_branch .LBB12_3057
.LBB12_3056:                            ;   in Loop: Header=BB12_3054 Depth=3
	s_trap 2
	ds_load_b64 v[4:5], v0
	s_and_not1_b32 s79, s79, exec_lo
	s_mov_b32 s78, 0
	s_wait_loadcnt_dscnt 0x0
	flat_load_b32 v1, v[4:5] scope:SCOPE_SYS
	s_wait_loadcnt_dscnt 0x0
	global_inv scope:SCOPE_SYS
	v_cmp_eq_u32_e32 vcc_lo, 0, v1
	s_and_b32 s88, vcc_lo, exec_lo
	s_delay_alu instid0(SALU_CYCLE_1)
	s_or_b32 s79, s79, s88
	s_mov_b32 s89, -1
	s_or_b32 s77, s77, exec_lo
	s_wait_xcnt 0x0
	s_and_saveexec_b32 s88, s79
	s_cbranch_execz .LBB12_3053
.LBB12_3057:                            ;   in Loop: Header=BB12_3054 Depth=3
	s_sleep 1
	s_trap 2
	ds_load_b64 v[4:5], v0
	s_wait_dscnt 0x0
	s_and_not1_b32 s77, s77, exec_lo
	v_cmp_ge_u64_e32 vcc_lo, v[4:5], v[56:57]
	s_or_not1_b32 s89, vcc_lo, exec_lo
	s_branch .LBB12_3053
.LBB12_3058:                            ;   in Loop: Header=BB12_2999 Depth=2
	s_or_b32 exec_lo, exec_lo, s41
	s_and_saveexec_b32 s41, s76
	s_delay_alu instid0(SALU_CYCLE_1)
	s_xor_b32 s41, exec_lo, s41
	s_cbranch_execz .LBB12_3060
; %bb.3059:                             ;   in Loop: Header=BB12_2999 Depth=2
	v_mov_b32_e32 v1, 1
	ds_store_b32 v0, v1
	s_trap 2
.LBB12_3060:                            ;   in Loop: Header=BB12_2999 Depth=2
	s_or_b32 exec_lo, exec_lo, s40
	;;#ASMSTART
	s_wakeup
	;;#ASMEND
.LBB12_3061:                            ;   in Loop: Header=BB12_2999 Depth=2
	s_or_b32 exec_lo, exec_lo, s15
.LBB12_3062:                            ;   in Loop: Header=BB12_2999 Depth=2
	s_and_not1_saveexec_b32 s14, s14
	s_cbranch_execz .LBB12_3064
; %bb.3063:                             ;   in Loop: Header=BB12_2999 Depth=2
	global_wb scope:SCOPE_DEV
	s_wait_storecnt 0x0
	s_wait_loadcnt_dscnt 0x0
	global_inv scope:SCOPE_DEV
	s_barrier_signal -1
	s_barrier_wait -1
.LBB12_3064:                            ;   in Loop: Header=BB12_2999 Depth=2
	s_or_b32 exec_lo, exec_lo, s14
.LBB12_3065:                            ;   in Loop: Header=BB12_2999 Depth=2
	s_delay_alu instid0(SALU_CYCLE_1)
	s_or_b32 exec_lo, exec_lo, s13
	s_trap 2
	s_wait_dscnt 0x0
	ds_load_b64 v[72:73], v0
	s_wait_dscnt 0x0
	v_cmp_eq_u64_e32 vcc_lo, 0, v[72:73]
	s_cbranch_vccnz .LBB12_3595
; %bb.3066:                             ;   in Loop: Header=BB12_2999 Depth=2
	s_trap 2
	ds_load_b64 v[4:5], v0
	s_wait_dscnt 0x0
	v_cmp_eq_u64_e32 vcc_lo, 0, v[4:5]
	scratch_store_b64 off, v[4:5], s33 offset:340 ; 8-byte Folded Spill
	s_cbranch_vccnz .LBB12_3595
; %bb.3067:                             ;   in Loop: Header=BB12_2999 Depth=2
	s_trap 2
	ds_load_b64 v[76:77], v0
	v_cmp_eq_u32_e32 vcc_lo, 0, v0
	s_mov_b32 s13, -1
	v_cndmask_b32_e32 v110, 0, v28, vcc_lo
	s_delay_alu instid0(VALU_DEP_1)
	v_lshlrev_b32_e32 v123, 1, v110
	s_wait_dscnt 0x0
	v_cmp_ne_u64_e32 vcc_lo, 0, v[76:77]
	s_cbranch_vccz .LBB12_4515
; %bb.3068:                             ;   in Loop: Header=BB12_2999 Depth=2
	s_wait_xcnt 0x0
	s_and_saveexec_b32 s14, s11
	s_cbranch_execz .LBB12_3070
; %bb.3069:                             ;   in Loop: Header=BB12_2999 Depth=2
	ds_load_b32 v0, v0 offset:720
	s_wait_dscnt 0x0
	v_and_b32_e32 v0, 15, v0
	s_delay_alu instid0(VALU_DEP_1)
	v_cmp_eq_u32_e32 vcc_lo, 0, v0
	s_or_not1_b32 s13, vcc_lo, exec_lo
.LBB12_3070:                            ;   in Loop: Header=BB12_2999 Depth=2
	s_or_b32 exec_lo, exec_lo, s14
	s_and_saveexec_b32 s14, s11
	s_cbranch_execz .LBB12_3072
; %bb.3071:                             ;   in Loop: Header=BB12_2999 Depth=2
	ds_load_b32 v0, v0 offset:784
	s_wait_dscnt 0x0
	v_and_b32_e32 v0, 15, v0
	s_delay_alu instid0(VALU_DEP_1) | instskip(SKIP_3) | instid1(SALU_CYCLE_1)
	v_cmp_eq_u32_e32 vcc_lo, 0, v0
	s_and_b32 s15, s13, vcc_lo
	s_and_not1_b32 s13, s13, exec_lo
	s_and_b32 s15, s15, exec_lo
	s_or_b32 s13, s13, s15
.LBB12_3072:                            ;   in Loop: Header=BB12_2999 Depth=2
	s_or_b32 exec_lo, exec_lo, s14
	s_xor_b32 s13, s13, -1
	s_delay_alu instid0(SALU_CYCLE_1) | instskip(SKIP_1) | instid1(VALU_DEP_1)
	v_cndmask_b32_e64 v0, 0, 1, s13
	s_mov_b32 s13, -1
	v_cmp_ne_u32_e32 vcc_lo, 0, v0
	s_cbranch_vccz .LBB12_3596
; %bb.3073:                             ;   in Loop: Header=BB12_2999 Depth=2
	s_mov_b32 s76, -1
	v_mov_b32_e32 v2, 0
	s_cbranch_execnz .LBB12_3597
.LBB12_3074:                            ;   in Loop: Header=BB12_2999 Depth=2
	v_ashrrev_i32_e32 v0, 31, v123
	s_mov_b32 s14, 0
	s_mov_b32 s13, exec_lo
                                        ; implicit-def: $vgpr96_vgpr97
                                        ; implicit-def: $vgpr68_vgpr69
                                        ; implicit-def: $vgpr48_vgpr49
                                        ; implicit-def: $vgpr24_vgpr25
                                        ; implicit-def: $vgpr20_vgpr21
                                        ; implicit-def: $vgpr16_vgpr17
                                        ; implicit-def: $vgpr12_vgpr13
                                        ; implicit-def: $vgpr8_vgpr9
	s_delay_alu instid0(VALU_DEP_1) | instskip(NEXT) | instid1(VALU_DEP_1)
	v_lshrrev_b32_e32 v0, 21, v0
	v_add_nc_u32_e32 v0, v123, v0
	s_delay_alu instid0(VALU_DEP_1)
	v_ashrrev_i32_e32 v85, 11, v0
	scratch_load_b32 v0, off, s33 offset:360 ; 4-byte Folded Reload
	s_wait_loadcnt 0x0
	v_sub_nc_u32_e32 v75, v85, v0
	s_clause 0x1
	scratch_load_b64 v[0:1], off, s33 offset:348
	scratch_load_b64 v[4:5], off, s33 offset:340
	s_wait_loadcnt 0x0
	v_add_nc_u64_e32 v[62:63], v[4:5], v[0:1]
	v_add_nc_u64_e32 v[4:5], v[76:77], v[0:1]
	s_wait_xcnt 0x0
	v_cmpx_lt_i32_e32 0, v75
	s_cbranch_execz .LBB12_3599
; %bb.3075:                             ;   in Loop: Header=BB12_2999 Depth=2
	scratch_store_b32 off, v85, s33 offset:396 ; 4-byte Folded Spill
	s_trap 2
	scratch_load_b64 v[6:7], off, s33 offset:348 ; 8-byte Folded Reload
	ds_load_b64 v[0:1], v0
	s_mov_b32 s40, 0
                                        ; implicit-def: $sgpr15
                                        ; implicit-def: $vgpr96_vgpr97
                                        ; implicit-def: $vgpr68_vgpr69
                                        ; implicit-def: $vgpr48_vgpr49
                                        ; implicit-def: $vgpr24_vgpr25
                                        ; implicit-def: $vgpr20_vgpr21
                                        ; implicit-def: $vgpr16_vgpr17
                                        ; implicit-def: $vgpr12_vgpr13
                                        ; implicit-def: $vgpr8_vgpr9
	s_wait_dscnt 0x0
	ds_load_b32 v2, v0
	s_wait_dscnt 0x0
	v_lshlrev_b32_e32 v2, 16, v2
	s_wait_loadcnt 0x0
	v_add_nc_u64_e32 v[118:119], v[72:73], v[6:7]
	v_add_nc_u64_e32 v[124:125], v[0:1], v[6:7]
	s_branch .LBB12_3077
.LBB12_3076:                            ;   in Loop: Header=BB12_3077 Depth=3
	s_or_b32 exec_lo, exec_lo, s41
	s_delay_alu instid0(VALU_DEP_1) | instskip(SKIP_3) | instid1(SALU_CYCLE_1)
	v_cmp_gt_i32_e32 vcc_lo, 1, v75
	s_or_b32 s14, vcc_lo, s14
	s_and_not1_b32 s15, s15, exec_lo
	s_and_b32 s41, s40, exec_lo
	s_or_b32 s15, s15, s41
	s_and_not1_b32 exec_lo, exec_lo, s14
	s_cbranch_execz .LBB12_3598
.LBB12_3077:                            ;   Parent Loop BB12_47 Depth=1
                                        ;     Parent Loop BB12_2999 Depth=2
                                        ; =>    This Inner Loop Header: Depth=3
	s_clause 0x3
	global_load_b128 v[112:115], v[118:119], off th:TH_LOAD_NT
	global_load_b128 v[100:103], v[118:119], off offset:512 th:TH_LOAD_NT
	global_load_b128 v[84:87], v[118:119], off offset:1024 th:TH_LOAD_NT
	;; [unrolled: 1-line block ×3, first 2 shown]
	s_clause 0x3
	global_load_b128 v[64:67], v[124:125], off th:TH_LOAD_NT
	global_load_b128 v[52:55], v[124:125], off offset:512 th:TH_LOAD_NT
	global_load_b128 v[36:39], v[124:125], off offset:1024 th:TH_LOAD_NT
	;; [unrolled: 1-line block ×3, first 2 shown]
	s_wait_xcnt 0x0
	s_and_saveexec_b32 s41, s40
	s_cbranch_execz .LBB12_3335
; %bb.3078:                             ;   in Loop: Header=BB12_3077 Depth=3
	v_lshlrev_b32_e32 v0, 16, v96
	s_delay_alu instid0(VALU_DEP_1) | instskip(NEXT) | instid1(VALU_DEP_1)
	v_mul_f32_e32 v0, v2, v0
	v_and_b32_e32 v1, 0x7f800000, v0
	s_delay_alu instid0(VALU_DEP_1) | instskip(SKIP_1) | instid1(SALU_CYCLE_1)
	v_cmp_ne_u32_e32 vcc_lo, 0x7f800000, v1
                                        ; implicit-def: $vgpr1
	s_and_saveexec_b32 s40, vcc_lo
	s_xor_b32 s40, exec_lo, s40
; %bb.3079:                             ;   in Loop: Header=BB12_3077 Depth=3
	v_bfe_u32 v1, v0, 16, 1
	s_delay_alu instid0(VALU_DEP_1)
	v_add3_u32 v1, v0, v1, 0x7fff
                                        ; implicit-def: $vgpr0
; %bb.3080:                             ;   in Loop: Header=BB12_3077 Depth=3
	s_and_not1_saveexec_b32 s40, s40
; %bb.3081:                             ;   in Loop: Header=BB12_3077 Depth=3
	v_and_b32_e32 v1, 0xffff, v0
	v_or_b32_e32 v6, 0x10000, v0
	s_delay_alu instid0(VALU_DEP_2) | instskip(NEXT) | instid1(VALU_DEP_2)
	v_cmp_eq_u32_e32 vcc_lo, 0, v1
	v_cndmask_b32_e32 v1, v6, v0, vcc_lo
; %bb.3082:                             ;   in Loop: Header=BB12_3077 Depth=3
	s_or_b32 exec_lo, exec_lo, s40
	v_and_b32_e32 v0, 0xffff0000, v96
	s_delay_alu instid0(VALU_DEP_1) | instskip(NEXT) | instid1(VALU_DEP_1)
	v_mul_f32_e32 v6, v2, v0
	v_and_b32_e32 v0, 0x7f800000, v6
	s_delay_alu instid0(VALU_DEP_1) | instskip(SKIP_1) | instid1(SALU_CYCLE_1)
	v_cmp_ne_u32_e32 vcc_lo, 0x7f800000, v0
                                        ; implicit-def: $vgpr0
	s_and_saveexec_b32 s40, vcc_lo
	s_xor_b32 s40, exec_lo, s40
; %bb.3083:                             ;   in Loop: Header=BB12_3077 Depth=3
	v_bfe_u32 v0, v6, 16, 1
	s_delay_alu instid0(VALU_DEP_1)
	v_add3_u32 v0, v6, v0, 0x7fff
                                        ; implicit-def: $vgpr6
; %bb.3084:                             ;   in Loop: Header=BB12_3077 Depth=3
	s_and_not1_saveexec_b32 s40, s40
; %bb.3085:                             ;   in Loop: Header=BB12_3077 Depth=3
	v_and_b32_e32 v0, 0xffff, v6
	v_or_b32_e32 v7, 0x10000, v6
	s_delay_alu instid0(VALU_DEP_2) | instskip(NEXT) | instid1(VALU_DEP_2)
	v_cmp_eq_u32_e32 vcc_lo, 0, v0
	v_cndmask_b32_e32 v0, v7, v6, vcc_lo
; %bb.3086:                             ;   in Loop: Header=BB12_3077 Depth=3
	s_or_b32 exec_lo, exec_lo, s40
	v_lshlrev_b32_e32 v6, 16, v97
	s_mov_b32 s40, exec_lo
                                        ; implicit-def: $vgpr120
	s_delay_alu instid0(VALU_DEP_1) | instskip(NEXT) | instid1(VALU_DEP_1)
	v_mul_f32_e32 v6, v2, v6
	v_and_b32_e32 v7, 0x7f800000, v6
	s_delay_alu instid0(VALU_DEP_1)
	v_cmpx_ne_u32_e32 0x7f800000, v7
	s_xor_b32 s40, exec_lo, s40
; %bb.3087:                             ;   in Loop: Header=BB12_3077 Depth=3
	v_bfe_u32 v7, v6, 16, 1
	s_delay_alu instid0(VALU_DEP_1)
	v_add3_u32 v120, v6, v7, 0x7fff
                                        ; implicit-def: $vgpr6
; %bb.3088:                             ;   in Loop: Header=BB12_3077 Depth=3
	s_and_not1_saveexec_b32 s40, s40
; %bb.3089:                             ;   in Loop: Header=BB12_3077 Depth=3
	v_and_b32_e32 v7, 0xffff, v6
	v_or_b32_e32 v29, 0x10000, v6
	s_delay_alu instid0(VALU_DEP_2) | instskip(NEXT) | instid1(VALU_DEP_2)
	v_cmp_eq_u32_e32 vcc_lo, 0, v7
	v_cndmask_b32_e32 v120, v29, v6, vcc_lo
; %bb.3090:                             ;   in Loop: Header=BB12_3077 Depth=3
	s_or_b32 exec_lo, exec_lo, s40
	v_and_b32_e32 v6, 0xffff0000, v97
	s_mov_b32 s40, exec_lo
                                        ; implicit-def: $vgpr44
	s_delay_alu instid0(VALU_DEP_1) | instskip(NEXT) | instid1(VALU_DEP_1)
	v_mul_f32_e32 v6, v2, v6
	v_and_b32_e32 v7, 0x7f800000, v6
	s_delay_alu instid0(VALU_DEP_1)
	v_cmpx_ne_u32_e32 0x7f800000, v7
	s_xor_b32 s40, exec_lo, s40
; %bb.3091:                             ;   in Loop: Header=BB12_3077 Depth=3
	v_bfe_u32 v7, v6, 16, 1
	s_delay_alu instid0(VALU_DEP_1)
	v_add3_u32 v44, v6, v7, 0x7fff
                                        ; implicit-def: $vgpr6
; %bb.3092:                             ;   in Loop: Header=BB12_3077 Depth=3
	s_and_not1_saveexec_b32 s40, s40
; %bb.3093:                             ;   in Loop: Header=BB12_3077 Depth=3
	v_and_b32_e32 v7, 0xffff, v6
	v_or_b32_e32 v29, 0x10000, v6
	s_delay_alu instid0(VALU_DEP_2) | instskip(NEXT) | instid1(VALU_DEP_2)
	v_cmp_eq_u32_e32 vcc_lo, 0, v7
	v_cndmask_b32_e32 v44, v29, v6, vcc_lo
; %bb.3094:                             ;   in Loop: Header=BB12_3077 Depth=3
	s_or_b32 exec_lo, exec_lo, s40
	v_lshlrev_b32_e32 v6, 16, v98
	s_mov_b32 s40, exec_lo
                                        ; implicit-def: $vgpr45
	s_delay_alu instid0(VALU_DEP_1) | instskip(NEXT) | instid1(VALU_DEP_1)
	v_mul_f32_e32 v6, v2, v6
	v_and_b32_e32 v7, 0x7f800000, v6
	s_delay_alu instid0(VALU_DEP_1)
	v_cmpx_ne_u32_e32 0x7f800000, v7
	s_xor_b32 s40, exec_lo, s40
; %bb.3095:                             ;   in Loop: Header=BB12_3077 Depth=3
	v_bfe_u32 v7, v6, 16, 1
	s_delay_alu instid0(VALU_DEP_1)
	v_add3_u32 v45, v6, v7, 0x7fff
                                        ; implicit-def: $vgpr6
; %bb.3096:                             ;   in Loop: Header=BB12_3077 Depth=3
	s_and_not1_saveexec_b32 s40, s40
; %bb.3097:                             ;   in Loop: Header=BB12_3077 Depth=3
	v_and_b32_e32 v7, 0xffff, v6
	v_or_b32_e32 v29, 0x10000, v6
	s_delay_alu instid0(VALU_DEP_2) | instskip(NEXT) | instid1(VALU_DEP_2)
	v_cmp_eq_u32_e32 vcc_lo, 0, v7
	v_cndmask_b32_e32 v45, v29, v6, vcc_lo
; %bb.3098:                             ;   in Loop: Header=BB12_3077 Depth=3
	s_or_b32 exec_lo, exec_lo, s40
	v_and_b32_e32 v6, 0xffff0000, v98
	s_delay_alu instid0(VALU_DEP_1) | instskip(NEXT) | instid1(VALU_DEP_1)
	v_mul_f32_e32 v7, v2, v6
	v_and_b32_e32 v6, 0x7f800000, v7
	s_delay_alu instid0(VALU_DEP_1) | instskip(SKIP_1) | instid1(SALU_CYCLE_1)
	v_cmp_ne_u32_e32 vcc_lo, 0x7f800000, v6
                                        ; implicit-def: $vgpr6
	s_and_saveexec_b32 s40, vcc_lo
	s_xor_b32 s40, exec_lo, s40
; %bb.3099:                             ;   in Loop: Header=BB12_3077 Depth=3
	v_bfe_u32 v6, v7, 16, 1
	s_delay_alu instid0(VALU_DEP_1)
	v_add3_u32 v6, v7, v6, 0x7fff
                                        ; implicit-def: $vgpr7
; %bb.3100:                             ;   in Loop: Header=BB12_3077 Depth=3
	s_and_not1_saveexec_b32 s40, s40
; %bb.3101:                             ;   in Loop: Header=BB12_3077 Depth=3
	v_and_b32_e32 v6, 0xffff, v7
	v_or_b32_e32 v29, 0x10000, v7
	s_delay_alu instid0(VALU_DEP_2) | instskip(NEXT) | instid1(VALU_DEP_2)
	v_cmp_eq_u32_e32 vcc_lo, 0, v6
	v_cndmask_b32_e32 v6, v29, v7, vcc_lo
; %bb.3102:                             ;   in Loop: Header=BB12_3077 Depth=3
	s_or_b32 exec_lo, exec_lo, s40
	v_lshlrev_b32_e32 v7, 16, v99
	s_delay_alu instid0(VALU_DEP_1) | instskip(NEXT) | instid1(VALU_DEP_1)
	v_mul_f32_e32 v29, v2, v7
	v_and_b32_e32 v7, 0x7f800000, v29
	s_delay_alu instid0(VALU_DEP_1) | instskip(SKIP_1) | instid1(SALU_CYCLE_1)
	v_cmp_ne_u32_e32 vcc_lo, 0x7f800000, v7
                                        ; implicit-def: $vgpr7
	s_and_saveexec_b32 s40, vcc_lo
	s_xor_b32 s40, exec_lo, s40
; %bb.3103:                             ;   in Loop: Header=BB12_3077 Depth=3
	v_bfe_u32 v7, v29, 16, 1
	s_delay_alu instid0(VALU_DEP_1)
	v_add3_u32 v7, v29, v7, 0x7fff
                                        ; implicit-def: $vgpr29
; %bb.3104:                             ;   in Loop: Header=BB12_3077 Depth=3
	s_and_not1_saveexec_b32 s40, s40
; %bb.3105:                             ;   in Loop: Header=BB12_3077 Depth=3
	v_and_b32_e32 v7, 0xffff, v29
	v_or_b32_e32 v30, 0x10000, v29
	s_delay_alu instid0(VALU_DEP_2) | instskip(NEXT) | instid1(VALU_DEP_2)
	v_cmp_eq_u32_e32 vcc_lo, 0, v7
	v_cndmask_b32_e32 v7, v30, v29, vcc_lo
; %bb.3106:                             ;   in Loop: Header=BB12_3077 Depth=3
	s_or_b32 exec_lo, exec_lo, s40
	v_and_b32_e32 v29, 0xffff0000, v99
	s_mov_b32 s40, exec_lo
                                        ; implicit-def: $vgpr46
	s_delay_alu instid0(VALU_DEP_1) | instskip(NEXT) | instid1(VALU_DEP_1)
	v_mul_f32_e32 v29, v2, v29
	v_and_b32_e32 v30, 0x7f800000, v29
	s_delay_alu instid0(VALU_DEP_1)
	v_cmpx_ne_u32_e32 0x7f800000, v30
	s_xor_b32 s40, exec_lo, s40
; %bb.3107:                             ;   in Loop: Header=BB12_3077 Depth=3
	v_bfe_u32 v30, v29, 16, 1
	s_delay_alu instid0(VALU_DEP_1)
	v_add3_u32 v46, v29, v30, 0x7fff
                                        ; implicit-def: $vgpr29
; %bb.3108:                             ;   in Loop: Header=BB12_3077 Depth=3
	s_and_not1_saveexec_b32 s40, s40
; %bb.3109:                             ;   in Loop: Header=BB12_3077 Depth=3
	v_and_b32_e32 v30, 0xffff, v29
	v_or_b32_e32 v31, 0x10000, v29
	s_delay_alu instid0(VALU_DEP_2) | instskip(NEXT) | instid1(VALU_DEP_2)
	v_cmp_eq_u32_e32 vcc_lo, 0, v30
	v_cndmask_b32_e32 v46, v31, v29, vcc_lo
; %bb.3110:                             ;   in Loop: Header=BB12_3077 Depth=3
	s_or_b32 exec_lo, exec_lo, s40
	v_lshlrev_b32_e32 v29, 16, v68
	s_mov_b32 s40, exec_lo
                                        ; implicit-def: $vgpr47
	s_delay_alu instid0(VALU_DEP_1) | instskip(NEXT) | instid1(VALU_DEP_1)
	v_mul_f32_e32 v29, v2, v29
	v_and_b32_e32 v30, 0x7f800000, v29
	s_delay_alu instid0(VALU_DEP_1)
	v_cmpx_ne_u32_e32 0x7f800000, v30
	s_xor_b32 s40, exec_lo, s40
; %bb.3111:                             ;   in Loop: Header=BB12_3077 Depth=3
	v_bfe_u32 v30, v29, 16, 1
	s_delay_alu instid0(VALU_DEP_1)
	v_add3_u32 v47, v29, v30, 0x7fff
                                        ; implicit-def: $vgpr29
; %bb.3112:                             ;   in Loop: Header=BB12_3077 Depth=3
	s_and_not1_saveexec_b32 s40, s40
; %bb.3113:                             ;   in Loop: Header=BB12_3077 Depth=3
	v_and_b32_e32 v30, 0xffff, v29
	v_or_b32_e32 v31, 0x10000, v29
	s_delay_alu instid0(VALU_DEP_2) | instskip(NEXT) | instid1(VALU_DEP_2)
	v_cmp_eq_u32_e32 vcc_lo, 0, v30
	v_cndmask_b32_e32 v47, v31, v29, vcc_lo
; %bb.3114:                             ;   in Loop: Header=BB12_3077 Depth=3
	s_or_b32 exec_lo, exec_lo, s40
	v_and_b32_e32 v29, 0xffff0000, v68
	s_mov_b32 s40, exec_lo
                                        ; implicit-def: $vgpr106
	s_delay_alu instid0(VALU_DEP_1) | instskip(NEXT) | instid1(VALU_DEP_1)
	v_mul_f32_e32 v29, v2, v29
	v_and_b32_e32 v30, 0x7f800000, v29
	s_delay_alu instid0(VALU_DEP_1)
	v_cmpx_ne_u32_e32 0x7f800000, v30
	s_xor_b32 s40, exec_lo, s40
; %bb.3115:                             ;   in Loop: Header=BB12_3077 Depth=3
	v_bfe_u32 v30, v29, 16, 1
	s_delay_alu instid0(VALU_DEP_1)
	v_add3_u32 v106, v29, v30, 0x7fff
                                        ; implicit-def: $vgpr29
; %bb.3116:                             ;   in Loop: Header=BB12_3077 Depth=3
	s_and_not1_saveexec_b32 s40, s40
; %bb.3117:                             ;   in Loop: Header=BB12_3077 Depth=3
	v_and_b32_e32 v30, 0xffff, v29
	v_or_b32_e32 v31, 0x10000, v29
	s_delay_alu instid0(VALU_DEP_2) | instskip(NEXT) | instid1(VALU_DEP_2)
	v_cmp_eq_u32_e32 vcc_lo, 0, v30
	v_cndmask_b32_e32 v106, v31, v29, vcc_lo
; %bb.3118:                             ;   in Loop: Header=BB12_3077 Depth=3
	s_or_b32 exec_lo, exec_lo, s40
	v_lshlrev_b32_e32 v29, 16, v69
	s_mov_b32 s40, exec_lo
                                        ; implicit-def: $vgpr107
	s_delay_alu instid0(VALU_DEP_1) | instskip(NEXT) | instid1(VALU_DEP_1)
	v_mul_f32_e32 v29, v2, v29
	v_and_b32_e32 v30, 0x7f800000, v29
	s_delay_alu instid0(VALU_DEP_1)
	v_cmpx_ne_u32_e32 0x7f800000, v30
	s_xor_b32 s40, exec_lo, s40
; %bb.3119:                             ;   in Loop: Header=BB12_3077 Depth=3
	v_bfe_u32 v30, v29, 16, 1
	s_delay_alu instid0(VALU_DEP_1)
	v_add3_u32 v107, v29, v30, 0x7fff
                                        ; implicit-def: $vgpr29
; %bb.3120:                             ;   in Loop: Header=BB12_3077 Depth=3
	s_and_not1_saveexec_b32 s40, s40
; %bb.3121:                             ;   in Loop: Header=BB12_3077 Depth=3
	v_and_b32_e32 v30, 0xffff, v29
	v_or_b32_e32 v31, 0x10000, v29
	s_delay_alu instid0(VALU_DEP_2) | instskip(NEXT) | instid1(VALU_DEP_2)
	v_cmp_eq_u32_e32 vcc_lo, 0, v30
	v_cndmask_b32_e32 v107, v31, v29, vcc_lo
; %bb.3122:                             ;   in Loop: Header=BB12_3077 Depth=3
	s_or_b32 exec_lo, exec_lo, s40
	v_and_b32_e32 v29, 0xffff0000, v69
	s_mov_b32 s40, exec_lo
                                        ; implicit-def: $vgpr78
	s_delay_alu instid0(VALU_DEP_1) | instskip(NEXT) | instid1(VALU_DEP_1)
	v_mul_f32_e32 v29, v2, v29
	v_and_b32_e32 v30, 0x7f800000, v29
	s_delay_alu instid0(VALU_DEP_1)
	v_cmpx_ne_u32_e32 0x7f800000, v30
	s_xor_b32 s40, exec_lo, s40
; %bb.3123:                             ;   in Loop: Header=BB12_3077 Depth=3
	v_bfe_u32 v30, v29, 16, 1
	s_delay_alu instid0(VALU_DEP_1)
	v_add3_u32 v78, v29, v30, 0x7fff
                                        ; implicit-def: $vgpr29
; %bb.3124:                             ;   in Loop: Header=BB12_3077 Depth=3
	s_and_not1_saveexec_b32 s40, s40
; %bb.3125:                             ;   in Loop: Header=BB12_3077 Depth=3
	v_and_b32_e32 v30, 0xffff, v29
	v_or_b32_e32 v31, 0x10000, v29
	s_delay_alu instid0(VALU_DEP_2) | instskip(NEXT) | instid1(VALU_DEP_2)
	v_cmp_eq_u32_e32 vcc_lo, 0, v30
	v_cndmask_b32_e32 v78, v31, v29, vcc_lo
; %bb.3126:                             ;   in Loop: Header=BB12_3077 Depth=3
	s_or_b32 exec_lo, exec_lo, s40
	v_lshlrev_b32_e32 v29, 16, v70
	s_mov_b32 s40, exec_lo
                                        ; implicit-def: $vgpr79
	s_delay_alu instid0(VALU_DEP_1) | instskip(NEXT) | instid1(VALU_DEP_1)
	v_mul_f32_e32 v29, v2, v29
	v_and_b32_e32 v30, 0x7f800000, v29
	s_delay_alu instid0(VALU_DEP_1)
	v_cmpx_ne_u32_e32 0x7f800000, v30
	s_xor_b32 s40, exec_lo, s40
; %bb.3127:                             ;   in Loop: Header=BB12_3077 Depth=3
	v_bfe_u32 v30, v29, 16, 1
	s_delay_alu instid0(VALU_DEP_1)
	v_add3_u32 v79, v29, v30, 0x7fff
                                        ; implicit-def: $vgpr29
; %bb.3128:                             ;   in Loop: Header=BB12_3077 Depth=3
	s_and_not1_saveexec_b32 s40, s40
; %bb.3129:                             ;   in Loop: Header=BB12_3077 Depth=3
	v_and_b32_e32 v30, 0xffff, v29
	v_or_b32_e32 v31, 0x10000, v29
	s_delay_alu instid0(VALU_DEP_2) | instskip(NEXT) | instid1(VALU_DEP_2)
	v_cmp_eq_u32_e32 vcc_lo, 0, v30
	v_cndmask_b32_e32 v79, v31, v29, vcc_lo
; %bb.3130:                             ;   in Loop: Header=BB12_3077 Depth=3
	s_or_b32 exec_lo, exec_lo, s40
	v_and_b32_e32 v29, 0xffff0000, v70
	s_mov_b32 s40, exec_lo
                                        ; implicit-def: $vgpr42
	s_delay_alu instid0(VALU_DEP_1) | instskip(NEXT) | instid1(VALU_DEP_1)
	v_mul_f32_e32 v29, v2, v29
	v_and_b32_e32 v30, 0x7f800000, v29
	s_delay_alu instid0(VALU_DEP_1)
	v_cmpx_ne_u32_e32 0x7f800000, v30
	s_xor_b32 s40, exec_lo, s40
; %bb.3131:                             ;   in Loop: Header=BB12_3077 Depth=3
	v_bfe_u32 v30, v29, 16, 1
	s_delay_alu instid0(VALU_DEP_1)
	v_add3_u32 v42, v29, v30, 0x7fff
                                        ; implicit-def: $vgpr29
; %bb.3132:                             ;   in Loop: Header=BB12_3077 Depth=3
	s_and_not1_saveexec_b32 s40, s40
; %bb.3133:                             ;   in Loop: Header=BB12_3077 Depth=3
	v_and_b32_e32 v30, 0xffff, v29
	v_or_b32_e32 v31, 0x10000, v29
	s_delay_alu instid0(VALU_DEP_2) | instskip(NEXT) | instid1(VALU_DEP_2)
	v_cmp_eq_u32_e32 vcc_lo, 0, v30
	v_cndmask_b32_e32 v42, v31, v29, vcc_lo
; %bb.3134:                             ;   in Loop: Header=BB12_3077 Depth=3
	s_or_b32 exec_lo, exec_lo, s40
	v_lshlrev_b32_e32 v29, 16, v71
	s_mov_b32 s40, exec_lo
                                        ; implicit-def: $vgpr43
	s_delay_alu instid0(VALU_DEP_1) | instskip(NEXT) | instid1(VALU_DEP_1)
	v_mul_f32_e32 v29, v2, v29
	v_and_b32_e32 v30, 0x7f800000, v29
	s_delay_alu instid0(VALU_DEP_1)
	v_cmpx_ne_u32_e32 0x7f800000, v30
	s_xor_b32 s40, exec_lo, s40
; %bb.3135:                             ;   in Loop: Header=BB12_3077 Depth=3
	v_bfe_u32 v30, v29, 16, 1
	s_delay_alu instid0(VALU_DEP_1)
	v_add3_u32 v43, v29, v30, 0x7fff
                                        ; implicit-def: $vgpr29
; %bb.3136:                             ;   in Loop: Header=BB12_3077 Depth=3
	s_and_not1_saveexec_b32 s40, s40
; %bb.3137:                             ;   in Loop: Header=BB12_3077 Depth=3
	v_and_b32_e32 v30, 0xffff, v29
	v_or_b32_e32 v31, 0x10000, v29
	s_delay_alu instid0(VALU_DEP_2) | instskip(NEXT) | instid1(VALU_DEP_2)
	v_cmp_eq_u32_e32 vcc_lo, 0, v30
	v_cndmask_b32_e32 v43, v31, v29, vcc_lo
; %bb.3138:                             ;   in Loop: Header=BB12_3077 Depth=3
	s_or_b32 exec_lo, exec_lo, s40
	v_and_b32_e32 v29, 0xffff0000, v71
	s_mov_b32 s40, exec_lo
                                        ; implicit-def: $vgpr98
	s_delay_alu instid0(VALU_DEP_1) | instskip(NEXT) | instid1(VALU_DEP_1)
	v_mul_f32_e32 v29, v2, v29
	v_and_b32_e32 v30, 0x7f800000, v29
	s_delay_alu instid0(VALU_DEP_1)
	v_cmpx_ne_u32_e32 0x7f800000, v30
	s_xor_b32 s40, exec_lo, s40
; %bb.3139:                             ;   in Loop: Header=BB12_3077 Depth=3
	v_bfe_u32 v30, v29, 16, 1
	s_delay_alu instid0(VALU_DEP_1)
	v_add3_u32 v98, v29, v30, 0x7fff
                                        ; implicit-def: $vgpr29
; %bb.3140:                             ;   in Loop: Header=BB12_3077 Depth=3
	s_and_not1_saveexec_b32 s40, s40
; %bb.3141:                             ;   in Loop: Header=BB12_3077 Depth=3
	v_and_b32_e32 v30, 0xffff, v29
	v_or_b32_e32 v31, 0x10000, v29
	s_delay_alu instid0(VALU_DEP_2) | instskip(NEXT) | instid1(VALU_DEP_2)
	v_cmp_eq_u32_e32 vcc_lo, 0, v30
	v_cndmask_b32_e32 v98, v31, v29, vcc_lo
; %bb.3142:                             ;   in Loop: Header=BB12_3077 Depth=3
	s_or_b32 exec_lo, exec_lo, s40
	v_lshlrev_b32_e32 v29, 16, v48
	s_mov_b32 s40, exec_lo
                                        ; implicit-def: $vgpr99
	s_delay_alu instid0(VALU_DEP_1) | instskip(NEXT) | instid1(VALU_DEP_1)
	v_mul_f32_e32 v29, v2, v29
	v_and_b32_e32 v30, 0x7f800000, v29
	s_delay_alu instid0(VALU_DEP_1)
	v_cmpx_ne_u32_e32 0x7f800000, v30
	s_xor_b32 s40, exec_lo, s40
; %bb.3143:                             ;   in Loop: Header=BB12_3077 Depth=3
	v_bfe_u32 v30, v29, 16, 1
	s_delay_alu instid0(VALU_DEP_1)
	v_add3_u32 v99, v29, v30, 0x7fff
                                        ; implicit-def: $vgpr29
; %bb.3144:                             ;   in Loop: Header=BB12_3077 Depth=3
	s_and_not1_saveexec_b32 s40, s40
; %bb.3145:                             ;   in Loop: Header=BB12_3077 Depth=3
	v_and_b32_e32 v30, 0xffff, v29
	v_or_b32_e32 v31, 0x10000, v29
	s_delay_alu instid0(VALU_DEP_2) | instskip(NEXT) | instid1(VALU_DEP_2)
	v_cmp_eq_u32_e32 vcc_lo, 0, v30
	v_cndmask_b32_e32 v99, v31, v29, vcc_lo
; %bb.3146:                             ;   in Loop: Header=BB12_3077 Depth=3
	s_or_b32 exec_lo, exec_lo, s40
	v_and_b32_e32 v29, 0xffff0000, v48
	s_mov_b32 s40, exec_lo
                                        ; implicit-def: $vgpr96
	s_delay_alu instid0(VALU_DEP_1) | instskip(NEXT) | instid1(VALU_DEP_1)
	v_mul_f32_e32 v29, v2, v29
	v_and_b32_e32 v30, 0x7f800000, v29
	s_delay_alu instid0(VALU_DEP_1)
	v_cmpx_ne_u32_e32 0x7f800000, v30
	s_xor_b32 s40, exec_lo, s40
; %bb.3147:                             ;   in Loop: Header=BB12_3077 Depth=3
	v_bfe_u32 v30, v29, 16, 1
	s_delay_alu instid0(VALU_DEP_1)
	v_add3_u32 v96, v29, v30, 0x7fff
                                        ; implicit-def: $vgpr29
; %bb.3148:                             ;   in Loop: Header=BB12_3077 Depth=3
	s_and_not1_saveexec_b32 s40, s40
; %bb.3149:                             ;   in Loop: Header=BB12_3077 Depth=3
	v_and_b32_e32 v30, 0xffff, v29
	v_or_b32_e32 v31, 0x10000, v29
	s_delay_alu instid0(VALU_DEP_2) | instskip(NEXT) | instid1(VALU_DEP_2)
	v_cmp_eq_u32_e32 vcc_lo, 0, v30
	v_cndmask_b32_e32 v96, v31, v29, vcc_lo
; %bb.3150:                             ;   in Loop: Header=BB12_3077 Depth=3
	s_or_b32 exec_lo, exec_lo, s40
	v_lshlrev_b32_e32 v29, 16, v49
	s_mov_b32 s40, exec_lo
                                        ; implicit-def: $vgpr97
	s_delay_alu instid0(VALU_DEP_1) | instskip(NEXT) | instid1(VALU_DEP_1)
	v_mul_f32_e32 v29, v2, v29
	v_and_b32_e32 v30, 0x7f800000, v29
	s_delay_alu instid0(VALU_DEP_1)
	v_cmpx_ne_u32_e32 0x7f800000, v30
	s_xor_b32 s40, exec_lo, s40
; %bb.3151:                             ;   in Loop: Header=BB12_3077 Depth=3
	v_bfe_u32 v30, v29, 16, 1
	s_delay_alu instid0(VALU_DEP_1)
	v_add3_u32 v97, v29, v30, 0x7fff
                                        ; implicit-def: $vgpr29
; %bb.3152:                             ;   in Loop: Header=BB12_3077 Depth=3
	s_and_not1_saveexec_b32 s40, s40
; %bb.3153:                             ;   in Loop: Header=BB12_3077 Depth=3
	v_and_b32_e32 v30, 0xffff, v29
	v_or_b32_e32 v31, 0x10000, v29
	s_delay_alu instid0(VALU_DEP_2) | instskip(NEXT) | instid1(VALU_DEP_2)
	v_cmp_eq_u32_e32 vcc_lo, 0, v30
	v_cndmask_b32_e32 v97, v31, v29, vcc_lo
; %bb.3154:                             ;   in Loop: Header=BB12_3077 Depth=3
	s_or_b32 exec_lo, exec_lo, s40
	v_and_b32_e32 v29, 0xffff0000, v49
	s_mov_b32 s40, exec_lo
                                        ; implicit-def: $vgpr70
	s_delay_alu instid0(VALU_DEP_1) | instskip(NEXT) | instid1(VALU_DEP_1)
	v_mul_f32_e32 v29, v2, v29
	v_and_b32_e32 v30, 0x7f800000, v29
	s_delay_alu instid0(VALU_DEP_1)
	v_cmpx_ne_u32_e32 0x7f800000, v30
	s_xor_b32 s40, exec_lo, s40
; %bb.3155:                             ;   in Loop: Header=BB12_3077 Depth=3
	v_bfe_u32 v30, v29, 16, 1
	s_delay_alu instid0(VALU_DEP_1)
	v_add3_u32 v70, v29, v30, 0x7fff
                                        ; implicit-def: $vgpr29
; %bb.3156:                             ;   in Loop: Header=BB12_3077 Depth=3
	s_and_not1_saveexec_b32 s40, s40
; %bb.3157:                             ;   in Loop: Header=BB12_3077 Depth=3
	v_and_b32_e32 v30, 0xffff, v29
	v_or_b32_e32 v31, 0x10000, v29
	s_delay_alu instid0(VALU_DEP_2) | instskip(NEXT) | instid1(VALU_DEP_2)
	v_cmp_eq_u32_e32 vcc_lo, 0, v30
	v_cndmask_b32_e32 v70, v31, v29, vcc_lo
; %bb.3158:                             ;   in Loop: Header=BB12_3077 Depth=3
	s_or_b32 exec_lo, exec_lo, s40
	v_lshlrev_b32_e32 v29, 16, v50
	s_mov_b32 s40, exec_lo
                                        ; implicit-def: $vgpr71
	s_delay_alu instid0(VALU_DEP_1) | instskip(NEXT) | instid1(VALU_DEP_1)
	v_mul_f32_e32 v29, v2, v29
	v_and_b32_e32 v30, 0x7f800000, v29
	s_delay_alu instid0(VALU_DEP_1)
	v_cmpx_ne_u32_e32 0x7f800000, v30
	s_xor_b32 s40, exec_lo, s40
; %bb.3159:                             ;   in Loop: Header=BB12_3077 Depth=3
	v_bfe_u32 v30, v29, 16, 1
	s_delay_alu instid0(VALU_DEP_1)
	v_add3_u32 v71, v29, v30, 0x7fff
                                        ; implicit-def: $vgpr29
; %bb.3160:                             ;   in Loop: Header=BB12_3077 Depth=3
	s_and_not1_saveexec_b32 s40, s40
; %bb.3161:                             ;   in Loop: Header=BB12_3077 Depth=3
	v_and_b32_e32 v30, 0xffff, v29
	v_or_b32_e32 v31, 0x10000, v29
	s_delay_alu instid0(VALU_DEP_2) | instskip(NEXT) | instid1(VALU_DEP_2)
	v_cmp_eq_u32_e32 vcc_lo, 0, v30
	v_cndmask_b32_e32 v71, v31, v29, vcc_lo
; %bb.3162:                             ;   in Loop: Header=BB12_3077 Depth=3
	s_or_b32 exec_lo, exec_lo, s40
	v_and_b32_e32 v29, 0xffff0000, v50
	s_mov_b32 s40, exec_lo
                                        ; implicit-def: $vgpr68
	s_delay_alu instid0(VALU_DEP_1) | instskip(NEXT) | instid1(VALU_DEP_1)
	v_mul_f32_e32 v29, v2, v29
	v_and_b32_e32 v30, 0x7f800000, v29
	s_delay_alu instid0(VALU_DEP_1)
	v_cmpx_ne_u32_e32 0x7f800000, v30
	s_xor_b32 s40, exec_lo, s40
; %bb.3163:                             ;   in Loop: Header=BB12_3077 Depth=3
	v_bfe_u32 v30, v29, 16, 1
	s_delay_alu instid0(VALU_DEP_1)
	v_add3_u32 v68, v29, v30, 0x7fff
                                        ; implicit-def: $vgpr29
; %bb.3164:                             ;   in Loop: Header=BB12_3077 Depth=3
	s_and_not1_saveexec_b32 s40, s40
; %bb.3165:                             ;   in Loop: Header=BB12_3077 Depth=3
	v_and_b32_e32 v30, 0xffff, v29
	v_or_b32_e32 v31, 0x10000, v29
	s_delay_alu instid0(VALU_DEP_2) | instskip(NEXT) | instid1(VALU_DEP_2)
	v_cmp_eq_u32_e32 vcc_lo, 0, v30
	v_cndmask_b32_e32 v68, v31, v29, vcc_lo
; %bb.3166:                             ;   in Loop: Header=BB12_3077 Depth=3
	s_or_b32 exec_lo, exec_lo, s40
	v_lshlrev_b32_e32 v29, 16, v51
	s_mov_b32 s40, exec_lo
                                        ; implicit-def: $vgpr69
	s_delay_alu instid0(VALU_DEP_1) | instskip(NEXT) | instid1(VALU_DEP_1)
	v_mul_f32_e32 v29, v2, v29
	v_and_b32_e32 v30, 0x7f800000, v29
	s_delay_alu instid0(VALU_DEP_1)
	v_cmpx_ne_u32_e32 0x7f800000, v30
	s_xor_b32 s40, exec_lo, s40
; %bb.3167:                             ;   in Loop: Header=BB12_3077 Depth=3
	v_bfe_u32 v30, v29, 16, 1
	s_delay_alu instid0(VALU_DEP_1)
	v_add3_u32 v69, v29, v30, 0x7fff
                                        ; implicit-def: $vgpr29
; %bb.3168:                             ;   in Loop: Header=BB12_3077 Depth=3
	s_and_not1_saveexec_b32 s40, s40
; %bb.3169:                             ;   in Loop: Header=BB12_3077 Depth=3
	v_and_b32_e32 v30, 0xffff, v29
	v_or_b32_e32 v31, 0x10000, v29
	s_delay_alu instid0(VALU_DEP_2) | instskip(NEXT) | instid1(VALU_DEP_2)
	v_cmp_eq_u32_e32 vcc_lo, 0, v30
	v_cndmask_b32_e32 v69, v31, v29, vcc_lo
; %bb.3170:                             ;   in Loop: Header=BB12_3077 Depth=3
	s_or_b32 exec_lo, exec_lo, s40
	v_and_b32_e32 v29, 0xffff0000, v51
	s_mov_b32 s40, exec_lo
                                        ; implicit-def: $vgpr50
	s_delay_alu instid0(VALU_DEP_1) | instskip(NEXT) | instid1(VALU_DEP_1)
	v_mul_f32_e32 v29, v2, v29
	v_and_b32_e32 v30, 0x7f800000, v29
	s_delay_alu instid0(VALU_DEP_1)
	v_cmpx_ne_u32_e32 0x7f800000, v30
	s_xor_b32 s40, exec_lo, s40
; %bb.3171:                             ;   in Loop: Header=BB12_3077 Depth=3
	v_bfe_u32 v30, v29, 16, 1
	s_delay_alu instid0(VALU_DEP_1)
	v_add3_u32 v50, v29, v30, 0x7fff
                                        ; implicit-def: $vgpr29
; %bb.3172:                             ;   in Loop: Header=BB12_3077 Depth=3
	s_and_not1_saveexec_b32 s40, s40
; %bb.3173:                             ;   in Loop: Header=BB12_3077 Depth=3
	v_and_b32_e32 v30, 0xffff, v29
	v_or_b32_e32 v31, 0x10000, v29
	s_delay_alu instid0(VALU_DEP_2) | instskip(NEXT) | instid1(VALU_DEP_2)
	v_cmp_eq_u32_e32 vcc_lo, 0, v30
	v_cndmask_b32_e32 v50, v31, v29, vcc_lo
; %bb.3174:                             ;   in Loop: Header=BB12_3077 Depth=3
	s_or_b32 exec_lo, exec_lo, s40
	v_lshlrev_b32_e32 v29, 16, v24
	s_mov_b32 s40, exec_lo
                                        ; implicit-def: $vgpr51
	s_delay_alu instid0(VALU_DEP_1) | instskip(NEXT) | instid1(VALU_DEP_1)
	v_mul_f32_e32 v29, v2, v29
	v_and_b32_e32 v30, 0x7f800000, v29
	s_delay_alu instid0(VALU_DEP_1)
	v_cmpx_ne_u32_e32 0x7f800000, v30
	s_xor_b32 s40, exec_lo, s40
; %bb.3175:                             ;   in Loop: Header=BB12_3077 Depth=3
	v_bfe_u32 v30, v29, 16, 1
	s_delay_alu instid0(VALU_DEP_1)
	v_add3_u32 v51, v29, v30, 0x7fff
                                        ; implicit-def: $vgpr29
; %bb.3176:                             ;   in Loop: Header=BB12_3077 Depth=3
	s_and_not1_saveexec_b32 s40, s40
; %bb.3177:                             ;   in Loop: Header=BB12_3077 Depth=3
	v_and_b32_e32 v30, 0xffff, v29
	v_or_b32_e32 v31, 0x10000, v29
	s_delay_alu instid0(VALU_DEP_2) | instskip(NEXT) | instid1(VALU_DEP_2)
	v_cmp_eq_u32_e32 vcc_lo, 0, v30
	v_cndmask_b32_e32 v51, v31, v29, vcc_lo
; %bb.3178:                             ;   in Loop: Header=BB12_3077 Depth=3
	s_or_b32 exec_lo, exec_lo, s40
	v_and_b32_e32 v24, 0xffff0000, v24
	s_mov_b32 s40, exec_lo
                                        ; implicit-def: $vgpr48
	s_delay_alu instid0(VALU_DEP_1) | instskip(NEXT) | instid1(VALU_DEP_1)
	v_mul_f32_e32 v24, v2, v24
	v_and_b32_e32 v29, 0x7f800000, v24
	s_delay_alu instid0(VALU_DEP_1)
	v_cmpx_ne_u32_e32 0x7f800000, v29
	s_xor_b32 s40, exec_lo, s40
; %bb.3179:                             ;   in Loop: Header=BB12_3077 Depth=3
	v_bfe_u32 v29, v24, 16, 1
	s_delay_alu instid0(VALU_DEP_1)
	v_add3_u32 v48, v24, v29, 0x7fff
                                        ; implicit-def: $vgpr24
; %bb.3180:                             ;   in Loop: Header=BB12_3077 Depth=3
	s_and_not1_saveexec_b32 s40, s40
; %bb.3181:                             ;   in Loop: Header=BB12_3077 Depth=3
	v_and_b32_e32 v29, 0xffff, v24
	v_or_b32_e32 v30, 0x10000, v24
	s_delay_alu instid0(VALU_DEP_2) | instskip(NEXT) | instid1(VALU_DEP_2)
	v_cmp_eq_u32_e32 vcc_lo, 0, v29
	v_cndmask_b32_e32 v48, v30, v24, vcc_lo
; %bb.3182:                             ;   in Loop: Header=BB12_3077 Depth=3
	s_or_b32 exec_lo, exec_lo, s40
	v_lshlrev_b32_e32 v24, 16, v25
	s_mov_b32 s40, exec_lo
                                        ; implicit-def: $vgpr49
	s_delay_alu instid0(VALU_DEP_1) | instskip(NEXT) | instid1(VALU_DEP_1)
	v_mul_f32_e32 v24, v2, v24
	v_and_b32_e32 v29, 0x7f800000, v24
	s_delay_alu instid0(VALU_DEP_1)
	v_cmpx_ne_u32_e32 0x7f800000, v29
	s_xor_b32 s40, exec_lo, s40
; %bb.3183:                             ;   in Loop: Header=BB12_3077 Depth=3
	v_bfe_u32 v29, v24, 16, 1
	s_delay_alu instid0(VALU_DEP_1)
	v_add3_u32 v49, v24, v29, 0x7fff
                                        ; implicit-def: $vgpr24
; %bb.3184:                             ;   in Loop: Header=BB12_3077 Depth=3
	s_and_not1_saveexec_b32 s40, s40
; %bb.3185:                             ;   in Loop: Header=BB12_3077 Depth=3
	v_and_b32_e32 v29, 0xffff, v24
	v_or_b32_e32 v30, 0x10000, v24
	s_delay_alu instid0(VALU_DEP_2) | instskip(NEXT) | instid1(VALU_DEP_2)
	v_cmp_eq_u32_e32 vcc_lo, 0, v29
	v_cndmask_b32_e32 v49, v30, v24, vcc_lo
; %bb.3186:                             ;   in Loop: Header=BB12_3077 Depth=3
	s_or_b32 exec_lo, exec_lo, s40
	v_and_b32_e32 v24, 0xffff0000, v25
	s_mov_b32 s40, exec_lo
                                        ; implicit-def: $vgpr30
	s_delay_alu instid0(VALU_DEP_1) | instskip(NEXT) | instid1(VALU_DEP_1)
	v_mul_f32_e32 v24, v2, v24
	v_and_b32_e32 v25, 0x7f800000, v24
	s_delay_alu instid0(VALU_DEP_1)
	v_cmpx_ne_u32_e32 0x7f800000, v25
	s_xor_b32 s40, exec_lo, s40
; %bb.3187:                             ;   in Loop: Header=BB12_3077 Depth=3
	v_bfe_u32 v25, v24, 16, 1
	s_delay_alu instid0(VALU_DEP_1)
	v_add3_u32 v30, v24, v25, 0x7fff
                                        ; implicit-def: $vgpr24
; %bb.3188:                             ;   in Loop: Header=BB12_3077 Depth=3
	s_and_not1_saveexec_b32 s40, s40
; %bb.3189:                             ;   in Loop: Header=BB12_3077 Depth=3
	v_and_b32_e32 v25, 0xffff, v24
	v_or_b32_e32 v29, 0x10000, v24
	s_delay_alu instid0(VALU_DEP_2) | instskip(NEXT) | instid1(VALU_DEP_2)
	v_cmp_eq_u32_e32 vcc_lo, 0, v25
	v_cndmask_b32_e32 v30, v29, v24, vcc_lo
; %bb.3190:                             ;   in Loop: Header=BB12_3077 Depth=3
	s_or_b32 exec_lo, exec_lo, s40
	v_lshlrev_b32_e32 v24, 16, v26
	s_mov_b32 s40, exec_lo
                                        ; implicit-def: $vgpr31
	s_delay_alu instid0(VALU_DEP_1) | instskip(NEXT) | instid1(VALU_DEP_1)
	v_mul_f32_e32 v24, v2, v24
	v_and_b32_e32 v25, 0x7f800000, v24
	s_delay_alu instid0(VALU_DEP_1)
	v_cmpx_ne_u32_e32 0x7f800000, v25
	s_xor_b32 s40, exec_lo, s40
; %bb.3191:                             ;   in Loop: Header=BB12_3077 Depth=3
	v_bfe_u32 v25, v24, 16, 1
	s_delay_alu instid0(VALU_DEP_1)
	v_add3_u32 v31, v24, v25, 0x7fff
                                        ; implicit-def: $vgpr24
; %bb.3192:                             ;   in Loop: Header=BB12_3077 Depth=3
	s_and_not1_saveexec_b32 s40, s40
; %bb.3193:                             ;   in Loop: Header=BB12_3077 Depth=3
	v_and_b32_e32 v25, 0xffff, v24
	v_or_b32_e32 v29, 0x10000, v24
	s_delay_alu instid0(VALU_DEP_2) | instskip(NEXT) | instid1(VALU_DEP_2)
	v_cmp_eq_u32_e32 vcc_lo, 0, v25
	v_cndmask_b32_e32 v31, v29, v24, vcc_lo
; %bb.3194:                             ;   in Loop: Header=BB12_3077 Depth=3
	s_or_b32 exec_lo, exec_lo, s40
	v_and_b32_e32 v24, 0xffff0000, v26
	s_mov_b32 s40, exec_lo
                                        ; implicit-def: $vgpr26
	s_delay_alu instid0(VALU_DEP_1) | instskip(NEXT) | instid1(VALU_DEP_1)
	v_mul_f32_e32 v24, v2, v24
	v_and_b32_e32 v25, 0x7f800000, v24
	s_delay_alu instid0(VALU_DEP_1)
	v_cmpx_ne_u32_e32 0x7f800000, v25
	s_xor_b32 s40, exec_lo, s40
; %bb.3195:                             ;   in Loop: Header=BB12_3077 Depth=3
	v_bfe_u32 v25, v24, 16, 1
	s_delay_alu instid0(VALU_DEP_1)
	v_add3_u32 v26, v24, v25, 0x7fff
                                        ; implicit-def: $vgpr24
; %bb.3196:                             ;   in Loop: Header=BB12_3077 Depth=3
	s_and_not1_saveexec_b32 s40, s40
; %bb.3197:                             ;   in Loop: Header=BB12_3077 Depth=3
	v_and_b32_e32 v25, 0xffff, v24
	v_or_b32_e32 v26, 0x10000, v24
	s_delay_alu instid0(VALU_DEP_2) | instskip(NEXT) | instid1(VALU_DEP_2)
	v_cmp_eq_u32_e32 vcc_lo, 0, v25
	v_cndmask_b32_e32 v26, v26, v24, vcc_lo
; %bb.3198:                             ;   in Loop: Header=BB12_3077 Depth=3
	s_or_b32 exec_lo, exec_lo, s40
	v_lshlrev_b32_e32 v24, 16, v27
	s_mov_b32 s40, exec_lo
                                        ; implicit-def: $vgpr29
	s_delay_alu instid0(VALU_DEP_1) | instskip(NEXT) | instid1(VALU_DEP_1)
	v_mul_f32_e32 v24, v2, v24
	v_and_b32_e32 v25, 0x7f800000, v24
	s_delay_alu instid0(VALU_DEP_1)
	v_cmpx_ne_u32_e32 0x7f800000, v25
	s_xor_b32 s40, exec_lo, s40
; %bb.3199:                             ;   in Loop: Header=BB12_3077 Depth=3
	v_bfe_u32 v25, v24, 16, 1
	s_delay_alu instid0(VALU_DEP_1)
	v_add3_u32 v29, v24, v25, 0x7fff
                                        ; implicit-def: $vgpr24
; %bb.3200:                             ;   in Loop: Header=BB12_3077 Depth=3
	s_and_not1_saveexec_b32 s40, s40
; %bb.3201:                             ;   in Loop: Header=BB12_3077 Depth=3
	v_and_b32_e32 v25, 0xffff, v24
	v_or_b32_e32 v29, 0x10000, v24
	s_delay_alu instid0(VALU_DEP_2) | instskip(NEXT) | instid1(VALU_DEP_2)
	v_cmp_eq_u32_e32 vcc_lo, 0, v25
	v_cndmask_b32_e32 v29, v29, v24, vcc_lo
; %bb.3202:                             ;   in Loop: Header=BB12_3077 Depth=3
	s_or_b32 exec_lo, exec_lo, s40
	v_and_b32_e32 v24, 0xffff0000, v27
	s_delay_alu instid0(VALU_DEP_1) | instskip(NEXT) | instid1(VALU_DEP_1)
	v_mul_f32_e32 v24, v2, v24
	v_and_b32_e32 v25, 0x7f800000, v24
	s_delay_alu instid0(VALU_DEP_1) | instskip(SKIP_1) | instid1(SALU_CYCLE_1)
	v_cmp_ne_u32_e32 vcc_lo, 0x7f800000, v25
                                        ; implicit-def: $vgpr25
	s_and_saveexec_b32 s40, vcc_lo
	s_xor_b32 s40, exec_lo, s40
; %bb.3203:                             ;   in Loop: Header=BB12_3077 Depth=3
	v_bfe_u32 v25, v24, 16, 1
	s_delay_alu instid0(VALU_DEP_1)
	v_add3_u32 v25, v24, v25, 0x7fff
                                        ; implicit-def: $vgpr24
; %bb.3204:                             ;   in Loop: Header=BB12_3077 Depth=3
	s_and_not1_saveexec_b32 s40, s40
; %bb.3205:                             ;   in Loop: Header=BB12_3077 Depth=3
	v_and_b32_e32 v25, 0xffff, v24
	v_or_b32_e32 v27, 0x10000, v24
	s_delay_alu instid0(VALU_DEP_2) | instskip(NEXT) | instid1(VALU_DEP_2)
	v_cmp_eq_u32_e32 vcc_lo, 0, v25
	v_cndmask_b32_e32 v25, v27, v24, vcc_lo
; %bb.3206:                             ;   in Loop: Header=BB12_3077 Depth=3
	s_or_b32 exec_lo, exec_lo, s40
	v_and_b32_e32 v1, 0xffff0000, v1
	v_lshlrev_b32_e32 v24, 16, v20
	s_delay_alu instid0(VALU_DEP_1) | instskip(NEXT) | instid1(VALU_DEP_1)
	v_add_f32_e32 v24, v24, v1
	v_and_b32_e32 v1, 0x7f800000, v24
	s_delay_alu instid0(VALU_DEP_1) | instskip(SKIP_1) | instid1(SALU_CYCLE_1)
	v_cmp_ne_u32_e32 vcc_lo, 0x7f800000, v1
                                        ; implicit-def: $vgpr1
	s_and_saveexec_b32 s40, vcc_lo
	s_xor_b32 s40, exec_lo, s40
; %bb.3207:                             ;   in Loop: Header=BB12_3077 Depth=3
	v_bfe_u32 v1, v24, 16, 1
	s_delay_alu instid0(VALU_DEP_1)
	v_add3_u32 v1, v24, v1, 0x7fff
                                        ; implicit-def: $vgpr24
; %bb.3208:                             ;   in Loop: Header=BB12_3077 Depth=3
	s_and_not1_saveexec_b32 s40, s40
; %bb.3209:                             ;   in Loop: Header=BB12_3077 Depth=3
	v_and_b32_e32 v1, 0xffff, v24
	v_or_b32_e32 v27, 0x10000, v24
	s_delay_alu instid0(VALU_DEP_2) | instskip(NEXT) | instid1(VALU_DEP_2)
	v_cmp_eq_u32_e32 vcc_lo, 0, v1
	v_cndmask_b32_e32 v1, v27, v24, vcc_lo
; %bb.3210:                             ;   in Loop: Header=BB12_3077 Depth=3
	s_or_b32 exec_lo, exec_lo, s40
	v_and_b32_e32 v24, 0xffff0000, v20
	v_and_b32_e32 v0, 0xffff0000, v0
	s_delay_alu instid0(VALU_DEP_1) | instskip(NEXT) | instid1(VALU_DEP_1)
	v_add_f32_e32 v0, v24, v0
	v_and_b32_e32 v24, 0x7f800000, v0
	s_delay_alu instid0(VALU_DEP_1) | instskip(SKIP_1) | instid1(SALU_CYCLE_1)
	v_cmp_ne_u32_e32 vcc_lo, 0x7f800000, v24
                                        ; implicit-def: $vgpr24
	s_and_saveexec_b32 s40, vcc_lo
	s_xor_b32 s40, exec_lo, s40
; %bb.3211:                             ;   in Loop: Header=BB12_3077 Depth=3
	v_bfe_u32 v24, v0, 16, 1
	s_delay_alu instid0(VALU_DEP_1)
	v_add3_u32 v24, v0, v24, 0x7fff
                                        ; implicit-def: $vgpr0
; %bb.3212:                             ;   in Loop: Header=BB12_3077 Depth=3
	s_and_not1_saveexec_b32 s40, s40
; %bb.3213:                             ;   in Loop: Header=BB12_3077 Depth=3
	v_and_b32_e32 v24, 0xffff, v0
	v_or_b32_e32 v27, 0x10000, v0
	s_delay_alu instid0(VALU_DEP_2) | instskip(NEXT) | instid1(VALU_DEP_2)
	v_cmp_eq_u32_e32 vcc_lo, 0, v24
	v_cndmask_b32_e32 v24, v27, v0, vcc_lo
; %bb.3214:                             ;   in Loop: Header=BB12_3077 Depth=3
	s_or_b32 exec_lo, exec_lo, s40
	v_and_b32_e32 v0, 0xffff0000, v120
	v_lshlrev_b32_e32 v27, 16, v21
	s_delay_alu instid0(VALU_DEP_1) | instskip(NEXT) | instid1(VALU_DEP_1)
	v_add_f32_e32 v27, v27, v0
	v_and_b32_e32 v0, 0x7f800000, v27
	s_delay_alu instid0(VALU_DEP_1) | instskip(SKIP_1) | instid1(SALU_CYCLE_1)
	v_cmp_ne_u32_e32 vcc_lo, 0x7f800000, v0
                                        ; implicit-def: $vgpr0
	s_and_saveexec_b32 s40, vcc_lo
	s_xor_b32 s40, exec_lo, s40
; %bb.3215:                             ;   in Loop: Header=BB12_3077 Depth=3
	v_bfe_u32 v0, v27, 16, 1
	s_delay_alu instid0(VALU_DEP_1)
	v_add3_u32 v0, v27, v0, 0x7fff
                                        ; implicit-def: $vgpr27
; %bb.3216:                             ;   in Loop: Header=BB12_3077 Depth=3
	s_and_not1_saveexec_b32 s40, s40
; %bb.3217:                             ;   in Loop: Header=BB12_3077 Depth=3
	v_and_b32_e32 v0, 0xffff, v27
	v_or_b32_e32 v90, 0x10000, v27
	s_delay_alu instid0(VALU_DEP_2) | instskip(NEXT) | instid1(VALU_DEP_2)
	v_cmp_eq_u32_e32 vcc_lo, 0, v0
	v_cndmask_b32_e32 v0, v90, v27, vcc_lo
; %bb.3218:                             ;   in Loop: Header=BB12_3077 Depth=3
	s_or_b32 exec_lo, exec_lo, s40
	v_and_b32_e32 v27, 0xffff0000, v21
	v_and_b32_e32 v44, 0xffff0000, v44
	s_delay_alu instid0(VALU_DEP_1) | instskip(NEXT) | instid1(VALU_DEP_1)
	v_add_f32_e32 v44, v27, v44
	v_and_b32_e32 v27, 0x7f800000, v44
	s_delay_alu instid0(VALU_DEP_1) | instskip(SKIP_1) | instid1(SALU_CYCLE_1)
	v_cmp_ne_u32_e32 vcc_lo, 0x7f800000, v27
                                        ; implicit-def: $vgpr27
	s_and_saveexec_b32 s40, vcc_lo
	s_xor_b32 s40, exec_lo, s40
; %bb.3219:                             ;   in Loop: Header=BB12_3077 Depth=3
	v_bfe_u32 v27, v44, 16, 1
	s_delay_alu instid0(VALU_DEP_1)
	v_add3_u32 v27, v44, v27, 0x7fff
                                        ; implicit-def: $vgpr44
; %bb.3220:                             ;   in Loop: Header=BB12_3077 Depth=3
	s_and_not1_saveexec_b32 s40, s40
; %bb.3221:                             ;   in Loop: Header=BB12_3077 Depth=3
	v_and_b32_e32 v27, 0xffff, v44
	v_or_b32_e32 v90, 0x10000, v44
	s_delay_alu instid0(VALU_DEP_2) | instskip(NEXT) | instid1(VALU_DEP_2)
	v_cmp_eq_u32_e32 vcc_lo, 0, v27
	v_cndmask_b32_e32 v27, v90, v44, vcc_lo
; %bb.3222:                             ;   in Loop: Header=BB12_3077 Depth=3
	s_or_b32 exec_lo, exec_lo, s40
	v_and_b32_e32 v44, 0xffff0000, v45
	v_lshlrev_b32_e32 v45, 16, v22
	s_delay_alu instid0(VALU_DEP_1) | instskip(NEXT) | instid1(VALU_DEP_1)
	v_add_f32_e32 v45, v45, v44
	v_and_b32_e32 v44, 0x7f800000, v45
	s_delay_alu instid0(VALU_DEP_1) | instskip(SKIP_1) | instid1(SALU_CYCLE_1)
	v_cmp_ne_u32_e32 vcc_lo, 0x7f800000, v44
                                        ; implicit-def: $vgpr44
	s_and_saveexec_b32 s40, vcc_lo
	s_xor_b32 s40, exec_lo, s40
; %bb.3223:                             ;   in Loop: Header=BB12_3077 Depth=3
	v_bfe_u32 v44, v45, 16, 1
	s_delay_alu instid0(VALU_DEP_1)
	v_add3_u32 v44, v45, v44, 0x7fff
                                        ; implicit-def: $vgpr45
; %bb.3224:                             ;   in Loop: Header=BB12_3077 Depth=3
	s_and_not1_saveexec_b32 s40, s40
; %bb.3225:                             ;   in Loop: Header=BB12_3077 Depth=3
	v_and_b32_e32 v44, 0xffff, v45
	v_or_b32_e32 v90, 0x10000, v45
	s_delay_alu instid0(VALU_DEP_2) | instskip(NEXT) | instid1(VALU_DEP_2)
	v_cmp_eq_u32_e32 vcc_lo, 0, v44
	v_cndmask_b32_e32 v44, v90, v45, vcc_lo
; %bb.3226:                             ;   in Loop: Header=BB12_3077 Depth=3
	s_or_b32 exec_lo, exec_lo, s40
	v_and_b32_e32 v45, 0xffff0000, v22
	v_and_b32_e32 v6, 0xffff0000, v6
	s_delay_alu instid0(VALU_DEP_1) | instskip(NEXT) | instid1(VALU_DEP_1)
	v_add_f32_e32 v45, v45, v6
	v_and_b32_e32 v6, 0x7f800000, v45
	s_delay_alu instid0(VALU_DEP_1) | instskip(SKIP_1) | instid1(SALU_CYCLE_1)
	v_cmp_ne_u32_e32 vcc_lo, 0x7f800000, v6
                                        ; implicit-def: $vgpr6
	s_and_saveexec_b32 s40, vcc_lo
	s_xor_b32 s40, exec_lo, s40
; %bb.3227:                             ;   in Loop: Header=BB12_3077 Depth=3
	v_bfe_u32 v6, v45, 16, 1
	s_delay_alu instid0(VALU_DEP_1)
	v_add3_u32 v6, v45, v6, 0x7fff
                                        ; implicit-def: $vgpr45
; %bb.3228:                             ;   in Loop: Header=BB12_3077 Depth=3
	s_and_not1_saveexec_b32 s40, s40
; %bb.3229:                             ;   in Loop: Header=BB12_3077 Depth=3
	v_and_b32_e32 v6, 0xffff, v45
	v_or_b32_e32 v90, 0x10000, v45
	s_delay_alu instid0(VALU_DEP_2) | instskip(NEXT) | instid1(VALU_DEP_2)
	v_cmp_eq_u32_e32 vcc_lo, 0, v6
	v_cndmask_b32_e32 v6, v90, v45, vcc_lo
; %bb.3230:                             ;   in Loop: Header=BB12_3077 Depth=3
	s_or_b32 exec_lo, exec_lo, s40
	v_and_b32_e32 v7, 0xffff0000, v7
	v_lshlrev_b32_e32 v45, 16, v23
	s_delay_alu instid0(VALU_DEP_1) | instskip(NEXT) | instid1(VALU_DEP_1)
	v_add_f32_e32 v45, v45, v7
	v_and_b32_e32 v7, 0x7f800000, v45
	s_delay_alu instid0(VALU_DEP_1) | instskip(SKIP_1) | instid1(SALU_CYCLE_1)
	v_cmp_ne_u32_e32 vcc_lo, 0x7f800000, v7
                                        ; implicit-def: $vgpr7
	s_and_saveexec_b32 s40, vcc_lo
	s_xor_b32 s40, exec_lo, s40
; %bb.3231:                             ;   in Loop: Header=BB12_3077 Depth=3
	v_bfe_u32 v7, v45, 16, 1
	s_delay_alu instid0(VALU_DEP_1)
	v_add3_u32 v7, v45, v7, 0x7fff
                                        ; implicit-def: $vgpr45
; %bb.3232:                             ;   in Loop: Header=BB12_3077 Depth=3
	s_and_not1_saveexec_b32 s40, s40
; %bb.3233:                             ;   in Loop: Header=BB12_3077 Depth=3
	v_and_b32_e32 v7, 0xffff, v45
	v_or_b32_e32 v90, 0x10000, v45
	s_delay_alu instid0(VALU_DEP_2) | instskip(NEXT) | instid1(VALU_DEP_2)
	v_cmp_eq_u32_e32 vcc_lo, 0, v7
	v_cndmask_b32_e32 v7, v90, v45, vcc_lo
; %bb.3234:                             ;   in Loop: Header=BB12_3077 Depth=3
	s_or_b32 exec_lo, exec_lo, s40
	v_and_b32_e32 v45, 0xffff0000, v23
	v_and_b32_e32 v46, 0xffff0000, v46
	s_delay_alu instid0(VALU_DEP_1) | instskip(NEXT) | instid1(VALU_DEP_1)
	v_add_f32_e32 v46, v45, v46
	v_and_b32_e32 v45, 0x7f800000, v46
	s_delay_alu instid0(VALU_DEP_1) | instskip(SKIP_1) | instid1(SALU_CYCLE_1)
	v_cmp_ne_u32_e32 vcc_lo, 0x7f800000, v45
                                        ; implicit-def: $vgpr45
	s_and_saveexec_b32 s40, vcc_lo
	s_xor_b32 s40, exec_lo, s40
; %bb.3235:                             ;   in Loop: Header=BB12_3077 Depth=3
	v_bfe_u32 v45, v46, 16, 1
	s_delay_alu instid0(VALU_DEP_1)
	v_add3_u32 v45, v46, v45, 0x7fff
                                        ; implicit-def: $vgpr46
; %bb.3236:                             ;   in Loop: Header=BB12_3077 Depth=3
	s_and_not1_saveexec_b32 s40, s40
; %bb.3237:                             ;   in Loop: Header=BB12_3077 Depth=3
	v_and_b32_e32 v45, 0xffff, v46
	v_or_b32_e32 v90, 0x10000, v46
	s_delay_alu instid0(VALU_DEP_2) | instskip(NEXT) | instid1(VALU_DEP_2)
	v_cmp_eq_u32_e32 vcc_lo, 0, v45
	v_cndmask_b32_e32 v45, v90, v46, vcc_lo
; %bb.3238:                             ;   in Loop: Header=BB12_3077 Depth=3
	s_or_b32 exec_lo, exec_lo, s40
	v_and_b32_e32 v46, 0xffff0000, v47
	v_lshlrev_b32_e32 v47, 16, v16
	s_delay_alu instid0(VALU_DEP_1) | instskip(NEXT) | instid1(VALU_DEP_1)
	v_add_f32_e32 v47, v47, v46
	v_and_b32_e32 v46, 0x7f800000, v47
	s_delay_alu instid0(VALU_DEP_1) | instskip(SKIP_1) | instid1(SALU_CYCLE_1)
	v_cmp_ne_u32_e32 vcc_lo, 0x7f800000, v46
                                        ; implicit-def: $vgpr46
	s_and_saveexec_b32 s40, vcc_lo
	s_xor_b32 s40, exec_lo, s40
; %bb.3239:                             ;   in Loop: Header=BB12_3077 Depth=3
	v_bfe_u32 v46, v47, 16, 1
	s_delay_alu instid0(VALU_DEP_1)
	v_add3_u32 v46, v47, v46, 0x7fff
                                        ; implicit-def: $vgpr47
; %bb.3240:                             ;   in Loop: Header=BB12_3077 Depth=3
	s_and_not1_saveexec_b32 s40, s40
; %bb.3241:                             ;   in Loop: Header=BB12_3077 Depth=3
	v_and_b32_e32 v46, 0xffff, v47
	v_or_b32_e32 v90, 0x10000, v47
	s_delay_alu instid0(VALU_DEP_2) | instskip(NEXT) | instid1(VALU_DEP_2)
	v_cmp_eq_u32_e32 vcc_lo, 0, v46
	v_cndmask_b32_e32 v46, v90, v47, vcc_lo
; %bb.3242:                             ;   in Loop: Header=BB12_3077 Depth=3
	s_or_b32 exec_lo, exec_lo, s40
	v_and_b32_e32 v47, 0xffff0000, v16
	v_and_b32_e32 v90, 0xffff0000, v106
	s_delay_alu instid0(VALU_DEP_1) | instskip(NEXT) | instid1(VALU_DEP_1)
	v_add_f32_e32 v90, v47, v90
	v_and_b32_e32 v47, 0x7f800000, v90
	s_delay_alu instid0(VALU_DEP_1) | instskip(SKIP_1) | instid1(SALU_CYCLE_1)
	v_cmp_ne_u32_e32 vcc_lo, 0x7f800000, v47
                                        ; implicit-def: $vgpr47
	s_and_saveexec_b32 s40, vcc_lo
	s_xor_b32 s40, exec_lo, s40
; %bb.3243:                             ;   in Loop: Header=BB12_3077 Depth=3
	v_bfe_u32 v47, v90, 16, 1
	s_delay_alu instid0(VALU_DEP_1)
	v_add3_u32 v47, v90, v47, 0x7fff
                                        ; implicit-def: $vgpr90
; %bb.3244:                             ;   in Loop: Header=BB12_3077 Depth=3
	s_and_not1_saveexec_b32 s40, s40
; %bb.3245:                             ;   in Loop: Header=BB12_3077 Depth=3
	v_and_b32_e32 v47, 0xffff, v90
	v_or_b32_e32 v94, 0x10000, v90
	s_delay_alu instid0(VALU_DEP_2) | instskip(NEXT) | instid1(VALU_DEP_2)
	v_cmp_eq_u32_e32 vcc_lo, 0, v47
	v_cndmask_b32_e32 v47, v94, v90, vcc_lo
; %bb.3246:                             ;   in Loop: Header=BB12_3077 Depth=3
	s_or_b32 exec_lo, exec_lo, s40
	v_and_b32_e32 v90, 0xffff0000, v107
	v_lshlrev_b32_e32 v94, 16, v17
	s_mov_b32 s40, exec_lo
                                        ; implicit-def: $vgpr106
	s_delay_alu instid0(VALU_DEP_1) | instskip(NEXT) | instid1(VALU_DEP_1)
	v_add_f32_e32 v90, v94, v90
	v_and_b32_e32 v94, 0x7f800000, v90
	s_delay_alu instid0(VALU_DEP_1)
	v_cmpx_ne_u32_e32 0x7f800000, v94
	s_xor_b32 s40, exec_lo, s40
; %bb.3247:                             ;   in Loop: Header=BB12_3077 Depth=3
	v_bfe_u32 v94, v90, 16, 1
	s_delay_alu instid0(VALU_DEP_1)
	v_add3_u32 v106, v90, v94, 0x7fff
                                        ; implicit-def: $vgpr90
; %bb.3248:                             ;   in Loop: Header=BB12_3077 Depth=3
	s_and_not1_saveexec_b32 s40, s40
; %bb.3249:                             ;   in Loop: Header=BB12_3077 Depth=3
	v_and_b32_e32 v94, 0xffff, v90
	v_or_b32_e32 v95, 0x10000, v90
	s_delay_alu instid0(VALU_DEP_2) | instskip(NEXT) | instid1(VALU_DEP_2)
	v_cmp_eq_u32_e32 vcc_lo, 0, v94
	v_cndmask_b32_e32 v106, v95, v90, vcc_lo
; %bb.3250:                             ;   in Loop: Header=BB12_3077 Depth=3
	s_or_b32 exec_lo, exec_lo, s40
	v_and_b32_e32 v90, 0xffff0000, v17
	v_and_b32_e32 v78, 0xffff0000, v78
	s_delay_alu instid0(VALU_DEP_1) | instskip(NEXT) | instid1(VALU_DEP_1)
	v_add_f32_e32 v90, v90, v78
	v_and_b32_e32 v78, 0x7f800000, v90
	s_delay_alu instid0(VALU_DEP_1) | instskip(SKIP_1) | instid1(SALU_CYCLE_1)
	v_cmp_ne_u32_e32 vcc_lo, 0x7f800000, v78
                                        ; implicit-def: $vgpr78
	s_and_saveexec_b32 s40, vcc_lo
	s_xor_b32 s40, exec_lo, s40
; %bb.3251:                             ;   in Loop: Header=BB12_3077 Depth=3
	v_bfe_u32 v78, v90, 16, 1
	s_delay_alu instid0(VALU_DEP_1)
	v_add3_u32 v78, v90, v78, 0x7fff
                                        ; implicit-def: $vgpr90
; %bb.3252:                             ;   in Loop: Header=BB12_3077 Depth=3
	s_and_not1_saveexec_b32 s40, s40
; %bb.3253:                             ;   in Loop: Header=BB12_3077 Depth=3
	v_and_b32_e32 v78, 0xffff, v90
	v_or_b32_e32 v94, 0x10000, v90
	s_delay_alu instid0(VALU_DEP_2) | instskip(NEXT) | instid1(VALU_DEP_2)
	v_cmp_eq_u32_e32 vcc_lo, 0, v78
	v_cndmask_b32_e32 v78, v94, v90, vcc_lo
; %bb.3254:                             ;   in Loop: Header=BB12_3077 Depth=3
	s_or_b32 exec_lo, exec_lo, s40
	v_and_b32_e32 v79, 0xffff0000, v79
	v_lshlrev_b32_e32 v90, 16, v18
	s_delay_alu instid0(VALU_DEP_1) | instskip(NEXT) | instid1(VALU_DEP_1)
	v_add_f32_e32 v90, v90, v79
	v_and_b32_e32 v79, 0x7f800000, v90
	s_delay_alu instid0(VALU_DEP_1) | instskip(SKIP_1) | instid1(SALU_CYCLE_1)
	v_cmp_ne_u32_e32 vcc_lo, 0x7f800000, v79
                                        ; implicit-def: $vgpr79
	s_and_saveexec_b32 s40, vcc_lo
	s_xor_b32 s40, exec_lo, s40
; %bb.3255:                             ;   in Loop: Header=BB12_3077 Depth=3
	v_bfe_u32 v79, v90, 16, 1
	s_delay_alu instid0(VALU_DEP_1)
	v_add3_u32 v79, v90, v79, 0x7fff
                                        ; implicit-def: $vgpr90
; %bb.3256:                             ;   in Loop: Header=BB12_3077 Depth=3
	s_and_not1_saveexec_b32 s40, s40
; %bb.3257:                             ;   in Loop: Header=BB12_3077 Depth=3
	v_and_b32_e32 v79, 0xffff, v90
	v_or_b32_e32 v94, 0x10000, v90
	s_delay_alu instid0(VALU_DEP_2) | instskip(NEXT) | instid1(VALU_DEP_2)
	v_cmp_eq_u32_e32 vcc_lo, 0, v79
	v_cndmask_b32_e32 v79, v94, v90, vcc_lo
; %bb.3258:                             ;   in Loop: Header=BB12_3077 Depth=3
	s_or_b32 exec_lo, exec_lo, s40
	v_and_b32_e32 v90, 0xffff0000, v18
	v_and_b32_e32 v42, 0xffff0000, v42
	s_delay_alu instid0(VALU_DEP_1) | instskip(NEXT) | instid1(VALU_DEP_1)
	v_add_f32_e32 v90, v90, v42
	v_and_b32_e32 v42, 0x7f800000, v90
	s_delay_alu instid0(VALU_DEP_1) | instskip(SKIP_1) | instid1(SALU_CYCLE_1)
	v_cmp_ne_u32_e32 vcc_lo, 0x7f800000, v42
                                        ; implicit-def: $vgpr42
	s_and_saveexec_b32 s40, vcc_lo
	s_xor_b32 s40, exec_lo, s40
; %bb.3259:                             ;   in Loop: Header=BB12_3077 Depth=3
	v_bfe_u32 v42, v90, 16, 1
	s_delay_alu instid0(VALU_DEP_1)
	v_add3_u32 v42, v90, v42, 0x7fff
                                        ; implicit-def: $vgpr90
; %bb.3260:                             ;   in Loop: Header=BB12_3077 Depth=3
	s_and_not1_saveexec_b32 s40, s40
; %bb.3261:                             ;   in Loop: Header=BB12_3077 Depth=3
	v_and_b32_e32 v42, 0xffff, v90
	v_or_b32_e32 v94, 0x10000, v90
	s_delay_alu instid0(VALU_DEP_2) | instskip(NEXT) | instid1(VALU_DEP_2)
	v_cmp_eq_u32_e32 vcc_lo, 0, v42
	v_cndmask_b32_e32 v42, v94, v90, vcc_lo
; %bb.3262:                             ;   in Loop: Header=BB12_3077 Depth=3
	s_or_b32 exec_lo, exec_lo, s40
	v_and_b32_e32 v43, 0xffff0000, v43
	v_lshlrev_b32_e32 v90, 16, v19
	s_delay_alu instid0(VALU_DEP_1) | instskip(NEXT) | instid1(VALU_DEP_1)
	v_add_f32_e32 v90, v90, v43
	v_and_b32_e32 v43, 0x7f800000, v90
	s_delay_alu instid0(VALU_DEP_1) | instskip(SKIP_1) | instid1(SALU_CYCLE_1)
	v_cmp_ne_u32_e32 vcc_lo, 0x7f800000, v43
                                        ; implicit-def: $vgpr43
	s_and_saveexec_b32 s40, vcc_lo
	s_xor_b32 s40, exec_lo, s40
; %bb.3263:                             ;   in Loop: Header=BB12_3077 Depth=3
	v_bfe_u32 v43, v90, 16, 1
	s_delay_alu instid0(VALU_DEP_1)
	v_add3_u32 v43, v90, v43, 0x7fff
                                        ; implicit-def: $vgpr90
; %bb.3264:                             ;   in Loop: Header=BB12_3077 Depth=3
	s_and_not1_saveexec_b32 s40, s40
; %bb.3265:                             ;   in Loop: Header=BB12_3077 Depth=3
	v_and_b32_e32 v43, 0xffff, v90
	v_or_b32_e32 v94, 0x10000, v90
	s_delay_alu instid0(VALU_DEP_2) | instskip(NEXT) | instid1(VALU_DEP_2)
	v_cmp_eq_u32_e32 vcc_lo, 0, v43
	v_cndmask_b32_e32 v43, v94, v90, vcc_lo
; %bb.3266:                             ;   in Loop: Header=BB12_3077 Depth=3
	s_or_b32 exec_lo, exec_lo, s40
	v_and_b32_e32 v90, 0xffff0000, v19
	v_and_b32_e32 v98, 0xffff0000, v98
	s_delay_alu instid0(VALU_DEP_1) | instskip(NEXT) | instid1(VALU_DEP_1)
	v_add_f32_e32 v90, v90, v98
	v_and_b32_e32 v98, 0x7f800000, v90
	s_delay_alu instid0(VALU_DEP_1) | instskip(SKIP_1) | instid1(SALU_CYCLE_1)
	v_cmp_ne_u32_e32 vcc_lo, 0x7f800000, v98
                                        ; implicit-def: $vgpr98
	s_and_saveexec_b32 s40, vcc_lo
	s_xor_b32 s40, exec_lo, s40
; %bb.3267:                             ;   in Loop: Header=BB12_3077 Depth=3
	v_bfe_u32 v98, v90, 16, 1
	s_delay_alu instid0(VALU_DEP_1)
	v_add3_u32 v98, v90, v98, 0x7fff
                                        ; implicit-def: $vgpr90
; %bb.3268:                             ;   in Loop: Header=BB12_3077 Depth=3
	s_and_not1_saveexec_b32 s40, s40
; %bb.3269:                             ;   in Loop: Header=BB12_3077 Depth=3
	v_and_b32_e32 v98, 0xffff, v90
	v_or_b32_e32 v94, 0x10000, v90
	s_delay_alu instid0(VALU_DEP_2) | instskip(NEXT) | instid1(VALU_DEP_2)
	v_cmp_eq_u32_e32 vcc_lo, 0, v98
	v_cndmask_b32_e32 v98, v94, v90, vcc_lo
; %bb.3270:                             ;   in Loop: Header=BB12_3077 Depth=3
	s_or_b32 exec_lo, exec_lo, s40
	v_and_b32_e32 v99, 0xffff0000, v99
	v_lshlrev_b32_e32 v90, 16, v12
	s_delay_alu instid0(VALU_DEP_1) | instskip(NEXT) | instid1(VALU_DEP_1)
	v_add_f32_e32 v90, v90, v99
	v_and_b32_e32 v99, 0x7f800000, v90
	s_delay_alu instid0(VALU_DEP_1) | instskip(SKIP_1) | instid1(SALU_CYCLE_1)
	v_cmp_ne_u32_e32 vcc_lo, 0x7f800000, v99
                                        ; implicit-def: $vgpr99
	s_and_saveexec_b32 s40, vcc_lo
	s_xor_b32 s40, exec_lo, s40
; %bb.3271:                             ;   in Loop: Header=BB12_3077 Depth=3
	v_bfe_u32 v99, v90, 16, 1
	s_delay_alu instid0(VALU_DEP_1)
	v_add3_u32 v99, v90, v99, 0x7fff
                                        ; implicit-def: $vgpr90
; %bb.3272:                             ;   in Loop: Header=BB12_3077 Depth=3
	s_and_not1_saveexec_b32 s40, s40
; %bb.3273:                             ;   in Loop: Header=BB12_3077 Depth=3
	v_and_b32_e32 v99, 0xffff, v90
	v_or_b32_e32 v94, 0x10000, v90
	s_delay_alu instid0(VALU_DEP_2) | instskip(NEXT) | instid1(VALU_DEP_2)
	v_cmp_eq_u32_e32 vcc_lo, 0, v99
	v_cndmask_b32_e32 v99, v94, v90, vcc_lo
; %bb.3274:                             ;   in Loop: Header=BB12_3077 Depth=3
	s_or_b32 exec_lo, exec_lo, s40
	v_and_b32_e32 v90, 0xffff0000, v12
	v_and_b32_e32 v96, 0xffff0000, v96
	s_delay_alu instid0(VALU_DEP_1) | instskip(NEXT) | instid1(VALU_DEP_1)
	v_add_f32_e32 v90, v90, v96
	v_and_b32_e32 v96, 0x7f800000, v90
	s_delay_alu instid0(VALU_DEP_1) | instskip(SKIP_1) | instid1(SALU_CYCLE_1)
	v_cmp_ne_u32_e32 vcc_lo, 0x7f800000, v96
                                        ; implicit-def: $vgpr96
	s_and_saveexec_b32 s40, vcc_lo
	s_xor_b32 s40, exec_lo, s40
; %bb.3275:                             ;   in Loop: Header=BB12_3077 Depth=3
	v_bfe_u32 v96, v90, 16, 1
	s_delay_alu instid0(VALU_DEP_1)
	v_add3_u32 v96, v90, v96, 0x7fff
                                        ; implicit-def: $vgpr90
; %bb.3276:                             ;   in Loop: Header=BB12_3077 Depth=3
	s_and_not1_saveexec_b32 s40, s40
; %bb.3277:                             ;   in Loop: Header=BB12_3077 Depth=3
	v_and_b32_e32 v96, 0xffff, v90
	v_or_b32_e32 v94, 0x10000, v90
	s_delay_alu instid0(VALU_DEP_2) | instskip(NEXT) | instid1(VALU_DEP_2)
	v_cmp_eq_u32_e32 vcc_lo, 0, v96
	v_cndmask_b32_e32 v96, v94, v90, vcc_lo
; %bb.3278:                             ;   in Loop: Header=BB12_3077 Depth=3
	s_or_b32 exec_lo, exec_lo, s40
	v_and_b32_e32 v97, 0xffff0000, v97
	v_lshlrev_b32_e32 v90, 16, v13
	s_delay_alu instid0(VALU_DEP_1) | instskip(NEXT) | instid1(VALU_DEP_1)
	v_add_f32_e32 v90, v90, v97
	v_and_b32_e32 v97, 0x7f800000, v90
	s_delay_alu instid0(VALU_DEP_1) | instskip(SKIP_1) | instid1(SALU_CYCLE_1)
	v_cmp_ne_u32_e32 vcc_lo, 0x7f800000, v97
                                        ; implicit-def: $vgpr97
	s_and_saveexec_b32 s40, vcc_lo
	s_xor_b32 s40, exec_lo, s40
; %bb.3279:                             ;   in Loop: Header=BB12_3077 Depth=3
	v_bfe_u32 v97, v90, 16, 1
	s_delay_alu instid0(VALU_DEP_1)
	v_add3_u32 v97, v90, v97, 0x7fff
                                        ; implicit-def: $vgpr90
; %bb.3280:                             ;   in Loop: Header=BB12_3077 Depth=3
	s_and_not1_saveexec_b32 s40, s40
; %bb.3281:                             ;   in Loop: Header=BB12_3077 Depth=3
	v_and_b32_e32 v97, 0xffff, v90
	v_or_b32_e32 v94, 0x10000, v90
	s_delay_alu instid0(VALU_DEP_2) | instskip(NEXT) | instid1(VALU_DEP_2)
	v_cmp_eq_u32_e32 vcc_lo, 0, v97
	v_cndmask_b32_e32 v97, v94, v90, vcc_lo
; %bb.3282:                             ;   in Loop: Header=BB12_3077 Depth=3
	s_or_b32 exec_lo, exec_lo, s40
	v_and_b32_e32 v90, 0xffff0000, v13
	v_and_b32_e32 v70, 0xffff0000, v70
	s_delay_alu instid0(VALU_DEP_1) | instskip(NEXT) | instid1(VALU_DEP_1)
	v_add_f32_e32 v90, v90, v70
	v_and_b32_e32 v70, 0x7f800000, v90
	s_delay_alu instid0(VALU_DEP_1) | instskip(SKIP_1) | instid1(SALU_CYCLE_1)
	v_cmp_ne_u32_e32 vcc_lo, 0x7f800000, v70
                                        ; implicit-def: $vgpr70
	s_and_saveexec_b32 s40, vcc_lo
	s_xor_b32 s40, exec_lo, s40
; %bb.3283:                             ;   in Loop: Header=BB12_3077 Depth=3
	v_bfe_u32 v70, v90, 16, 1
	s_delay_alu instid0(VALU_DEP_1)
	v_add3_u32 v70, v90, v70, 0x7fff
                                        ; implicit-def: $vgpr90
; %bb.3284:                             ;   in Loop: Header=BB12_3077 Depth=3
	s_and_not1_saveexec_b32 s40, s40
; %bb.3285:                             ;   in Loop: Header=BB12_3077 Depth=3
	v_and_b32_e32 v70, 0xffff, v90
	v_or_b32_e32 v94, 0x10000, v90
	s_delay_alu instid0(VALU_DEP_2) | instskip(NEXT) | instid1(VALU_DEP_2)
	v_cmp_eq_u32_e32 vcc_lo, 0, v70
	v_cndmask_b32_e32 v70, v94, v90, vcc_lo
; %bb.3286:                             ;   in Loop: Header=BB12_3077 Depth=3
	s_or_b32 exec_lo, exec_lo, s40
	v_and_b32_e32 v71, 0xffff0000, v71
	v_lshlrev_b32_e32 v90, 16, v14
	s_delay_alu instid0(VALU_DEP_1) | instskip(NEXT) | instid1(VALU_DEP_1)
	v_add_f32_e32 v90, v90, v71
	v_and_b32_e32 v71, 0x7f800000, v90
	s_delay_alu instid0(VALU_DEP_1) | instskip(SKIP_1) | instid1(SALU_CYCLE_1)
	v_cmp_ne_u32_e32 vcc_lo, 0x7f800000, v71
                                        ; implicit-def: $vgpr71
	s_and_saveexec_b32 s40, vcc_lo
	s_xor_b32 s40, exec_lo, s40
; %bb.3287:                             ;   in Loop: Header=BB12_3077 Depth=3
	v_bfe_u32 v71, v90, 16, 1
	s_delay_alu instid0(VALU_DEP_1)
	v_add3_u32 v71, v90, v71, 0x7fff
                                        ; implicit-def: $vgpr90
; %bb.3288:                             ;   in Loop: Header=BB12_3077 Depth=3
	s_and_not1_saveexec_b32 s40, s40
; %bb.3289:                             ;   in Loop: Header=BB12_3077 Depth=3
	v_and_b32_e32 v71, 0xffff, v90
	v_or_b32_e32 v94, 0x10000, v90
	s_delay_alu instid0(VALU_DEP_2) | instskip(NEXT) | instid1(VALU_DEP_2)
	v_cmp_eq_u32_e32 vcc_lo, 0, v71
	v_cndmask_b32_e32 v71, v94, v90, vcc_lo
; %bb.3290:                             ;   in Loop: Header=BB12_3077 Depth=3
	s_or_b32 exec_lo, exec_lo, s40
	v_and_b32_e32 v90, 0xffff0000, v14
	v_and_b32_e32 v68, 0xffff0000, v68
	s_delay_alu instid0(VALU_DEP_1) | instskip(NEXT) | instid1(VALU_DEP_1)
	v_add_f32_e32 v90, v90, v68
	v_and_b32_e32 v68, 0x7f800000, v90
	s_delay_alu instid0(VALU_DEP_1) | instskip(SKIP_1) | instid1(SALU_CYCLE_1)
	v_cmp_ne_u32_e32 vcc_lo, 0x7f800000, v68
                                        ; implicit-def: $vgpr68
	s_and_saveexec_b32 s40, vcc_lo
	s_xor_b32 s40, exec_lo, s40
; %bb.3291:                             ;   in Loop: Header=BB12_3077 Depth=3
	v_bfe_u32 v68, v90, 16, 1
	s_delay_alu instid0(VALU_DEP_1)
	v_add3_u32 v68, v90, v68, 0x7fff
                                        ; implicit-def: $vgpr90
; %bb.3292:                             ;   in Loop: Header=BB12_3077 Depth=3
	s_and_not1_saveexec_b32 s40, s40
; %bb.3293:                             ;   in Loop: Header=BB12_3077 Depth=3
	v_and_b32_e32 v68, 0xffff, v90
	v_or_b32_e32 v94, 0x10000, v90
	s_delay_alu instid0(VALU_DEP_2) | instskip(NEXT) | instid1(VALU_DEP_2)
	v_cmp_eq_u32_e32 vcc_lo, 0, v68
	v_cndmask_b32_e32 v68, v94, v90, vcc_lo
; %bb.3294:                             ;   in Loop: Header=BB12_3077 Depth=3
	s_or_b32 exec_lo, exec_lo, s40
	v_and_b32_e32 v69, 0xffff0000, v69
	v_lshlrev_b32_e32 v90, 16, v15
	s_delay_alu instid0(VALU_DEP_1) | instskip(NEXT) | instid1(VALU_DEP_1)
	v_add_f32_e32 v90, v90, v69
	v_and_b32_e32 v69, 0x7f800000, v90
	s_delay_alu instid0(VALU_DEP_1) | instskip(SKIP_1) | instid1(SALU_CYCLE_1)
	v_cmp_ne_u32_e32 vcc_lo, 0x7f800000, v69
                                        ; implicit-def: $vgpr69
	s_and_saveexec_b32 s40, vcc_lo
	s_xor_b32 s40, exec_lo, s40
; %bb.3295:                             ;   in Loop: Header=BB12_3077 Depth=3
	v_bfe_u32 v69, v90, 16, 1
	s_delay_alu instid0(VALU_DEP_1)
	v_add3_u32 v69, v90, v69, 0x7fff
                                        ; implicit-def: $vgpr90
; %bb.3296:                             ;   in Loop: Header=BB12_3077 Depth=3
	s_and_not1_saveexec_b32 s40, s40
; %bb.3297:                             ;   in Loop: Header=BB12_3077 Depth=3
	v_and_b32_e32 v69, 0xffff, v90
	v_or_b32_e32 v94, 0x10000, v90
	s_delay_alu instid0(VALU_DEP_2) | instskip(NEXT) | instid1(VALU_DEP_2)
	v_cmp_eq_u32_e32 vcc_lo, 0, v69
	v_cndmask_b32_e32 v69, v94, v90, vcc_lo
; %bb.3298:                             ;   in Loop: Header=BB12_3077 Depth=3
	s_or_b32 exec_lo, exec_lo, s40
	v_and_b32_e32 v90, 0xffff0000, v15
	v_and_b32_e32 v50, 0xffff0000, v50
	s_mov_b32 s40, exec_lo
                                        ; implicit-def: $vgpr107
	s_delay_alu instid0(VALU_DEP_1) | instskip(NEXT) | instid1(VALU_DEP_1)
	v_add_f32_e32 v50, v90, v50
	v_and_b32_e32 v90, 0x7f800000, v50
	s_delay_alu instid0(VALU_DEP_1)
	v_cmpx_ne_u32_e32 0x7f800000, v90
	s_xor_b32 s40, exec_lo, s40
; %bb.3299:                             ;   in Loop: Header=BB12_3077 Depth=3
	v_bfe_u32 v90, v50, 16, 1
	s_delay_alu instid0(VALU_DEP_1)
	v_add3_u32 v107, v50, v90, 0x7fff
                                        ; implicit-def: $vgpr50
; %bb.3300:                             ;   in Loop: Header=BB12_3077 Depth=3
	s_and_not1_saveexec_b32 s40, s40
; %bb.3301:                             ;   in Loop: Header=BB12_3077 Depth=3
	v_and_b32_e32 v90, 0xffff, v50
	v_or_b32_e32 v94, 0x10000, v50
	s_delay_alu instid0(VALU_DEP_2) | instskip(NEXT) | instid1(VALU_DEP_2)
	v_cmp_eq_u32_e32 vcc_lo, 0, v90
	v_cndmask_b32_e32 v107, v94, v50, vcc_lo
; %bb.3302:                             ;   in Loop: Header=BB12_3077 Depth=3
	s_or_b32 exec_lo, exec_lo, s40
	v_and_b32_e32 v50, 0xffff0000, v51
	v_lshlrev_b32_e32 v51, 16, v8
	s_mov_b32 s40, exec_lo
                                        ; implicit-def: $vgpr120
	s_delay_alu instid0(VALU_DEP_1) | instskip(NEXT) | instid1(VALU_DEP_1)
	v_add_f32_e32 v50, v51, v50
	v_and_b32_e32 v51, 0x7f800000, v50
	s_delay_alu instid0(VALU_DEP_1)
	v_cmpx_ne_u32_e32 0x7f800000, v51
	s_xor_b32 s40, exec_lo, s40
; %bb.3303:                             ;   in Loop: Header=BB12_3077 Depth=3
	v_bfe_u32 v51, v50, 16, 1
	s_delay_alu instid0(VALU_DEP_1)
	v_add3_u32 v120, v50, v51, 0x7fff
                                        ; implicit-def: $vgpr50
; %bb.3304:                             ;   in Loop: Header=BB12_3077 Depth=3
	s_and_not1_saveexec_b32 s40, s40
; %bb.3305:                             ;   in Loop: Header=BB12_3077 Depth=3
	v_and_b32_e32 v51, 0xffff, v50
	v_or_b32_e32 v90, 0x10000, v50
	s_delay_alu instid0(VALU_DEP_2) | instskip(NEXT) | instid1(VALU_DEP_2)
	v_cmp_eq_u32_e32 vcc_lo, 0, v51
	v_cndmask_b32_e32 v120, v90, v50, vcc_lo
; %bb.3306:                             ;   in Loop: Header=BB12_3077 Depth=3
	s_or_b32 exec_lo, exec_lo, s40
	v_and_b32_e32 v50, 0xffff0000, v8
	v_and_b32_e32 v48, 0xffff0000, v48
	s_mov_b32 s40, exec_lo
                                        ; implicit-def: $vgpr121
	s_delay_alu instid0(VALU_DEP_1) | instskip(NEXT) | instid1(VALU_DEP_1)
	v_add_f32_e32 v48, v50, v48
	v_and_b32_e32 v50, 0x7f800000, v48
	s_delay_alu instid0(VALU_DEP_1)
	v_cmpx_ne_u32_e32 0x7f800000, v50
	s_xor_b32 s40, exec_lo, s40
; %bb.3307:                             ;   in Loop: Header=BB12_3077 Depth=3
	v_bfe_u32 v50, v48, 16, 1
	s_delay_alu instid0(VALU_DEP_1)
	v_add3_u32 v121, v48, v50, 0x7fff
                                        ; implicit-def: $vgpr48
; %bb.3308:                             ;   in Loop: Header=BB12_3077 Depth=3
	s_and_not1_saveexec_b32 s40, s40
; %bb.3309:                             ;   in Loop: Header=BB12_3077 Depth=3
	v_and_b32_e32 v50, 0xffff, v48
	v_or_b32_e32 v51, 0x10000, v48
	s_delay_alu instid0(VALU_DEP_2) | instskip(NEXT) | instid1(VALU_DEP_2)
	v_cmp_eq_u32_e32 vcc_lo, 0, v50
	v_cndmask_b32_e32 v121, v51, v48, vcc_lo
; %bb.3310:                             ;   in Loop: Header=BB12_3077 Depth=3
	s_or_b32 exec_lo, exec_lo, s40
	v_and_b32_e32 v48, 0xffff0000, v49
	v_lshlrev_b32_e32 v49, 16, v9
	s_mov_b32 s40, exec_lo
                                        ; implicit-def: $vgpr122
	s_delay_alu instid0(VALU_DEP_1) | instskip(NEXT) | instid1(VALU_DEP_1)
	v_add_f32_e32 v48, v49, v48
	v_and_b32_e32 v49, 0x7f800000, v48
	s_delay_alu instid0(VALU_DEP_1)
	v_cmpx_ne_u32_e32 0x7f800000, v49
	s_xor_b32 s40, exec_lo, s40
; %bb.3311:                             ;   in Loop: Header=BB12_3077 Depth=3
	v_bfe_u32 v49, v48, 16, 1
	s_delay_alu instid0(VALU_DEP_1)
	v_add3_u32 v122, v48, v49, 0x7fff
                                        ; implicit-def: $vgpr48
; %bb.3312:                             ;   in Loop: Header=BB12_3077 Depth=3
	s_and_not1_saveexec_b32 s40, s40
; %bb.3313:                             ;   in Loop: Header=BB12_3077 Depth=3
	v_and_b32_e32 v49, 0xffff, v48
	v_or_b32_e32 v50, 0x10000, v48
	s_delay_alu instid0(VALU_DEP_2) | instskip(NEXT) | instid1(VALU_DEP_2)
	v_cmp_eq_u32_e32 vcc_lo, 0, v49
	v_cndmask_b32_e32 v122, v50, v48, vcc_lo
; %bb.3314:                             ;   in Loop: Header=BB12_3077 Depth=3
	s_or_b32 exec_lo, exec_lo, s40
	v_and_b32_e32 v48, 0xffff0000, v9
	v_and_b32_e32 v30, 0xffff0000, v30
	s_delay_alu instid0(VALU_DEP_1) | instskip(NEXT) | instid1(VALU_DEP_1)
	v_add_f32_e32 v48, v48, v30
	v_and_b32_e32 v30, 0x7f800000, v48
	s_delay_alu instid0(VALU_DEP_1) | instskip(SKIP_1) | instid1(SALU_CYCLE_1)
	v_cmp_ne_u32_e32 vcc_lo, 0x7f800000, v30
                                        ; implicit-def: $vgpr30
	s_and_saveexec_b32 s40, vcc_lo
	s_xor_b32 s40, exec_lo, s40
; %bb.3315:                             ;   in Loop: Header=BB12_3077 Depth=3
	v_bfe_u32 v30, v48, 16, 1
	s_delay_alu instid0(VALU_DEP_1)
	v_add3_u32 v30, v48, v30, 0x7fff
                                        ; implicit-def: $vgpr48
; %bb.3316:                             ;   in Loop: Header=BB12_3077 Depth=3
	s_and_not1_saveexec_b32 s40, s40
; %bb.3317:                             ;   in Loop: Header=BB12_3077 Depth=3
	v_and_b32_e32 v30, 0xffff, v48
	v_or_b32_e32 v49, 0x10000, v48
	s_delay_alu instid0(VALU_DEP_2) | instskip(NEXT) | instid1(VALU_DEP_2)
	v_cmp_eq_u32_e32 vcc_lo, 0, v30
	v_cndmask_b32_e32 v30, v49, v48, vcc_lo
; %bb.3318:                             ;   in Loop: Header=BB12_3077 Depth=3
	s_or_b32 exec_lo, exec_lo, s40
	v_and_b32_e32 v31, 0xffff0000, v31
	v_lshlrev_b32_e32 v48, 16, v10
	s_delay_alu instid0(VALU_DEP_1) | instskip(NEXT) | instid1(VALU_DEP_1)
	v_add_f32_e32 v48, v48, v31
	v_and_b32_e32 v31, 0x7f800000, v48
	s_delay_alu instid0(VALU_DEP_1) | instskip(SKIP_1) | instid1(SALU_CYCLE_1)
	v_cmp_ne_u32_e32 vcc_lo, 0x7f800000, v31
                                        ; implicit-def: $vgpr31
	s_and_saveexec_b32 s40, vcc_lo
	s_xor_b32 s40, exec_lo, s40
; %bb.3319:                             ;   in Loop: Header=BB12_3077 Depth=3
	v_bfe_u32 v31, v48, 16, 1
	s_delay_alu instid0(VALU_DEP_1)
	v_add3_u32 v31, v48, v31, 0x7fff
                                        ; implicit-def: $vgpr48
; %bb.3320:                             ;   in Loop: Header=BB12_3077 Depth=3
	s_and_not1_saveexec_b32 s40, s40
; %bb.3321:                             ;   in Loop: Header=BB12_3077 Depth=3
	v_and_b32_e32 v31, 0xffff, v48
	v_or_b32_e32 v49, 0x10000, v48
	s_delay_alu instid0(VALU_DEP_2) | instskip(NEXT) | instid1(VALU_DEP_2)
	v_cmp_eq_u32_e32 vcc_lo, 0, v31
	v_cndmask_b32_e32 v31, v49, v48, vcc_lo
; %bb.3322:                             ;   in Loop: Header=BB12_3077 Depth=3
	s_or_b32 exec_lo, exec_lo, s40
	v_and_b32_e32 v48, 0xffff0000, v10
	v_and_b32_e32 v26, 0xffff0000, v26
	s_delay_alu instid0(VALU_DEP_1) | instskip(NEXT) | instid1(VALU_DEP_1)
	v_add_f32_e32 v48, v48, v26
	v_and_b32_e32 v26, 0x7f800000, v48
	s_delay_alu instid0(VALU_DEP_1) | instskip(SKIP_1) | instid1(SALU_CYCLE_1)
	v_cmp_ne_u32_e32 vcc_lo, 0x7f800000, v26
                                        ; implicit-def: $vgpr26
	s_and_saveexec_b32 s40, vcc_lo
	s_xor_b32 s40, exec_lo, s40
; %bb.3323:                             ;   in Loop: Header=BB12_3077 Depth=3
	v_bfe_u32 v26, v48, 16, 1
	s_delay_alu instid0(VALU_DEP_1)
	v_add3_u32 v26, v48, v26, 0x7fff
                                        ; implicit-def: $vgpr48
; %bb.3324:                             ;   in Loop: Header=BB12_3077 Depth=3
	s_and_not1_saveexec_b32 s40, s40
; %bb.3325:                             ;   in Loop: Header=BB12_3077 Depth=3
	v_and_b32_e32 v26, 0xffff, v48
	v_or_b32_e32 v49, 0x10000, v48
	s_delay_alu instid0(VALU_DEP_2) | instskip(NEXT) | instid1(VALU_DEP_2)
	v_cmp_eq_u32_e32 vcc_lo, 0, v26
	v_cndmask_b32_e32 v26, v49, v48, vcc_lo
; %bb.3326:                             ;   in Loop: Header=BB12_3077 Depth=3
	s_or_b32 exec_lo, exec_lo, s40
	v_and_b32_e32 v29, 0xffff0000, v29
	v_lshlrev_b32_e32 v48, 16, v11
	s_delay_alu instid0(VALU_DEP_1) | instskip(NEXT) | instid1(VALU_DEP_1)
	v_add_f32_e32 v48, v48, v29
	v_and_b32_e32 v29, 0x7f800000, v48
	s_delay_alu instid0(VALU_DEP_1) | instskip(SKIP_1) | instid1(SALU_CYCLE_1)
	v_cmp_ne_u32_e32 vcc_lo, 0x7f800000, v29
                                        ; implicit-def: $vgpr29
	s_and_saveexec_b32 s40, vcc_lo
	s_xor_b32 s40, exec_lo, s40
; %bb.3327:                             ;   in Loop: Header=BB12_3077 Depth=3
	v_bfe_u32 v29, v48, 16, 1
	s_delay_alu instid0(VALU_DEP_1)
	v_add3_u32 v29, v48, v29, 0x7fff
                                        ; implicit-def: $vgpr48
; %bb.3328:                             ;   in Loop: Header=BB12_3077 Depth=3
	s_and_not1_saveexec_b32 s40, s40
; %bb.3329:                             ;   in Loop: Header=BB12_3077 Depth=3
	v_and_b32_e32 v29, 0xffff, v48
	v_or_b32_e32 v49, 0x10000, v48
	s_delay_alu instid0(VALU_DEP_2) | instskip(NEXT) | instid1(VALU_DEP_2)
	v_cmp_eq_u32_e32 vcc_lo, 0, v29
	v_cndmask_b32_e32 v29, v49, v48, vcc_lo
; %bb.3330:                             ;   in Loop: Header=BB12_3077 Depth=3
	s_or_b32 exec_lo, exec_lo, s40
	v_and_b32_e32 v48, 0xffff0000, v11
	v_and_b32_e32 v25, 0xffff0000, v25
	s_mov_b32 s40, exec_lo
                                        ; implicit-def: $vgpr90
	s_delay_alu instid0(VALU_DEP_1) | instskip(NEXT) | instid1(VALU_DEP_1)
	v_add_f32_e32 v25, v48, v25
	v_and_b32_e32 v48, 0x7f800000, v25
	s_delay_alu instid0(VALU_DEP_1)
	v_cmpx_ne_u32_e32 0x7f800000, v48
	s_xor_b32 s40, exec_lo, s40
; %bb.3331:                             ;   in Loop: Header=BB12_3077 Depth=3
	v_bfe_u32 v48, v25, 16, 1
	s_delay_alu instid0(VALU_DEP_1)
	v_add3_u32 v90, v25, v48, 0x7fff
                                        ; implicit-def: $vgpr25
; %bb.3332:                             ;   in Loop: Header=BB12_3077 Depth=3
	s_and_not1_saveexec_b32 s40, s40
; %bb.3333:                             ;   in Loop: Header=BB12_3077 Depth=3
	v_and_b32_e32 v48, 0xffff, v25
	v_or_b32_e32 v49, 0x10000, v25
	s_delay_alu instid0(VALU_DEP_2) | instskip(NEXT) | instid1(VALU_DEP_2)
	v_cmp_eq_u32_e32 vcc_lo, 0, v48
	v_cndmask_b32_e32 v90, v49, v25, vcc_lo
; %bb.3334:                             ;   in Loop: Header=BB12_3077 Depth=3
	s_or_b32 exec_lo, exec_lo, s40
	v_dual_lshrrev_b32 v25, 16, v97 :: v_dual_lshrrev_b32 v48, 16, v99
	v_dual_lshrrev_b32 v50, 16, v71 :: v_dual_lshrrev_b32 v51, 16, v69
	;; [unrolled: 1-line block ×3, first 2 shown]
	s_delay_alu instid0(VALU_DEP_3) | instskip(SKIP_4) | instid1(VALU_DEP_4)
	v_and_or_b32 v49, 0xffff0000, v70, v25
	v_dual_lshrrev_b32 v25, 16, v46 :: v_dual_lshrrev_b32 v71, 16, v43
	v_lshrrev_b32_e32 v69, 16, v106
	v_and_or_b32 v48, 0xffff0000, v96, v48
	v_and_or_b32 v50, 0xffff0000, v68, v50
	;; [unrolled: 1-line block ×3, first 2 shown]
	v_dual_lshrrev_b32 v25, 16, v79 :: v_dual_lshrrev_b32 v99, 16, v44
	v_and_or_b32 v97, 0xffff0000, v27, v0
	v_and_or_b32 v96, 0xffff0000, v24, v1
	v_dual_lshrrev_b32 v0, 16, v7 :: v_dual_lshrrev_b32 v1, 16, v122
	s_delay_alu instid0(VALU_DEP_4)
	v_and_or_b32 v70, 0xffff0000, v42, v25
	v_and_or_b32 v71, 0xffff0000, v98, v71
	v_and_or_b32 v98, 0xffff0000, v6, v99
	v_dual_lshrrev_b32 v6, 16, v120 :: v_dual_lshrrev_b32 v7, 16, v31
	v_lshrrev_b32_e32 v27, 16, v29
	v_and_or_b32 v99, 0xffff0000, v45, v0
	v_and_or_b32 v25, 0xffff0000, v30, v1
	v_add_nc_u64_e32 v[0:1], 0x800, v[92:93]
	v_and_or_b32 v69, 0xffff0000, v78, v69
	v_and_or_b32 v51, 0xffff0000, v107, v51
	;; [unrolled: 1-line block ×5, first 2 shown]
	s_clause 0x3
	global_store_b128 v[62:63], v[96:99], off th:TH_STORE_NT
	global_store_b128 v[62:63], v[68:71], off offset:512 th:TH_STORE_NT
	global_store_b128 v[62:63], v[48:51], off offset:1024 th:TH_STORE_NT
	;; [unrolled: 1-line block ×3, first 2 shown]
	s_clause 0x3
	global_store_b128 v[4:5], v[96:99], off th:TH_STORE_NT
	global_store_b128 v[4:5], v[68:71], off offset:512 th:TH_STORE_NT
	global_store_b128 v[4:5], v[48:51], off offset:1024 th:TH_STORE_NT
	;; [unrolled: 1-line block ×3, first 2 shown]
	s_wait_xcnt 0x4
	v_add_nc_u64_e32 v[62:63], v[62:63], v[0:1]
	s_wait_xcnt 0x0
	v_add_nc_u64_e32 v[4:5], v[4:5], v[0:1]
.LBB12_3335:                            ;   in Loop: Header=BB12_3077 Depth=3
	s_or_b32 exec_lo, exec_lo, s41
	v_add_nc_u64_e32 v[0:1], 0x800, v[92:93]
	v_sub_nc_u32_e32 v75, v75, v60
	s_delay_alu instid0(VALU_DEP_1) | instskip(NEXT) | instid1(VALU_DEP_3)
	v_cmp_lt_i32_e64 s40, 0, v75
	v_add_nc_u64_e32 v[118:119], v[118:119], v[0:1]
	v_add_nc_u64_e32 v[124:125], v[124:125], v[0:1]
	s_and_saveexec_b32 s41, s40
	s_cbranch_execz .LBB12_3337
; %bb.3336:                             ;   in Loop: Header=BB12_3077 Depth=3
	s_clause 0x3
	global_load_b128 v[96:99], v[118:119], off th:TH_LOAD_NT
	global_load_b128 v[68:71], v[118:119], off offset:512 th:TH_LOAD_NT
	global_load_b128 v[48:51], v[118:119], off offset:1024 th:TH_LOAD_NT
	;; [unrolled: 1-line block ×3, first 2 shown]
	s_clause 0x3
	global_load_b128 v[20:23], v[124:125], off th:TH_LOAD_NT
	global_load_b128 v[16:19], v[124:125], off offset:512 th:TH_LOAD_NT
	global_load_b128 v[12:15], v[124:125], off offset:1024 th:TH_LOAD_NT
	;; [unrolled: 1-line block ×3, first 2 shown]
	s_wait_xcnt 0x4
	v_add_nc_u64_e32 v[118:119], 0x800, v[118:119]
	s_wait_xcnt 0x0
	v_add_nc_u64_e32 v[124:125], 0x800, v[124:125]
.LBB12_3337:                            ;   in Loop: Header=BB12_3077 Depth=3
	s_or_b32 exec_lo, exec_lo, s41
	s_wait_loadcnt 0x7
	v_lshlrev_b32_e32 v0, 16, v112
	s_delay_alu instid0(VALU_DEP_1) | instskip(NEXT) | instid1(VALU_DEP_1)
	v_mul_f32_e32 v0, v2, v0
	v_and_b32_e32 v1, 0x7f800000, v0
	s_delay_alu instid0(VALU_DEP_1) | instskip(SKIP_1) | instid1(SALU_CYCLE_1)
	v_cmp_ne_u32_e32 vcc_lo, 0x7f800000, v1
                                        ; implicit-def: $vgpr1
	s_and_saveexec_b32 s41, vcc_lo
	s_xor_b32 s41, exec_lo, s41
; %bb.3338:                             ;   in Loop: Header=BB12_3077 Depth=3
	v_bfe_u32 v1, v0, 16, 1
	s_delay_alu instid0(VALU_DEP_1)
	v_add3_u32 v1, v0, v1, 0x7fff
                                        ; implicit-def: $vgpr0
; %bb.3339:                             ;   in Loop: Header=BB12_3077 Depth=3
	s_and_not1_saveexec_b32 s41, s41
; %bb.3340:                             ;   in Loop: Header=BB12_3077 Depth=3
	v_and_b32_e32 v1, 0xffff, v0
	v_or_b32_e32 v6, 0x10000, v0
	s_delay_alu instid0(VALU_DEP_2) | instskip(NEXT) | instid1(VALU_DEP_2)
	v_cmp_eq_u32_e32 vcc_lo, 0, v1
	v_cndmask_b32_e32 v1, v6, v0, vcc_lo
; %bb.3341:                             ;   in Loop: Header=BB12_3077 Depth=3
	s_or_b32 exec_lo, exec_lo, s41
	v_and_b32_e32 v0, 0xffff0000, v112
	s_delay_alu instid0(VALU_DEP_1) | instskip(NEXT) | instid1(VALU_DEP_1)
	v_mul_f32_e32 v6, v2, v0
	v_and_b32_e32 v0, 0x7f800000, v6
	s_delay_alu instid0(VALU_DEP_1) | instskip(SKIP_1) | instid1(SALU_CYCLE_1)
	v_cmp_ne_u32_e32 vcc_lo, 0x7f800000, v0
                                        ; implicit-def: $vgpr0
	s_and_saveexec_b32 s41, vcc_lo
	s_xor_b32 s41, exec_lo, s41
; %bb.3342:                             ;   in Loop: Header=BB12_3077 Depth=3
	v_bfe_u32 v0, v6, 16, 1
	s_delay_alu instid0(VALU_DEP_1)
	v_add3_u32 v0, v6, v0, 0x7fff
                                        ; implicit-def: $vgpr6
; %bb.3343:                             ;   in Loop: Header=BB12_3077 Depth=3
	s_and_not1_saveexec_b32 s41, s41
; %bb.3344:                             ;   in Loop: Header=BB12_3077 Depth=3
	v_and_b32_e32 v0, 0xffff, v6
	v_or_b32_e32 v7, 0x10000, v6
	s_delay_alu instid0(VALU_DEP_2) | instskip(NEXT) | instid1(VALU_DEP_2)
	v_cmp_eq_u32_e32 vcc_lo, 0, v0
	v_cndmask_b32_e32 v0, v7, v6, vcc_lo
; %bb.3345:                             ;   in Loop: Header=BB12_3077 Depth=3
	s_or_b32 exec_lo, exec_lo, s41
	v_lshlrev_b32_e32 v6, 16, v113
	s_mov_b32 s41, exec_lo
                                        ; implicit-def: $vgpr120
	s_delay_alu instid0(VALU_DEP_1) | instskip(NEXT) | instid1(VALU_DEP_1)
	v_mul_f32_e32 v6, v2, v6
	v_and_b32_e32 v7, 0x7f800000, v6
	s_delay_alu instid0(VALU_DEP_1)
	v_cmpx_ne_u32_e32 0x7f800000, v7
	s_xor_b32 s41, exec_lo, s41
; %bb.3346:                             ;   in Loop: Header=BB12_3077 Depth=3
	v_bfe_u32 v7, v6, 16, 1
	s_delay_alu instid0(VALU_DEP_1)
	v_add3_u32 v120, v6, v7, 0x7fff
                                        ; implicit-def: $vgpr6
; %bb.3347:                             ;   in Loop: Header=BB12_3077 Depth=3
	s_and_not1_saveexec_b32 s41, s41
; %bb.3348:                             ;   in Loop: Header=BB12_3077 Depth=3
	v_and_b32_e32 v7, 0xffff, v6
	v_or_b32_e32 v29, 0x10000, v6
	s_delay_alu instid0(VALU_DEP_2) | instskip(NEXT) | instid1(VALU_DEP_2)
	v_cmp_eq_u32_e32 vcc_lo, 0, v7
	v_cndmask_b32_e32 v120, v29, v6, vcc_lo
; %bb.3349:                             ;   in Loop: Header=BB12_3077 Depth=3
	s_or_b32 exec_lo, exec_lo, s41
	v_and_b32_e32 v6, 0xffff0000, v113
	s_mov_b32 s41, exec_lo
                                        ; implicit-def: $vgpr44
	s_delay_alu instid0(VALU_DEP_1) | instskip(NEXT) | instid1(VALU_DEP_1)
	v_mul_f32_e32 v6, v2, v6
	v_and_b32_e32 v7, 0x7f800000, v6
	s_delay_alu instid0(VALU_DEP_1)
	v_cmpx_ne_u32_e32 0x7f800000, v7
	s_xor_b32 s41, exec_lo, s41
; %bb.3350:                             ;   in Loop: Header=BB12_3077 Depth=3
	v_bfe_u32 v7, v6, 16, 1
	s_delay_alu instid0(VALU_DEP_1)
	v_add3_u32 v44, v6, v7, 0x7fff
                                        ; implicit-def: $vgpr6
; %bb.3351:                             ;   in Loop: Header=BB12_3077 Depth=3
	s_and_not1_saveexec_b32 s41, s41
; %bb.3352:                             ;   in Loop: Header=BB12_3077 Depth=3
	v_and_b32_e32 v7, 0xffff, v6
	v_or_b32_e32 v29, 0x10000, v6
	s_delay_alu instid0(VALU_DEP_2) | instskip(NEXT) | instid1(VALU_DEP_2)
	v_cmp_eq_u32_e32 vcc_lo, 0, v7
	v_cndmask_b32_e32 v44, v29, v6, vcc_lo
; %bb.3353:                             ;   in Loop: Header=BB12_3077 Depth=3
	s_or_b32 exec_lo, exec_lo, s41
	v_lshlrev_b32_e32 v6, 16, v114
	s_mov_b32 s41, exec_lo
                                        ; implicit-def: $vgpr45
	s_delay_alu instid0(VALU_DEP_1) | instskip(NEXT) | instid1(VALU_DEP_1)
	v_mul_f32_e32 v6, v2, v6
	v_and_b32_e32 v7, 0x7f800000, v6
	s_delay_alu instid0(VALU_DEP_1)
	v_cmpx_ne_u32_e32 0x7f800000, v7
	s_xor_b32 s41, exec_lo, s41
; %bb.3354:                             ;   in Loop: Header=BB12_3077 Depth=3
	v_bfe_u32 v7, v6, 16, 1
	s_delay_alu instid0(VALU_DEP_1)
	v_add3_u32 v45, v6, v7, 0x7fff
                                        ; implicit-def: $vgpr6
; %bb.3355:                             ;   in Loop: Header=BB12_3077 Depth=3
	s_and_not1_saveexec_b32 s41, s41
; %bb.3356:                             ;   in Loop: Header=BB12_3077 Depth=3
	v_and_b32_e32 v7, 0xffff, v6
	v_or_b32_e32 v29, 0x10000, v6
	s_delay_alu instid0(VALU_DEP_2) | instskip(NEXT) | instid1(VALU_DEP_2)
	v_cmp_eq_u32_e32 vcc_lo, 0, v7
	v_cndmask_b32_e32 v45, v29, v6, vcc_lo
; %bb.3357:                             ;   in Loop: Header=BB12_3077 Depth=3
	s_or_b32 exec_lo, exec_lo, s41
	v_and_b32_e32 v6, 0xffff0000, v114
	s_delay_alu instid0(VALU_DEP_1) | instskip(NEXT) | instid1(VALU_DEP_1)
	v_mul_f32_e32 v7, v2, v6
	v_and_b32_e32 v6, 0x7f800000, v7
	s_delay_alu instid0(VALU_DEP_1) | instskip(SKIP_1) | instid1(SALU_CYCLE_1)
	v_cmp_ne_u32_e32 vcc_lo, 0x7f800000, v6
                                        ; implicit-def: $vgpr6
	s_and_saveexec_b32 s41, vcc_lo
	s_xor_b32 s41, exec_lo, s41
; %bb.3358:                             ;   in Loop: Header=BB12_3077 Depth=3
	v_bfe_u32 v6, v7, 16, 1
	s_delay_alu instid0(VALU_DEP_1)
	v_add3_u32 v6, v7, v6, 0x7fff
                                        ; implicit-def: $vgpr7
; %bb.3359:                             ;   in Loop: Header=BB12_3077 Depth=3
	s_and_not1_saveexec_b32 s41, s41
; %bb.3360:                             ;   in Loop: Header=BB12_3077 Depth=3
	v_and_b32_e32 v6, 0xffff, v7
	v_or_b32_e32 v29, 0x10000, v7
	s_delay_alu instid0(VALU_DEP_2) | instskip(NEXT) | instid1(VALU_DEP_2)
	v_cmp_eq_u32_e32 vcc_lo, 0, v6
	v_cndmask_b32_e32 v6, v29, v7, vcc_lo
; %bb.3361:                             ;   in Loop: Header=BB12_3077 Depth=3
	s_or_b32 exec_lo, exec_lo, s41
	v_lshlrev_b32_e32 v7, 16, v115
	s_delay_alu instid0(VALU_DEP_1) | instskip(NEXT) | instid1(VALU_DEP_1)
	v_mul_f32_e32 v29, v2, v7
	v_and_b32_e32 v7, 0x7f800000, v29
	s_delay_alu instid0(VALU_DEP_1) | instskip(SKIP_1) | instid1(SALU_CYCLE_1)
	v_cmp_ne_u32_e32 vcc_lo, 0x7f800000, v7
                                        ; implicit-def: $vgpr7
	s_and_saveexec_b32 s41, vcc_lo
	s_xor_b32 s41, exec_lo, s41
; %bb.3362:                             ;   in Loop: Header=BB12_3077 Depth=3
	v_bfe_u32 v7, v29, 16, 1
	s_delay_alu instid0(VALU_DEP_1)
	v_add3_u32 v7, v29, v7, 0x7fff
                                        ; implicit-def: $vgpr29
; %bb.3363:                             ;   in Loop: Header=BB12_3077 Depth=3
	s_and_not1_saveexec_b32 s41, s41
; %bb.3364:                             ;   in Loop: Header=BB12_3077 Depth=3
	v_and_b32_e32 v7, 0xffff, v29
	v_or_b32_e32 v30, 0x10000, v29
	s_delay_alu instid0(VALU_DEP_2) | instskip(NEXT) | instid1(VALU_DEP_2)
	v_cmp_eq_u32_e32 vcc_lo, 0, v7
	v_cndmask_b32_e32 v7, v30, v29, vcc_lo
; %bb.3365:                             ;   in Loop: Header=BB12_3077 Depth=3
	s_or_b32 exec_lo, exec_lo, s41
	v_and_b32_e32 v29, 0xffff0000, v115
	s_mov_b32 s41, exec_lo
                                        ; implicit-def: $vgpr46
	s_delay_alu instid0(VALU_DEP_1) | instskip(NEXT) | instid1(VALU_DEP_1)
	v_mul_f32_e32 v29, v2, v29
	v_and_b32_e32 v30, 0x7f800000, v29
	s_delay_alu instid0(VALU_DEP_1)
	v_cmpx_ne_u32_e32 0x7f800000, v30
	s_xor_b32 s41, exec_lo, s41
; %bb.3366:                             ;   in Loop: Header=BB12_3077 Depth=3
	v_bfe_u32 v30, v29, 16, 1
	s_delay_alu instid0(VALU_DEP_1)
	v_add3_u32 v46, v29, v30, 0x7fff
                                        ; implicit-def: $vgpr29
; %bb.3367:                             ;   in Loop: Header=BB12_3077 Depth=3
	s_and_not1_saveexec_b32 s41, s41
; %bb.3368:                             ;   in Loop: Header=BB12_3077 Depth=3
	v_and_b32_e32 v30, 0xffff, v29
	v_or_b32_e32 v31, 0x10000, v29
	s_delay_alu instid0(VALU_DEP_2) | instskip(NEXT) | instid1(VALU_DEP_2)
	v_cmp_eq_u32_e32 vcc_lo, 0, v30
	v_cndmask_b32_e32 v46, v31, v29, vcc_lo
; %bb.3369:                             ;   in Loop: Header=BB12_3077 Depth=3
	s_or_b32 exec_lo, exec_lo, s41
	s_wait_loadcnt 0x6
	v_lshlrev_b32_e32 v29, 16, v100
	s_mov_b32 s41, exec_lo
                                        ; implicit-def: $vgpr47
	s_delay_alu instid0(VALU_DEP_1) | instskip(NEXT) | instid1(VALU_DEP_1)
	v_mul_f32_e32 v29, v2, v29
	v_and_b32_e32 v30, 0x7f800000, v29
	s_delay_alu instid0(VALU_DEP_1)
	v_cmpx_ne_u32_e32 0x7f800000, v30
	s_xor_b32 s41, exec_lo, s41
; %bb.3370:                             ;   in Loop: Header=BB12_3077 Depth=3
	v_bfe_u32 v30, v29, 16, 1
	s_delay_alu instid0(VALU_DEP_1)
	v_add3_u32 v47, v29, v30, 0x7fff
                                        ; implicit-def: $vgpr29
; %bb.3371:                             ;   in Loop: Header=BB12_3077 Depth=3
	s_and_not1_saveexec_b32 s41, s41
; %bb.3372:                             ;   in Loop: Header=BB12_3077 Depth=3
	v_and_b32_e32 v30, 0xffff, v29
	v_or_b32_e32 v31, 0x10000, v29
	s_delay_alu instid0(VALU_DEP_2) | instskip(NEXT) | instid1(VALU_DEP_2)
	v_cmp_eq_u32_e32 vcc_lo, 0, v30
	v_cndmask_b32_e32 v47, v31, v29, vcc_lo
; %bb.3373:                             ;   in Loop: Header=BB12_3077 Depth=3
	s_or_b32 exec_lo, exec_lo, s41
	v_and_b32_e32 v29, 0xffff0000, v100
	s_mov_b32 s41, exec_lo
                                        ; implicit-def: $vgpr106
	s_delay_alu instid0(VALU_DEP_1) | instskip(NEXT) | instid1(VALU_DEP_1)
	v_mul_f32_e32 v29, v2, v29
	v_and_b32_e32 v30, 0x7f800000, v29
	s_delay_alu instid0(VALU_DEP_1)
	v_cmpx_ne_u32_e32 0x7f800000, v30
	s_xor_b32 s41, exec_lo, s41
; %bb.3374:                             ;   in Loop: Header=BB12_3077 Depth=3
	v_bfe_u32 v30, v29, 16, 1
	s_delay_alu instid0(VALU_DEP_1)
	v_add3_u32 v106, v29, v30, 0x7fff
                                        ; implicit-def: $vgpr29
; %bb.3375:                             ;   in Loop: Header=BB12_3077 Depth=3
	s_and_not1_saveexec_b32 s41, s41
; %bb.3376:                             ;   in Loop: Header=BB12_3077 Depth=3
	v_and_b32_e32 v30, 0xffff, v29
	v_or_b32_e32 v31, 0x10000, v29
	s_delay_alu instid0(VALU_DEP_2) | instskip(NEXT) | instid1(VALU_DEP_2)
	v_cmp_eq_u32_e32 vcc_lo, 0, v30
	v_cndmask_b32_e32 v106, v31, v29, vcc_lo
; %bb.3377:                             ;   in Loop: Header=BB12_3077 Depth=3
	s_or_b32 exec_lo, exec_lo, s41
	v_lshlrev_b32_e32 v29, 16, v101
	s_mov_b32 s41, exec_lo
                                        ; implicit-def: $vgpr107
	s_delay_alu instid0(VALU_DEP_1) | instskip(NEXT) | instid1(VALU_DEP_1)
	v_mul_f32_e32 v29, v2, v29
	v_and_b32_e32 v30, 0x7f800000, v29
	s_delay_alu instid0(VALU_DEP_1)
	v_cmpx_ne_u32_e32 0x7f800000, v30
	s_xor_b32 s41, exec_lo, s41
; %bb.3378:                             ;   in Loop: Header=BB12_3077 Depth=3
	v_bfe_u32 v30, v29, 16, 1
	s_delay_alu instid0(VALU_DEP_1)
	v_add3_u32 v107, v29, v30, 0x7fff
                                        ; implicit-def: $vgpr29
; %bb.3379:                             ;   in Loop: Header=BB12_3077 Depth=3
	s_and_not1_saveexec_b32 s41, s41
; %bb.3380:                             ;   in Loop: Header=BB12_3077 Depth=3
	v_and_b32_e32 v30, 0xffff, v29
	v_or_b32_e32 v31, 0x10000, v29
	s_delay_alu instid0(VALU_DEP_2) | instskip(NEXT) | instid1(VALU_DEP_2)
	v_cmp_eq_u32_e32 vcc_lo, 0, v30
	v_cndmask_b32_e32 v107, v31, v29, vcc_lo
; %bb.3381:                             ;   in Loop: Header=BB12_3077 Depth=3
	s_or_b32 exec_lo, exec_lo, s41
	v_and_b32_e32 v29, 0xffff0000, v101
	s_mov_b32 s41, exec_lo
                                        ; implicit-def: $vgpr78
	s_delay_alu instid0(VALU_DEP_1) | instskip(NEXT) | instid1(VALU_DEP_1)
	v_mul_f32_e32 v29, v2, v29
	v_and_b32_e32 v30, 0x7f800000, v29
	s_delay_alu instid0(VALU_DEP_1)
	v_cmpx_ne_u32_e32 0x7f800000, v30
	s_xor_b32 s41, exec_lo, s41
; %bb.3382:                             ;   in Loop: Header=BB12_3077 Depth=3
	v_bfe_u32 v30, v29, 16, 1
	s_delay_alu instid0(VALU_DEP_1)
	v_add3_u32 v78, v29, v30, 0x7fff
                                        ; implicit-def: $vgpr29
; %bb.3383:                             ;   in Loop: Header=BB12_3077 Depth=3
	s_and_not1_saveexec_b32 s41, s41
; %bb.3384:                             ;   in Loop: Header=BB12_3077 Depth=3
	v_and_b32_e32 v30, 0xffff, v29
	v_or_b32_e32 v31, 0x10000, v29
	s_delay_alu instid0(VALU_DEP_2) | instskip(NEXT) | instid1(VALU_DEP_2)
	v_cmp_eq_u32_e32 vcc_lo, 0, v30
	v_cndmask_b32_e32 v78, v31, v29, vcc_lo
; %bb.3385:                             ;   in Loop: Header=BB12_3077 Depth=3
	s_or_b32 exec_lo, exec_lo, s41
	v_lshlrev_b32_e32 v29, 16, v102
	s_mov_b32 s41, exec_lo
                                        ; implicit-def: $vgpr79
	s_delay_alu instid0(VALU_DEP_1) | instskip(NEXT) | instid1(VALU_DEP_1)
	v_mul_f32_e32 v29, v2, v29
	v_and_b32_e32 v30, 0x7f800000, v29
	s_delay_alu instid0(VALU_DEP_1)
	v_cmpx_ne_u32_e32 0x7f800000, v30
	s_xor_b32 s41, exec_lo, s41
; %bb.3386:                             ;   in Loop: Header=BB12_3077 Depth=3
	v_bfe_u32 v30, v29, 16, 1
	s_delay_alu instid0(VALU_DEP_1)
	v_add3_u32 v79, v29, v30, 0x7fff
                                        ; implicit-def: $vgpr29
; %bb.3387:                             ;   in Loop: Header=BB12_3077 Depth=3
	s_and_not1_saveexec_b32 s41, s41
; %bb.3388:                             ;   in Loop: Header=BB12_3077 Depth=3
	v_and_b32_e32 v30, 0xffff, v29
	v_or_b32_e32 v31, 0x10000, v29
	s_delay_alu instid0(VALU_DEP_2) | instskip(NEXT) | instid1(VALU_DEP_2)
	v_cmp_eq_u32_e32 vcc_lo, 0, v30
	v_cndmask_b32_e32 v79, v31, v29, vcc_lo
; %bb.3389:                             ;   in Loop: Header=BB12_3077 Depth=3
	s_or_b32 exec_lo, exec_lo, s41
	v_and_b32_e32 v29, 0xffff0000, v102
	s_mov_b32 s41, exec_lo
                                        ; implicit-def: $vgpr42
	s_delay_alu instid0(VALU_DEP_1) | instskip(NEXT) | instid1(VALU_DEP_1)
	v_mul_f32_e32 v29, v2, v29
	v_and_b32_e32 v30, 0x7f800000, v29
	s_delay_alu instid0(VALU_DEP_1)
	v_cmpx_ne_u32_e32 0x7f800000, v30
	s_xor_b32 s41, exec_lo, s41
; %bb.3390:                             ;   in Loop: Header=BB12_3077 Depth=3
	v_bfe_u32 v30, v29, 16, 1
	s_delay_alu instid0(VALU_DEP_1)
	v_add3_u32 v42, v29, v30, 0x7fff
                                        ; implicit-def: $vgpr29
; %bb.3391:                             ;   in Loop: Header=BB12_3077 Depth=3
	s_and_not1_saveexec_b32 s41, s41
; %bb.3392:                             ;   in Loop: Header=BB12_3077 Depth=3
	v_and_b32_e32 v30, 0xffff, v29
	v_or_b32_e32 v31, 0x10000, v29
	s_delay_alu instid0(VALU_DEP_2) | instskip(NEXT) | instid1(VALU_DEP_2)
	v_cmp_eq_u32_e32 vcc_lo, 0, v30
	v_cndmask_b32_e32 v42, v31, v29, vcc_lo
; %bb.3393:                             ;   in Loop: Header=BB12_3077 Depth=3
	s_or_b32 exec_lo, exec_lo, s41
	v_lshlrev_b32_e32 v29, 16, v103
	s_mov_b32 s41, exec_lo
                                        ; implicit-def: $vgpr43
	s_delay_alu instid0(VALU_DEP_1) | instskip(NEXT) | instid1(VALU_DEP_1)
	v_mul_f32_e32 v29, v2, v29
	v_and_b32_e32 v30, 0x7f800000, v29
	s_delay_alu instid0(VALU_DEP_1)
	v_cmpx_ne_u32_e32 0x7f800000, v30
	s_xor_b32 s41, exec_lo, s41
; %bb.3394:                             ;   in Loop: Header=BB12_3077 Depth=3
	v_bfe_u32 v30, v29, 16, 1
	s_delay_alu instid0(VALU_DEP_1)
	v_add3_u32 v43, v29, v30, 0x7fff
                                        ; implicit-def: $vgpr29
; %bb.3395:                             ;   in Loop: Header=BB12_3077 Depth=3
	s_and_not1_saveexec_b32 s41, s41
; %bb.3396:                             ;   in Loop: Header=BB12_3077 Depth=3
	v_and_b32_e32 v30, 0xffff, v29
	v_or_b32_e32 v31, 0x10000, v29
	s_delay_alu instid0(VALU_DEP_2) | instskip(NEXT) | instid1(VALU_DEP_2)
	v_cmp_eq_u32_e32 vcc_lo, 0, v30
	v_cndmask_b32_e32 v43, v31, v29, vcc_lo
; %bb.3397:                             ;   in Loop: Header=BB12_3077 Depth=3
	s_or_b32 exec_lo, exec_lo, s41
	v_and_b32_e32 v29, 0xffff0000, v103
	s_mov_b32 s41, exec_lo
                                        ; implicit-def: $vgpr114
	s_delay_alu instid0(VALU_DEP_1) | instskip(NEXT) | instid1(VALU_DEP_1)
	v_mul_f32_e32 v29, v2, v29
	v_and_b32_e32 v30, 0x7f800000, v29
	s_delay_alu instid0(VALU_DEP_1)
	v_cmpx_ne_u32_e32 0x7f800000, v30
	s_xor_b32 s41, exec_lo, s41
; %bb.3398:                             ;   in Loop: Header=BB12_3077 Depth=3
	v_bfe_u32 v30, v29, 16, 1
	s_delay_alu instid0(VALU_DEP_1)
	v_add3_u32 v114, v29, v30, 0x7fff
                                        ; implicit-def: $vgpr29
; %bb.3399:                             ;   in Loop: Header=BB12_3077 Depth=3
	s_and_not1_saveexec_b32 s41, s41
; %bb.3400:                             ;   in Loop: Header=BB12_3077 Depth=3
	v_and_b32_e32 v30, 0xffff, v29
	v_or_b32_e32 v31, 0x10000, v29
	s_delay_alu instid0(VALU_DEP_2) | instskip(NEXT) | instid1(VALU_DEP_2)
	v_cmp_eq_u32_e32 vcc_lo, 0, v30
	v_cndmask_b32_e32 v114, v31, v29, vcc_lo
; %bb.3401:                             ;   in Loop: Header=BB12_3077 Depth=3
	s_or_b32 exec_lo, exec_lo, s41
	s_wait_loadcnt 0x5
	v_lshlrev_b32_e32 v29, 16, v84
	s_mov_b32 s41, exec_lo
                                        ; implicit-def: $vgpr115
	s_delay_alu instid0(VALU_DEP_1) | instskip(NEXT) | instid1(VALU_DEP_1)
	v_mul_f32_e32 v29, v2, v29
	v_and_b32_e32 v30, 0x7f800000, v29
	s_delay_alu instid0(VALU_DEP_1)
	v_cmpx_ne_u32_e32 0x7f800000, v30
	s_xor_b32 s41, exec_lo, s41
; %bb.3402:                             ;   in Loop: Header=BB12_3077 Depth=3
	v_bfe_u32 v30, v29, 16, 1
	s_delay_alu instid0(VALU_DEP_1)
	v_add3_u32 v115, v29, v30, 0x7fff
                                        ; implicit-def: $vgpr29
; %bb.3403:                             ;   in Loop: Header=BB12_3077 Depth=3
	s_and_not1_saveexec_b32 s41, s41
; %bb.3404:                             ;   in Loop: Header=BB12_3077 Depth=3
	v_and_b32_e32 v30, 0xffff, v29
	v_or_b32_e32 v31, 0x10000, v29
	s_delay_alu instid0(VALU_DEP_2) | instskip(NEXT) | instid1(VALU_DEP_2)
	v_cmp_eq_u32_e32 vcc_lo, 0, v30
	v_cndmask_b32_e32 v115, v31, v29, vcc_lo
; %bb.3405:                             ;   in Loop: Header=BB12_3077 Depth=3
	s_or_b32 exec_lo, exec_lo, s41
	v_and_b32_e32 v29, 0xffff0000, v84
	s_mov_b32 s41, exec_lo
                                        ; implicit-def: $vgpr112
	s_delay_alu instid0(VALU_DEP_1) | instskip(NEXT) | instid1(VALU_DEP_1)
	v_mul_f32_e32 v29, v2, v29
	v_and_b32_e32 v30, 0x7f800000, v29
	s_delay_alu instid0(VALU_DEP_1)
	v_cmpx_ne_u32_e32 0x7f800000, v30
	s_xor_b32 s41, exec_lo, s41
; %bb.3406:                             ;   in Loop: Header=BB12_3077 Depth=3
	v_bfe_u32 v30, v29, 16, 1
	s_delay_alu instid0(VALU_DEP_1)
	v_add3_u32 v112, v29, v30, 0x7fff
                                        ; implicit-def: $vgpr29
; %bb.3407:                             ;   in Loop: Header=BB12_3077 Depth=3
	s_and_not1_saveexec_b32 s41, s41
; %bb.3408:                             ;   in Loop: Header=BB12_3077 Depth=3
	v_and_b32_e32 v30, 0xffff, v29
	v_or_b32_e32 v31, 0x10000, v29
	s_delay_alu instid0(VALU_DEP_2) | instskip(NEXT) | instid1(VALU_DEP_2)
	v_cmp_eq_u32_e32 vcc_lo, 0, v30
	v_cndmask_b32_e32 v112, v31, v29, vcc_lo
; %bb.3409:                             ;   in Loop: Header=BB12_3077 Depth=3
	s_or_b32 exec_lo, exec_lo, s41
	v_lshlrev_b32_e32 v29, 16, v85
	s_mov_b32 s41, exec_lo
                                        ; implicit-def: $vgpr113
	s_delay_alu instid0(VALU_DEP_1) | instskip(NEXT) | instid1(VALU_DEP_1)
	v_mul_f32_e32 v29, v2, v29
	v_and_b32_e32 v30, 0x7f800000, v29
	s_delay_alu instid0(VALU_DEP_1)
	v_cmpx_ne_u32_e32 0x7f800000, v30
	s_xor_b32 s41, exec_lo, s41
; %bb.3410:                             ;   in Loop: Header=BB12_3077 Depth=3
	v_bfe_u32 v30, v29, 16, 1
	s_delay_alu instid0(VALU_DEP_1)
	v_add3_u32 v113, v29, v30, 0x7fff
                                        ; implicit-def: $vgpr29
; %bb.3411:                             ;   in Loop: Header=BB12_3077 Depth=3
	s_and_not1_saveexec_b32 s41, s41
; %bb.3412:                             ;   in Loop: Header=BB12_3077 Depth=3
	v_and_b32_e32 v30, 0xffff, v29
	v_or_b32_e32 v31, 0x10000, v29
	s_delay_alu instid0(VALU_DEP_2) | instskip(NEXT) | instid1(VALU_DEP_2)
	v_cmp_eq_u32_e32 vcc_lo, 0, v30
	v_cndmask_b32_e32 v113, v31, v29, vcc_lo
; %bb.3413:                             ;   in Loop: Header=BB12_3077 Depth=3
	s_or_b32 exec_lo, exec_lo, s41
	v_and_b32_e32 v29, 0xffff0000, v85
	s_mov_b32 s41, exec_lo
                                        ; implicit-def: $vgpr102
	s_delay_alu instid0(VALU_DEP_1) | instskip(NEXT) | instid1(VALU_DEP_1)
	v_mul_f32_e32 v29, v2, v29
	v_and_b32_e32 v30, 0x7f800000, v29
	s_delay_alu instid0(VALU_DEP_1)
	v_cmpx_ne_u32_e32 0x7f800000, v30
	s_xor_b32 s41, exec_lo, s41
; %bb.3414:                             ;   in Loop: Header=BB12_3077 Depth=3
	v_bfe_u32 v30, v29, 16, 1
	s_delay_alu instid0(VALU_DEP_1)
	v_add3_u32 v102, v29, v30, 0x7fff
                                        ; implicit-def: $vgpr29
; %bb.3415:                             ;   in Loop: Header=BB12_3077 Depth=3
	s_and_not1_saveexec_b32 s41, s41
; %bb.3416:                             ;   in Loop: Header=BB12_3077 Depth=3
	v_and_b32_e32 v30, 0xffff, v29
	v_or_b32_e32 v31, 0x10000, v29
	s_delay_alu instid0(VALU_DEP_2) | instskip(NEXT) | instid1(VALU_DEP_2)
	v_cmp_eq_u32_e32 vcc_lo, 0, v30
	v_cndmask_b32_e32 v102, v31, v29, vcc_lo
; %bb.3417:                             ;   in Loop: Header=BB12_3077 Depth=3
	s_or_b32 exec_lo, exec_lo, s41
	v_lshlrev_b32_e32 v29, 16, v86
	s_mov_b32 s41, exec_lo
                                        ; implicit-def: $vgpr103
	s_delay_alu instid0(VALU_DEP_1) | instskip(NEXT) | instid1(VALU_DEP_1)
	v_mul_f32_e32 v29, v2, v29
	v_and_b32_e32 v30, 0x7f800000, v29
	s_delay_alu instid0(VALU_DEP_1)
	v_cmpx_ne_u32_e32 0x7f800000, v30
	s_xor_b32 s41, exec_lo, s41
; %bb.3418:                             ;   in Loop: Header=BB12_3077 Depth=3
	v_bfe_u32 v30, v29, 16, 1
	s_delay_alu instid0(VALU_DEP_1)
	v_add3_u32 v103, v29, v30, 0x7fff
                                        ; implicit-def: $vgpr29
; %bb.3419:                             ;   in Loop: Header=BB12_3077 Depth=3
	s_and_not1_saveexec_b32 s41, s41
; %bb.3420:                             ;   in Loop: Header=BB12_3077 Depth=3
	v_and_b32_e32 v30, 0xffff, v29
	v_or_b32_e32 v31, 0x10000, v29
	s_delay_alu instid0(VALU_DEP_2) | instskip(NEXT) | instid1(VALU_DEP_2)
	v_cmp_eq_u32_e32 vcc_lo, 0, v30
	v_cndmask_b32_e32 v103, v31, v29, vcc_lo
; %bb.3421:                             ;   in Loop: Header=BB12_3077 Depth=3
	s_or_b32 exec_lo, exec_lo, s41
	v_and_b32_e32 v29, 0xffff0000, v86
	s_mov_b32 s41, exec_lo
                                        ; implicit-def: $vgpr100
	s_delay_alu instid0(VALU_DEP_1) | instskip(NEXT) | instid1(VALU_DEP_1)
	v_mul_f32_e32 v29, v2, v29
	v_and_b32_e32 v30, 0x7f800000, v29
	s_delay_alu instid0(VALU_DEP_1)
	v_cmpx_ne_u32_e32 0x7f800000, v30
	s_xor_b32 s41, exec_lo, s41
; %bb.3422:                             ;   in Loop: Header=BB12_3077 Depth=3
	v_bfe_u32 v30, v29, 16, 1
	s_delay_alu instid0(VALU_DEP_1)
	v_add3_u32 v100, v29, v30, 0x7fff
                                        ; implicit-def: $vgpr29
; %bb.3423:                             ;   in Loop: Header=BB12_3077 Depth=3
	s_and_not1_saveexec_b32 s41, s41
; %bb.3424:                             ;   in Loop: Header=BB12_3077 Depth=3
	v_and_b32_e32 v30, 0xffff, v29
	v_or_b32_e32 v31, 0x10000, v29
	s_delay_alu instid0(VALU_DEP_2) | instskip(NEXT) | instid1(VALU_DEP_2)
	v_cmp_eq_u32_e32 vcc_lo, 0, v30
	v_cndmask_b32_e32 v100, v31, v29, vcc_lo
; %bb.3425:                             ;   in Loop: Header=BB12_3077 Depth=3
	s_or_b32 exec_lo, exec_lo, s41
	v_lshlrev_b32_e32 v29, 16, v87
	s_mov_b32 s41, exec_lo
                                        ; implicit-def: $vgpr101
	s_delay_alu instid0(VALU_DEP_1) | instskip(NEXT) | instid1(VALU_DEP_1)
	v_mul_f32_e32 v29, v2, v29
	v_and_b32_e32 v30, 0x7f800000, v29
	s_delay_alu instid0(VALU_DEP_1)
	v_cmpx_ne_u32_e32 0x7f800000, v30
	s_xor_b32 s41, exec_lo, s41
; %bb.3426:                             ;   in Loop: Header=BB12_3077 Depth=3
	v_bfe_u32 v30, v29, 16, 1
	s_delay_alu instid0(VALU_DEP_1)
	v_add3_u32 v101, v29, v30, 0x7fff
                                        ; implicit-def: $vgpr29
; %bb.3427:                             ;   in Loop: Header=BB12_3077 Depth=3
	s_and_not1_saveexec_b32 s41, s41
; %bb.3428:                             ;   in Loop: Header=BB12_3077 Depth=3
	v_and_b32_e32 v30, 0xffff, v29
	v_or_b32_e32 v31, 0x10000, v29
	s_delay_alu instid0(VALU_DEP_2) | instskip(NEXT) | instid1(VALU_DEP_2)
	v_cmp_eq_u32_e32 vcc_lo, 0, v30
	v_cndmask_b32_e32 v101, v31, v29, vcc_lo
; %bb.3429:                             ;   in Loop: Header=BB12_3077 Depth=3
	s_or_b32 exec_lo, exec_lo, s41
	v_and_b32_e32 v29, 0xffff0000, v87
	s_mov_b32 s41, exec_lo
                                        ; implicit-def: $vgpr86
	s_delay_alu instid0(VALU_DEP_1) | instskip(NEXT) | instid1(VALU_DEP_1)
	v_mul_f32_e32 v29, v2, v29
	v_and_b32_e32 v30, 0x7f800000, v29
	s_delay_alu instid0(VALU_DEP_1)
	v_cmpx_ne_u32_e32 0x7f800000, v30
	s_xor_b32 s41, exec_lo, s41
; %bb.3430:                             ;   in Loop: Header=BB12_3077 Depth=3
	v_bfe_u32 v30, v29, 16, 1
	s_delay_alu instid0(VALU_DEP_1)
	v_add3_u32 v86, v29, v30, 0x7fff
                                        ; implicit-def: $vgpr29
; %bb.3431:                             ;   in Loop: Header=BB12_3077 Depth=3
	s_and_not1_saveexec_b32 s41, s41
; %bb.3432:                             ;   in Loop: Header=BB12_3077 Depth=3
	v_and_b32_e32 v30, 0xffff, v29
	v_or_b32_e32 v31, 0x10000, v29
	s_delay_alu instid0(VALU_DEP_2) | instskip(NEXT) | instid1(VALU_DEP_2)
	v_cmp_eq_u32_e32 vcc_lo, 0, v30
	v_cndmask_b32_e32 v86, v31, v29, vcc_lo
; %bb.3433:                             ;   in Loop: Header=BB12_3077 Depth=3
	s_or_b32 exec_lo, exec_lo, s41
	s_wait_loadcnt 0x4
	v_lshlrev_b32_e32 v29, 16, v80
	s_mov_b32 s41, exec_lo
                                        ; implicit-def: $vgpr87
	s_delay_alu instid0(VALU_DEP_1) | instskip(NEXT) | instid1(VALU_DEP_1)
	v_mul_f32_e32 v29, v2, v29
	v_and_b32_e32 v30, 0x7f800000, v29
	s_delay_alu instid0(VALU_DEP_1)
	v_cmpx_ne_u32_e32 0x7f800000, v30
	s_xor_b32 s41, exec_lo, s41
; %bb.3434:                             ;   in Loop: Header=BB12_3077 Depth=3
	v_bfe_u32 v30, v29, 16, 1
	s_delay_alu instid0(VALU_DEP_1)
	v_add3_u32 v87, v29, v30, 0x7fff
                                        ; implicit-def: $vgpr29
; %bb.3435:                             ;   in Loop: Header=BB12_3077 Depth=3
	s_and_not1_saveexec_b32 s41, s41
; %bb.3436:                             ;   in Loop: Header=BB12_3077 Depth=3
	v_and_b32_e32 v30, 0xffff, v29
	v_or_b32_e32 v31, 0x10000, v29
	s_delay_alu instid0(VALU_DEP_2) | instskip(NEXT) | instid1(VALU_DEP_2)
	v_cmp_eq_u32_e32 vcc_lo, 0, v30
	v_cndmask_b32_e32 v87, v31, v29, vcc_lo
; %bb.3437:                             ;   in Loop: Header=BB12_3077 Depth=3
	s_or_b32 exec_lo, exec_lo, s41
	v_and_b32_e32 v29, 0xffff0000, v80
	s_mov_b32 s41, exec_lo
                                        ; implicit-def: $vgpr84
	s_delay_alu instid0(VALU_DEP_1) | instskip(NEXT) | instid1(VALU_DEP_1)
	v_mul_f32_e32 v29, v2, v29
	v_and_b32_e32 v30, 0x7f800000, v29
	s_delay_alu instid0(VALU_DEP_1)
	v_cmpx_ne_u32_e32 0x7f800000, v30
	s_xor_b32 s41, exec_lo, s41
; %bb.3438:                             ;   in Loop: Header=BB12_3077 Depth=3
	v_bfe_u32 v30, v29, 16, 1
	s_delay_alu instid0(VALU_DEP_1)
	v_add3_u32 v84, v29, v30, 0x7fff
                                        ; implicit-def: $vgpr29
; %bb.3439:                             ;   in Loop: Header=BB12_3077 Depth=3
	s_and_not1_saveexec_b32 s41, s41
; %bb.3440:                             ;   in Loop: Header=BB12_3077 Depth=3
	v_and_b32_e32 v30, 0xffff, v29
	v_or_b32_e32 v31, 0x10000, v29
	s_delay_alu instid0(VALU_DEP_2) | instskip(NEXT) | instid1(VALU_DEP_2)
	v_cmp_eq_u32_e32 vcc_lo, 0, v30
	v_cndmask_b32_e32 v84, v31, v29, vcc_lo
; %bb.3441:                             ;   in Loop: Header=BB12_3077 Depth=3
	s_or_b32 exec_lo, exec_lo, s41
	v_lshlrev_b32_e32 v29, 16, v81
	s_mov_b32 s41, exec_lo
                                        ; implicit-def: $vgpr85
	s_delay_alu instid0(VALU_DEP_1) | instskip(NEXT) | instid1(VALU_DEP_1)
	v_mul_f32_e32 v29, v2, v29
	v_and_b32_e32 v30, 0x7f800000, v29
	s_delay_alu instid0(VALU_DEP_1)
	v_cmpx_ne_u32_e32 0x7f800000, v30
	s_xor_b32 s41, exec_lo, s41
; %bb.3442:                             ;   in Loop: Header=BB12_3077 Depth=3
	v_bfe_u32 v30, v29, 16, 1
	s_delay_alu instid0(VALU_DEP_1)
	v_add3_u32 v85, v29, v30, 0x7fff
                                        ; implicit-def: $vgpr29
; %bb.3443:                             ;   in Loop: Header=BB12_3077 Depth=3
	s_and_not1_saveexec_b32 s41, s41
; %bb.3444:                             ;   in Loop: Header=BB12_3077 Depth=3
	v_and_b32_e32 v30, 0xffff, v29
	v_or_b32_e32 v31, 0x10000, v29
	s_delay_alu instid0(VALU_DEP_2) | instskip(NEXT) | instid1(VALU_DEP_2)
	v_cmp_eq_u32_e32 vcc_lo, 0, v30
	v_cndmask_b32_e32 v85, v31, v29, vcc_lo
; %bb.3445:                             ;   in Loop: Header=BB12_3077 Depth=3
	s_or_b32 exec_lo, exec_lo, s41
	v_and_b32_e32 v29, 0xffff0000, v81
	s_mov_b32 s41, exec_lo
                                        ; implicit-def: $vgpr80
	s_delay_alu instid0(VALU_DEP_1) | instskip(NEXT) | instid1(VALU_DEP_1)
	v_mul_f32_e32 v29, v2, v29
	v_and_b32_e32 v30, 0x7f800000, v29
	s_delay_alu instid0(VALU_DEP_1)
	v_cmpx_ne_u32_e32 0x7f800000, v30
	s_xor_b32 s41, exec_lo, s41
; %bb.3446:                             ;   in Loop: Header=BB12_3077 Depth=3
	v_bfe_u32 v30, v29, 16, 1
	s_delay_alu instid0(VALU_DEP_1)
	v_add3_u32 v80, v29, v30, 0x7fff
                                        ; implicit-def: $vgpr29
; %bb.3447:                             ;   in Loop: Header=BB12_3077 Depth=3
	s_and_not1_saveexec_b32 s41, s41
; %bb.3448:                             ;   in Loop: Header=BB12_3077 Depth=3
	v_and_b32_e32 v30, 0xffff, v29
	v_or_b32_e32 v31, 0x10000, v29
	s_delay_alu instid0(VALU_DEP_2) | instskip(NEXT) | instid1(VALU_DEP_2)
	v_cmp_eq_u32_e32 vcc_lo, 0, v30
	v_cndmask_b32_e32 v80, v31, v29, vcc_lo
; %bb.3449:                             ;   in Loop: Header=BB12_3077 Depth=3
	s_or_b32 exec_lo, exec_lo, s41
	v_lshlrev_b32_e32 v29, 16, v82
	s_mov_b32 s41, exec_lo
                                        ; implicit-def: $vgpr81
	s_delay_alu instid0(VALU_DEP_1) | instskip(NEXT) | instid1(VALU_DEP_1)
	v_mul_f32_e32 v29, v2, v29
	v_and_b32_e32 v30, 0x7f800000, v29
	s_delay_alu instid0(VALU_DEP_1)
	v_cmpx_ne_u32_e32 0x7f800000, v30
	s_xor_b32 s41, exec_lo, s41
; %bb.3450:                             ;   in Loop: Header=BB12_3077 Depth=3
	v_bfe_u32 v30, v29, 16, 1
	s_delay_alu instid0(VALU_DEP_1)
	v_add3_u32 v81, v29, v30, 0x7fff
                                        ; implicit-def: $vgpr29
; %bb.3451:                             ;   in Loop: Header=BB12_3077 Depth=3
	s_and_not1_saveexec_b32 s41, s41
; %bb.3452:                             ;   in Loop: Header=BB12_3077 Depth=3
	v_and_b32_e32 v30, 0xffff, v29
	v_or_b32_e32 v31, 0x10000, v29
	s_delay_alu instid0(VALU_DEP_2) | instskip(NEXT) | instid1(VALU_DEP_2)
	v_cmp_eq_u32_e32 vcc_lo, 0, v30
	v_cndmask_b32_e32 v81, v31, v29, vcc_lo
; %bb.3453:                             ;   in Loop: Header=BB12_3077 Depth=3
	s_or_b32 exec_lo, exec_lo, s41
	v_and_b32_e32 v29, 0xffff0000, v82
	s_delay_alu instid0(VALU_DEP_1) | instskip(NEXT) | instid1(VALU_DEP_1)
	v_mul_f32_e32 v29, v2, v29
	v_and_b32_e32 v30, 0x7f800000, v29
	s_delay_alu instid0(VALU_DEP_1) | instskip(SKIP_1) | instid1(SALU_CYCLE_1)
	v_cmp_ne_u32_e32 vcc_lo, 0x7f800000, v30
                                        ; implicit-def: $vgpr30
	s_and_saveexec_b32 s41, vcc_lo
	s_xor_b32 s41, exec_lo, s41
; %bb.3454:                             ;   in Loop: Header=BB12_3077 Depth=3
	v_bfe_u32 v30, v29, 16, 1
	s_delay_alu instid0(VALU_DEP_1)
	v_add3_u32 v30, v29, v30, 0x7fff
                                        ; implicit-def: $vgpr29
; %bb.3455:                             ;   in Loop: Header=BB12_3077 Depth=3
	s_and_not1_saveexec_b32 s41, s41
; %bb.3456:                             ;   in Loop: Header=BB12_3077 Depth=3
	v_and_b32_e32 v30, 0xffff, v29
	v_or_b32_e32 v31, 0x10000, v29
	s_delay_alu instid0(VALU_DEP_2) | instskip(NEXT) | instid1(VALU_DEP_2)
	v_cmp_eq_u32_e32 vcc_lo, 0, v30
	v_cndmask_b32_e32 v30, v31, v29, vcc_lo
; %bb.3457:                             ;   in Loop: Header=BB12_3077 Depth=3
	s_or_b32 exec_lo, exec_lo, s41
	v_lshlrev_b32_e32 v29, 16, v83
	s_delay_alu instid0(VALU_DEP_1) | instskip(NEXT) | instid1(VALU_DEP_1)
	v_mul_f32_e32 v29, v2, v29
	v_and_b32_e32 v31, 0x7f800000, v29
	s_delay_alu instid0(VALU_DEP_1) | instskip(SKIP_1) | instid1(SALU_CYCLE_1)
	v_cmp_ne_u32_e32 vcc_lo, 0x7f800000, v31
                                        ; implicit-def: $vgpr31
	s_and_saveexec_b32 s41, vcc_lo
	s_xor_b32 s41, exec_lo, s41
; %bb.3458:                             ;   in Loop: Header=BB12_3077 Depth=3
	v_bfe_u32 v31, v29, 16, 1
	s_delay_alu instid0(VALU_DEP_1)
	v_add3_u32 v31, v29, v31, 0x7fff
                                        ; implicit-def: $vgpr29
; %bb.3459:                             ;   in Loop: Header=BB12_3077 Depth=3
	s_and_not1_saveexec_b32 s41, s41
; %bb.3460:                             ;   in Loop: Header=BB12_3077 Depth=3
	v_and_b32_e32 v31, 0xffff, v29
	v_or_b32_e32 v82, 0x10000, v29
	s_delay_alu instid0(VALU_DEP_2) | instskip(NEXT) | instid1(VALU_DEP_2)
	v_cmp_eq_u32_e32 vcc_lo, 0, v31
	v_cndmask_b32_e32 v31, v82, v29, vcc_lo
; %bb.3461:                             ;   in Loop: Header=BB12_3077 Depth=3
	s_or_b32 exec_lo, exec_lo, s41
	v_and_b32_e32 v29, 0xffff0000, v83
	s_delay_alu instid0(VALU_DEP_1) | instskip(NEXT) | instid1(VALU_DEP_1)
	v_mul_f32_e32 v82, v2, v29
	v_and_b32_e32 v29, 0x7f800000, v82
	s_delay_alu instid0(VALU_DEP_1) | instskip(SKIP_1) | instid1(SALU_CYCLE_1)
	v_cmp_ne_u32_e32 vcc_lo, 0x7f800000, v29
                                        ; implicit-def: $vgpr29
	s_and_saveexec_b32 s41, vcc_lo
	s_xor_b32 s41, exec_lo, s41
; %bb.3462:                             ;   in Loop: Header=BB12_3077 Depth=3
	v_bfe_u32 v29, v82, 16, 1
	s_delay_alu instid0(VALU_DEP_1)
	v_add3_u32 v29, v82, v29, 0x7fff
                                        ; implicit-def: $vgpr82
; %bb.3463:                             ;   in Loop: Header=BB12_3077 Depth=3
	s_and_not1_saveexec_b32 s41, s41
; %bb.3464:                             ;   in Loop: Header=BB12_3077 Depth=3
	v_and_b32_e32 v29, 0xffff, v82
	v_or_b32_e32 v83, 0x10000, v82
	s_delay_alu instid0(VALU_DEP_2) | instskip(NEXT) | instid1(VALU_DEP_2)
	v_cmp_eq_u32_e32 vcc_lo, 0, v29
	v_cndmask_b32_e32 v29, v83, v82, vcc_lo
; %bb.3465:                             ;   in Loop: Header=BB12_3077 Depth=3
	s_or_b32 exec_lo, exec_lo, s41
	v_and_b32_e32 v1, 0xffff0000, v1
	s_wait_loadcnt 0x3
	v_lshlrev_b32_e32 v82, 16, v64
	s_delay_alu instid0(VALU_DEP_1) | instskip(NEXT) | instid1(VALU_DEP_1)
	v_add_f32_e32 v82, v82, v1
	v_and_b32_e32 v1, 0x7f800000, v82
	s_delay_alu instid0(VALU_DEP_1) | instskip(SKIP_1) | instid1(SALU_CYCLE_1)
	v_cmp_ne_u32_e32 vcc_lo, 0x7f800000, v1
                                        ; implicit-def: $vgpr1
	s_and_saveexec_b32 s41, vcc_lo
	s_xor_b32 s41, exec_lo, s41
; %bb.3466:                             ;   in Loop: Header=BB12_3077 Depth=3
	v_bfe_u32 v1, v82, 16, 1
	s_delay_alu instid0(VALU_DEP_1)
	v_add3_u32 v1, v82, v1, 0x7fff
                                        ; implicit-def: $vgpr82
; %bb.3467:                             ;   in Loop: Header=BB12_3077 Depth=3
	s_and_not1_saveexec_b32 s41, s41
; %bb.3468:                             ;   in Loop: Header=BB12_3077 Depth=3
	v_and_b32_e32 v1, 0xffff, v82
	v_or_b32_e32 v83, 0x10000, v82
	s_delay_alu instid0(VALU_DEP_2) | instskip(NEXT) | instid1(VALU_DEP_2)
	v_cmp_eq_u32_e32 vcc_lo, 0, v1
	v_cndmask_b32_e32 v1, v83, v82, vcc_lo
; %bb.3469:                             ;   in Loop: Header=BB12_3077 Depth=3
	s_or_b32 exec_lo, exec_lo, s41
	v_and_b32_e32 v64, 0xffff0000, v64
	v_and_b32_e32 v0, 0xffff0000, v0
	s_delay_alu instid0(VALU_DEP_1) | instskip(NEXT) | instid1(VALU_DEP_1)
	v_add_f32_e32 v0, v64, v0
	v_and_b32_e32 v64, 0x7f800000, v0
	s_delay_alu instid0(VALU_DEP_1) | instskip(SKIP_1) | instid1(SALU_CYCLE_1)
	v_cmp_ne_u32_e32 vcc_lo, 0x7f800000, v64
                                        ; implicit-def: $vgpr64
	s_and_saveexec_b32 s41, vcc_lo
	s_xor_b32 s41, exec_lo, s41
; %bb.3470:                             ;   in Loop: Header=BB12_3077 Depth=3
	v_bfe_u32 v64, v0, 16, 1
	s_delay_alu instid0(VALU_DEP_1)
	v_add3_u32 v64, v0, v64, 0x7fff
                                        ; implicit-def: $vgpr0
; %bb.3471:                             ;   in Loop: Header=BB12_3077 Depth=3
	s_and_not1_saveexec_b32 s41, s41
; %bb.3472:                             ;   in Loop: Header=BB12_3077 Depth=3
	v_and_b32_e32 v64, 0xffff, v0
	v_or_b32_e32 v82, 0x10000, v0
	s_delay_alu instid0(VALU_DEP_2) | instskip(NEXT) | instid1(VALU_DEP_2)
	v_cmp_eq_u32_e32 vcc_lo, 0, v64
	v_cndmask_b32_e32 v64, v82, v0, vcc_lo
; %bb.3473:                             ;   in Loop: Header=BB12_3077 Depth=3
	s_or_b32 exec_lo, exec_lo, s41
	v_and_b32_e32 v0, 0xffff0000, v120
	v_lshlrev_b32_e32 v82, 16, v65
	s_delay_alu instid0(VALU_DEP_1) | instskip(NEXT) | instid1(VALU_DEP_1)
	v_add_f32_e32 v82, v82, v0
	v_and_b32_e32 v0, 0x7f800000, v82
	s_delay_alu instid0(VALU_DEP_1) | instskip(SKIP_1) | instid1(SALU_CYCLE_1)
	v_cmp_ne_u32_e32 vcc_lo, 0x7f800000, v0
                                        ; implicit-def: $vgpr0
	s_and_saveexec_b32 s41, vcc_lo
	s_xor_b32 s41, exec_lo, s41
; %bb.3474:                             ;   in Loop: Header=BB12_3077 Depth=3
	v_bfe_u32 v0, v82, 16, 1
	s_delay_alu instid0(VALU_DEP_1)
	v_add3_u32 v0, v82, v0, 0x7fff
                                        ; implicit-def: $vgpr82
; %bb.3475:                             ;   in Loop: Header=BB12_3077 Depth=3
	s_and_not1_saveexec_b32 s41, s41
; %bb.3476:                             ;   in Loop: Header=BB12_3077 Depth=3
	v_and_b32_e32 v0, 0xffff, v82
	v_or_b32_e32 v83, 0x10000, v82
	s_delay_alu instid0(VALU_DEP_2) | instskip(NEXT) | instid1(VALU_DEP_2)
	v_cmp_eq_u32_e32 vcc_lo, 0, v0
	v_cndmask_b32_e32 v0, v83, v82, vcc_lo
; %bb.3477:                             ;   in Loop: Header=BB12_3077 Depth=3
	s_or_b32 exec_lo, exec_lo, s41
	v_and_b32_e32 v65, 0xffff0000, v65
	v_and_b32_e32 v82, 0xffff0000, v44
	s_delay_alu instid0(VALU_DEP_1) | instskip(NEXT) | instid1(VALU_DEP_1)
	v_add_f32_e32 v82, v65, v82
	v_and_b32_e32 v65, 0x7f800000, v82
	s_delay_alu instid0(VALU_DEP_1) | instskip(SKIP_1) | instid1(SALU_CYCLE_1)
	v_cmp_ne_u32_e32 vcc_lo, 0x7f800000, v65
                                        ; implicit-def: $vgpr65
	s_and_saveexec_b32 s41, vcc_lo
	s_xor_b32 s41, exec_lo, s41
; %bb.3478:                             ;   in Loop: Header=BB12_3077 Depth=3
	v_bfe_u32 v65, v82, 16, 1
	s_delay_alu instid0(VALU_DEP_1)
	v_add3_u32 v65, v82, v65, 0x7fff
                                        ; implicit-def: $vgpr82
; %bb.3479:                             ;   in Loop: Header=BB12_3077 Depth=3
	s_and_not1_saveexec_b32 s41, s41
; %bb.3480:                             ;   in Loop: Header=BB12_3077 Depth=3
	v_and_b32_e32 v65, 0xffff, v82
	v_or_b32_e32 v83, 0x10000, v82
	s_delay_alu instid0(VALU_DEP_2) | instskip(NEXT) | instid1(VALU_DEP_2)
	v_cmp_eq_u32_e32 vcc_lo, 0, v65
	v_cndmask_b32_e32 v65, v83, v82, vcc_lo
; %bb.3481:                             ;   in Loop: Header=BB12_3077 Depth=3
	s_or_b32 exec_lo, exec_lo, s41
	v_and_b32_e32 v82, 0xffff0000, v45
	v_lshlrev_b32_e32 v83, 16, v66
	s_delay_alu instid0(VALU_DEP_1) | instskip(NEXT) | instid1(VALU_DEP_1)
	v_add_f32_e32 v83, v83, v82
	v_and_b32_e32 v82, 0x7f800000, v83
	s_delay_alu instid0(VALU_DEP_1) | instskip(SKIP_1) | instid1(SALU_CYCLE_1)
	v_cmp_ne_u32_e32 vcc_lo, 0x7f800000, v82
                                        ; implicit-def: $vgpr82
	s_and_saveexec_b32 s41, vcc_lo
	s_xor_b32 s41, exec_lo, s41
; %bb.3482:                             ;   in Loop: Header=BB12_3077 Depth=3
	v_bfe_u32 v82, v83, 16, 1
	s_delay_alu instid0(VALU_DEP_1)
	v_add3_u32 v82, v83, v82, 0x7fff
                                        ; implicit-def: $vgpr83
; %bb.3483:                             ;   in Loop: Header=BB12_3077 Depth=3
	s_and_not1_saveexec_b32 s41, s41
; %bb.3484:                             ;   in Loop: Header=BB12_3077 Depth=3
	v_and_b32_e32 v82, 0xffff, v83
	v_or_b32_e32 v44, 0x10000, v83
	s_delay_alu instid0(VALU_DEP_2) | instskip(NEXT) | instid1(VALU_DEP_2)
	v_cmp_eq_u32_e32 vcc_lo, 0, v82
	v_cndmask_b32_e32 v82, v44, v83, vcc_lo
; %bb.3485:                             ;   in Loop: Header=BB12_3077 Depth=3
	s_or_b32 exec_lo, exec_lo, s41
	v_and_b32_e32 v66, 0xffff0000, v66
	v_and_b32_e32 v6, 0xffff0000, v6
	s_delay_alu instid0(VALU_DEP_1) | instskip(NEXT) | instid1(VALU_DEP_1)
	v_add_f32_e32 v66, v66, v6
	v_and_b32_e32 v6, 0x7f800000, v66
	s_delay_alu instid0(VALU_DEP_1) | instskip(SKIP_1) | instid1(SALU_CYCLE_1)
	v_cmp_ne_u32_e32 vcc_lo, 0x7f800000, v6
                                        ; implicit-def: $vgpr6
	s_and_saveexec_b32 s41, vcc_lo
	s_xor_b32 s41, exec_lo, s41
; %bb.3486:                             ;   in Loop: Header=BB12_3077 Depth=3
	v_bfe_u32 v6, v66, 16, 1
	s_delay_alu instid0(VALU_DEP_1)
	v_add3_u32 v6, v66, v6, 0x7fff
                                        ; implicit-def: $vgpr66
; %bb.3487:                             ;   in Loop: Header=BB12_3077 Depth=3
	s_and_not1_saveexec_b32 s41, s41
; %bb.3488:                             ;   in Loop: Header=BB12_3077 Depth=3
	v_and_b32_e32 v6, 0xffff, v66
	v_or_b32_e32 v83, 0x10000, v66
	s_delay_alu instid0(VALU_DEP_2) | instskip(NEXT) | instid1(VALU_DEP_2)
	v_cmp_eq_u32_e32 vcc_lo, 0, v6
	v_cndmask_b32_e32 v6, v83, v66, vcc_lo
; %bb.3489:                             ;   in Loop: Header=BB12_3077 Depth=3
	s_or_b32 exec_lo, exec_lo, s41
	v_and_b32_e32 v7, 0xffff0000, v7
	v_lshlrev_b32_e32 v66, 16, v67
	s_delay_alu instid0(VALU_DEP_1) | instskip(NEXT) | instid1(VALU_DEP_1)
	v_add_f32_e32 v66, v66, v7
	v_and_b32_e32 v7, 0x7f800000, v66
	s_delay_alu instid0(VALU_DEP_1) | instskip(SKIP_1) | instid1(SALU_CYCLE_1)
	v_cmp_ne_u32_e32 vcc_lo, 0x7f800000, v7
                                        ; implicit-def: $vgpr7
	s_and_saveexec_b32 s41, vcc_lo
	s_xor_b32 s41, exec_lo, s41
; %bb.3490:                             ;   in Loop: Header=BB12_3077 Depth=3
	v_bfe_u32 v7, v66, 16, 1
	s_delay_alu instid0(VALU_DEP_1)
	v_add3_u32 v7, v66, v7, 0x7fff
                                        ; implicit-def: $vgpr66
; %bb.3491:                             ;   in Loop: Header=BB12_3077 Depth=3
	s_and_not1_saveexec_b32 s41, s41
; %bb.3492:                             ;   in Loop: Header=BB12_3077 Depth=3
	v_and_b32_e32 v7, 0xffff, v66
	v_or_b32_e32 v83, 0x10000, v66
	s_delay_alu instid0(VALU_DEP_2) | instskip(NEXT) | instid1(VALU_DEP_2)
	v_cmp_eq_u32_e32 vcc_lo, 0, v7
	v_cndmask_b32_e32 v7, v83, v66, vcc_lo
; %bb.3493:                             ;   in Loop: Header=BB12_3077 Depth=3
	s_or_b32 exec_lo, exec_lo, s41
	v_and_b32_e32 v66, 0xffff0000, v67
	v_and_b32_e32 v67, 0xffff0000, v46
	s_delay_alu instid0(VALU_DEP_1) | instskip(NEXT) | instid1(VALU_DEP_1)
	v_add_f32_e32 v67, v66, v67
	v_and_b32_e32 v66, 0x7f800000, v67
	s_delay_alu instid0(VALU_DEP_1) | instskip(SKIP_1) | instid1(SALU_CYCLE_1)
	v_cmp_ne_u32_e32 vcc_lo, 0x7f800000, v66
                                        ; implicit-def: $vgpr66
	s_and_saveexec_b32 s41, vcc_lo
	s_xor_b32 s41, exec_lo, s41
; %bb.3494:                             ;   in Loop: Header=BB12_3077 Depth=3
	v_bfe_u32 v66, v67, 16, 1
	s_delay_alu instid0(VALU_DEP_1)
	v_add3_u32 v66, v67, v66, 0x7fff
                                        ; implicit-def: $vgpr67
; %bb.3495:                             ;   in Loop: Header=BB12_3077 Depth=3
	s_and_not1_saveexec_b32 s41, s41
; %bb.3496:                             ;   in Loop: Header=BB12_3077 Depth=3
	v_and_b32_e32 v66, 0xffff, v67
	v_or_b32_e32 v83, 0x10000, v67
	s_delay_alu instid0(VALU_DEP_2) | instskip(NEXT) | instid1(VALU_DEP_2)
	v_cmp_eq_u32_e32 vcc_lo, 0, v66
	v_cndmask_b32_e32 v66, v83, v67, vcc_lo
; %bb.3497:                             ;   in Loop: Header=BB12_3077 Depth=3
	s_or_b32 exec_lo, exec_lo, s41
	v_and_b32_e32 v67, 0xffff0000, v47
	s_wait_loadcnt 0x2
	v_lshlrev_b32_e32 v83, 16, v52
	s_delay_alu instid0(VALU_DEP_1) | instskip(NEXT) | instid1(VALU_DEP_1)
	v_add_f32_e32 v83, v83, v67
	v_and_b32_e32 v67, 0x7f800000, v83
	s_delay_alu instid0(VALU_DEP_1) | instskip(SKIP_1) | instid1(SALU_CYCLE_1)
	v_cmp_ne_u32_e32 vcc_lo, 0x7f800000, v67
                                        ; implicit-def: $vgpr67
	s_and_saveexec_b32 s41, vcc_lo
	s_xor_b32 s41, exec_lo, s41
; %bb.3498:                             ;   in Loop: Header=BB12_3077 Depth=3
	v_bfe_u32 v67, v83, 16, 1
	s_delay_alu instid0(VALU_DEP_1)
	v_add3_u32 v67, v83, v67, 0x7fff
                                        ; implicit-def: $vgpr83
; %bb.3499:                             ;   in Loop: Header=BB12_3077 Depth=3
	s_and_not1_saveexec_b32 s41, s41
; %bb.3500:                             ;   in Loop: Header=BB12_3077 Depth=3
	v_and_b32_e32 v67, 0xffff, v83
	v_or_b32_e32 v44, 0x10000, v83
	s_delay_alu instid0(VALU_DEP_2) | instskip(NEXT) | instid1(VALU_DEP_2)
	v_cmp_eq_u32_e32 vcc_lo, 0, v67
	v_cndmask_b32_e32 v67, v44, v83, vcc_lo
; %bb.3501:                             ;   in Loop: Header=BB12_3077 Depth=3
	s_or_b32 exec_lo, exec_lo, s41
	v_and_b32_e32 v52, 0xffff0000, v52
	v_and_b32_e32 v83, 0xffff0000, v106
	s_delay_alu instid0(VALU_DEP_1) | instskip(NEXT) | instid1(VALU_DEP_1)
	v_add_f32_e32 v83, v52, v83
	v_and_b32_e32 v52, 0x7f800000, v83
	s_delay_alu instid0(VALU_DEP_1) | instskip(SKIP_1) | instid1(SALU_CYCLE_1)
	v_cmp_ne_u32_e32 vcc_lo, 0x7f800000, v52
                                        ; implicit-def: $vgpr52
	s_and_saveexec_b32 s41, vcc_lo
	s_xor_b32 s41, exec_lo, s41
; %bb.3502:                             ;   in Loop: Header=BB12_3077 Depth=3
	v_bfe_u32 v52, v83, 16, 1
	s_delay_alu instid0(VALU_DEP_1)
	v_add3_u32 v52, v83, v52, 0x7fff
                                        ; implicit-def: $vgpr83
; %bb.3503:                             ;   in Loop: Header=BB12_3077 Depth=3
	s_and_not1_saveexec_b32 s41, s41
; %bb.3504:                             ;   in Loop: Header=BB12_3077 Depth=3
	v_and_b32_e32 v52, 0xffff, v83
	v_or_b32_e32 v44, 0x10000, v83
	s_delay_alu instid0(VALU_DEP_2) | instskip(NEXT) | instid1(VALU_DEP_2)
	v_cmp_eq_u32_e32 vcc_lo, 0, v52
	v_cndmask_b32_e32 v52, v44, v83, vcc_lo
; %bb.3505:                             ;   in Loop: Header=BB12_3077 Depth=3
	s_or_b32 exec_lo, exec_lo, s41
	v_and_b32_e32 v83, 0xffff0000, v107
	v_lshlrev_b32_e32 v44, 16, v53
	s_delay_alu instid0(VALU_DEP_1) | instskip(NEXT) | instid1(VALU_DEP_1)
	v_add_f32_e32 v44, v44, v83
	v_and_b32_e32 v83, 0x7f800000, v44
	s_delay_alu instid0(VALU_DEP_1) | instskip(SKIP_1) | instid1(SALU_CYCLE_1)
	v_cmp_ne_u32_e32 vcc_lo, 0x7f800000, v83
                                        ; implicit-def: $vgpr83
	s_and_saveexec_b32 s41, vcc_lo
	s_xor_b32 s41, exec_lo, s41
; %bb.3506:                             ;   in Loop: Header=BB12_3077 Depth=3
	v_bfe_u32 v83, v44, 16, 1
	s_delay_alu instid0(VALU_DEP_1)
	v_add3_u32 v83, v44, v83, 0x7fff
                                        ; implicit-def: $vgpr44
; %bb.3507:                             ;   in Loop: Header=BB12_3077 Depth=3
	s_and_not1_saveexec_b32 s41, s41
; %bb.3508:                             ;   in Loop: Header=BB12_3077 Depth=3
	v_and_b32_e32 v83, 0xffff, v44
	v_or_b32_e32 v45, 0x10000, v44
	s_delay_alu instid0(VALU_DEP_2) | instskip(NEXT) | instid1(VALU_DEP_2)
	v_cmp_eq_u32_e32 vcc_lo, 0, v83
	v_cndmask_b32_e32 v83, v45, v44, vcc_lo
; %bb.3509:                             ;   in Loop: Header=BB12_3077 Depth=3
	s_or_b32 exec_lo, exec_lo, s41
	v_and_b32_e32 v53, 0xffff0000, v53
	v_and_b32_e32 v44, 0xffff0000, v78
	s_delay_alu instid0(VALU_DEP_1) | instskip(NEXT) | instid1(VALU_DEP_1)
	v_add_f32_e32 v44, v53, v44
	v_and_b32_e32 v53, 0x7f800000, v44
	s_delay_alu instid0(VALU_DEP_1) | instskip(SKIP_1) | instid1(SALU_CYCLE_1)
	v_cmp_ne_u32_e32 vcc_lo, 0x7f800000, v53
                                        ; implicit-def: $vgpr53
	s_and_saveexec_b32 s41, vcc_lo
	s_xor_b32 s41, exec_lo, s41
; %bb.3510:                             ;   in Loop: Header=BB12_3077 Depth=3
	v_bfe_u32 v53, v44, 16, 1
	s_delay_alu instid0(VALU_DEP_1)
	v_add3_u32 v53, v44, v53, 0x7fff
                                        ; implicit-def: $vgpr44
; %bb.3511:                             ;   in Loop: Header=BB12_3077 Depth=3
	s_and_not1_saveexec_b32 s41, s41
; %bb.3512:                             ;   in Loop: Header=BB12_3077 Depth=3
	v_and_b32_e32 v53, 0xffff, v44
	v_or_b32_e32 v45, 0x10000, v44
	s_delay_alu instid0(VALU_DEP_2) | instskip(NEXT) | instid1(VALU_DEP_2)
	v_cmp_eq_u32_e32 vcc_lo, 0, v53
	v_cndmask_b32_e32 v53, v45, v44, vcc_lo
; %bb.3513:                             ;   in Loop: Header=BB12_3077 Depth=3
	s_or_b32 exec_lo, exec_lo, s41
	v_and_b32_e32 v44, 0xffff0000, v79
	v_lshlrev_b32_e32 v45, 16, v54
	s_delay_alu instid0(VALU_DEP_1) | instskip(NEXT) | instid1(VALU_DEP_1)
	v_add_f32_e32 v45, v45, v44
	v_and_b32_e32 v44, 0x7f800000, v45
	s_delay_alu instid0(VALU_DEP_1) | instskip(SKIP_1) | instid1(SALU_CYCLE_1)
	v_cmp_ne_u32_e32 vcc_lo, 0x7f800000, v44
                                        ; implicit-def: $vgpr44
	s_and_saveexec_b32 s41, vcc_lo
	s_xor_b32 s41, exec_lo, s41
; %bb.3514:                             ;   in Loop: Header=BB12_3077 Depth=3
	v_bfe_u32 v44, v45, 16, 1
	s_delay_alu instid0(VALU_DEP_1)
	v_add3_u32 v44, v45, v44, 0x7fff
                                        ; implicit-def: $vgpr45
; %bb.3515:                             ;   in Loop: Header=BB12_3077 Depth=3
	s_and_not1_saveexec_b32 s41, s41
; %bb.3516:                             ;   in Loop: Header=BB12_3077 Depth=3
	v_and_b32_e32 v44, 0xffff, v45
	v_or_b32_e32 v46, 0x10000, v45
	s_delay_alu instid0(VALU_DEP_2) | instskip(NEXT) | instid1(VALU_DEP_2)
	v_cmp_eq_u32_e32 vcc_lo, 0, v44
	v_cndmask_b32_e32 v44, v46, v45, vcc_lo
; %bb.3517:                             ;   in Loop: Header=BB12_3077 Depth=3
	s_or_b32 exec_lo, exec_lo, s41
	v_and_b32_e32 v54, 0xffff0000, v54
	v_and_b32_e32 v42, 0xffff0000, v42
	s_delay_alu instid0(VALU_DEP_1) | instskip(NEXT) | instid1(VALU_DEP_1)
	v_add_f32_e32 v42, v54, v42
	v_and_b32_e32 v54, 0x7f800000, v42
	s_delay_alu instid0(VALU_DEP_1) | instskip(SKIP_1) | instid1(SALU_CYCLE_1)
	v_cmp_ne_u32_e32 vcc_lo, 0x7f800000, v54
                                        ; implicit-def: $vgpr54
	s_and_saveexec_b32 s41, vcc_lo
	s_xor_b32 s41, exec_lo, s41
; %bb.3518:                             ;   in Loop: Header=BB12_3077 Depth=3
	v_bfe_u32 v54, v42, 16, 1
	s_delay_alu instid0(VALU_DEP_1)
	v_add3_u32 v54, v42, v54, 0x7fff
                                        ; implicit-def: $vgpr42
; %bb.3519:                             ;   in Loop: Header=BB12_3077 Depth=3
	s_and_not1_saveexec_b32 s41, s41
; %bb.3520:                             ;   in Loop: Header=BB12_3077 Depth=3
	v_and_b32_e32 v54, 0xffff, v42
	v_or_b32_e32 v45, 0x10000, v42
	s_delay_alu instid0(VALU_DEP_2) | instskip(NEXT) | instid1(VALU_DEP_2)
	v_cmp_eq_u32_e32 vcc_lo, 0, v54
	v_cndmask_b32_e32 v54, v45, v42, vcc_lo
; %bb.3521:                             ;   in Loop: Header=BB12_3077 Depth=3
	s_or_b32 exec_lo, exec_lo, s41
	v_and_b32_e32 v42, 0xffff0000, v43
	v_lshlrev_b32_e32 v43, 16, v55
	s_delay_alu instid0(VALU_DEP_1) | instskip(NEXT) | instid1(VALU_DEP_1)
	v_add_f32_e32 v43, v43, v42
	v_and_b32_e32 v42, 0x7f800000, v43
	s_delay_alu instid0(VALU_DEP_1) | instskip(SKIP_1) | instid1(SALU_CYCLE_1)
	v_cmp_ne_u32_e32 vcc_lo, 0x7f800000, v42
                                        ; implicit-def: $vgpr42
	s_and_saveexec_b32 s41, vcc_lo
	s_xor_b32 s41, exec_lo, s41
; %bb.3522:                             ;   in Loop: Header=BB12_3077 Depth=3
	v_bfe_u32 v42, v43, 16, 1
	s_delay_alu instid0(VALU_DEP_1)
	v_add3_u32 v42, v43, v42, 0x7fff
                                        ; implicit-def: $vgpr43
; %bb.3523:                             ;   in Loop: Header=BB12_3077 Depth=3
	s_and_not1_saveexec_b32 s41, s41
; %bb.3524:                             ;   in Loop: Header=BB12_3077 Depth=3
	v_and_b32_e32 v42, 0xffff, v43
	v_or_b32_e32 v45, 0x10000, v43
	s_delay_alu instid0(VALU_DEP_2) | instskip(NEXT) | instid1(VALU_DEP_2)
	v_cmp_eq_u32_e32 vcc_lo, 0, v42
	v_cndmask_b32_e32 v42, v45, v43, vcc_lo
; %bb.3525:                             ;   in Loop: Header=BB12_3077 Depth=3
	s_or_b32 exec_lo, exec_lo, s41
	v_and_b32_e32 v55, 0xffff0000, v55
	v_and_b32_e32 v114, 0xffff0000, v114
	s_delay_alu instid0(VALU_DEP_1) | instskip(NEXT) | instid1(VALU_DEP_1)
	v_add_f32_e32 v114, v55, v114
	v_and_b32_e32 v55, 0x7f800000, v114
	s_delay_alu instid0(VALU_DEP_1) | instskip(SKIP_1) | instid1(SALU_CYCLE_1)
	v_cmp_ne_u32_e32 vcc_lo, 0x7f800000, v55
                                        ; implicit-def: $vgpr55
	s_and_saveexec_b32 s41, vcc_lo
	s_xor_b32 s41, exec_lo, s41
; %bb.3526:                             ;   in Loop: Header=BB12_3077 Depth=3
	v_bfe_u32 v55, v114, 16, 1
	s_delay_alu instid0(VALU_DEP_1)
	v_add3_u32 v55, v114, v55, 0x7fff
                                        ; implicit-def: $vgpr114
; %bb.3527:                             ;   in Loop: Header=BB12_3077 Depth=3
	s_and_not1_saveexec_b32 s41, s41
; %bb.3528:                             ;   in Loop: Header=BB12_3077 Depth=3
	v_and_b32_e32 v55, 0xffff, v114
	v_or_b32_e32 v43, 0x10000, v114
	s_delay_alu instid0(VALU_DEP_2) | instskip(NEXT) | instid1(VALU_DEP_2)
	v_cmp_eq_u32_e32 vcc_lo, 0, v55
	v_cndmask_b32_e32 v55, v43, v114, vcc_lo
; %bb.3529:                             ;   in Loop: Header=BB12_3077 Depth=3
	s_or_b32 exec_lo, exec_lo, s41
	v_and_b32_e32 v114, 0xffff0000, v115
	s_wait_loadcnt 0x1
	v_lshlrev_b32_e32 v115, 16, v36
	s_delay_alu instid0(VALU_DEP_1) | instskip(NEXT) | instid1(VALU_DEP_1)
	v_add_f32_e32 v115, v115, v114
	v_and_b32_e32 v114, 0x7f800000, v115
	s_delay_alu instid0(VALU_DEP_1) | instskip(SKIP_1) | instid1(SALU_CYCLE_1)
	v_cmp_ne_u32_e32 vcc_lo, 0x7f800000, v114
                                        ; implicit-def: $vgpr114
	s_and_saveexec_b32 s41, vcc_lo
	s_xor_b32 s41, exec_lo, s41
; %bb.3530:                             ;   in Loop: Header=BB12_3077 Depth=3
	v_bfe_u32 v114, v115, 16, 1
	s_delay_alu instid0(VALU_DEP_1)
	v_add3_u32 v114, v115, v114, 0x7fff
                                        ; implicit-def: $vgpr115
; %bb.3531:                             ;   in Loop: Header=BB12_3077 Depth=3
	s_and_not1_saveexec_b32 s41, s41
; %bb.3532:                             ;   in Loop: Header=BB12_3077 Depth=3
	v_and_b32_e32 v114, 0xffff, v115
	v_or_b32_e32 v43, 0x10000, v115
	s_delay_alu instid0(VALU_DEP_2) | instskip(NEXT) | instid1(VALU_DEP_2)
	v_cmp_eq_u32_e32 vcc_lo, 0, v114
	v_cndmask_b32_e32 v114, v43, v115, vcc_lo
; %bb.3533:                             ;   in Loop: Header=BB12_3077 Depth=3
	s_or_b32 exec_lo, exec_lo, s41
	v_and_b32_e32 v36, 0xffff0000, v36
	v_and_b32_e32 v112, 0xffff0000, v112
	s_delay_alu instid0(VALU_DEP_1) | instskip(NEXT) | instid1(VALU_DEP_1)
	v_add_f32_e32 v112, v36, v112
	v_and_b32_e32 v36, 0x7f800000, v112
	s_delay_alu instid0(VALU_DEP_1) | instskip(SKIP_1) | instid1(SALU_CYCLE_1)
	v_cmp_ne_u32_e32 vcc_lo, 0x7f800000, v36
                                        ; implicit-def: $vgpr36
	s_and_saveexec_b32 s41, vcc_lo
	s_xor_b32 s41, exec_lo, s41
; %bb.3534:                             ;   in Loop: Header=BB12_3077 Depth=3
	v_bfe_u32 v36, v112, 16, 1
	s_delay_alu instid0(VALU_DEP_1)
	v_add3_u32 v36, v112, v36, 0x7fff
                                        ; implicit-def: $vgpr112
; %bb.3535:                             ;   in Loop: Header=BB12_3077 Depth=3
	s_and_not1_saveexec_b32 s41, s41
; %bb.3536:                             ;   in Loop: Header=BB12_3077 Depth=3
	v_and_b32_e32 v36, 0xffff, v112
	v_or_b32_e32 v115, 0x10000, v112
	s_delay_alu instid0(VALU_DEP_2) | instskip(NEXT) | instid1(VALU_DEP_2)
	v_cmp_eq_u32_e32 vcc_lo, 0, v36
	v_cndmask_b32_e32 v36, v115, v112, vcc_lo
; %bb.3537:                             ;   in Loop: Header=BB12_3077 Depth=3
	s_or_b32 exec_lo, exec_lo, s41
	v_and_b32_e32 v112, 0xffff0000, v113
	v_lshlrev_b32_e32 v113, 16, v37
	s_delay_alu instid0(VALU_DEP_1) | instskip(NEXT) | instid1(VALU_DEP_1)
	v_add_f32_e32 v113, v113, v112
	v_and_b32_e32 v112, 0x7f800000, v113
	s_delay_alu instid0(VALU_DEP_1) | instskip(SKIP_1) | instid1(SALU_CYCLE_1)
	v_cmp_ne_u32_e32 vcc_lo, 0x7f800000, v112
                                        ; implicit-def: $vgpr112
	s_and_saveexec_b32 s41, vcc_lo
	s_xor_b32 s41, exec_lo, s41
; %bb.3538:                             ;   in Loop: Header=BB12_3077 Depth=3
	v_bfe_u32 v112, v113, 16, 1
	s_delay_alu instid0(VALU_DEP_1)
	v_add3_u32 v112, v113, v112, 0x7fff
                                        ; implicit-def: $vgpr113
; %bb.3539:                             ;   in Loop: Header=BB12_3077 Depth=3
	s_and_not1_saveexec_b32 s41, s41
; %bb.3540:                             ;   in Loop: Header=BB12_3077 Depth=3
	v_and_b32_e32 v112, 0xffff, v113
	v_or_b32_e32 v115, 0x10000, v113
	s_delay_alu instid0(VALU_DEP_2) | instskip(NEXT) | instid1(VALU_DEP_2)
	v_cmp_eq_u32_e32 vcc_lo, 0, v112
	v_cndmask_b32_e32 v112, v115, v113, vcc_lo
; %bb.3541:                             ;   in Loop: Header=BB12_3077 Depth=3
	s_or_b32 exec_lo, exec_lo, s41
	v_and_b32_e32 v37, 0xffff0000, v37
	v_and_b32_e32 v102, 0xffff0000, v102
	s_delay_alu instid0(VALU_DEP_1) | instskip(NEXT) | instid1(VALU_DEP_1)
	v_add_f32_e32 v102, v37, v102
	v_and_b32_e32 v37, 0x7f800000, v102
	s_delay_alu instid0(VALU_DEP_1) | instskip(SKIP_1) | instid1(SALU_CYCLE_1)
	v_cmp_ne_u32_e32 vcc_lo, 0x7f800000, v37
                                        ; implicit-def: $vgpr37
	s_and_saveexec_b32 s41, vcc_lo
	s_xor_b32 s41, exec_lo, s41
; %bb.3542:                             ;   in Loop: Header=BB12_3077 Depth=3
	v_bfe_u32 v37, v102, 16, 1
	s_delay_alu instid0(VALU_DEP_1)
	v_add3_u32 v37, v102, v37, 0x7fff
                                        ; implicit-def: $vgpr102
; %bb.3543:                             ;   in Loop: Header=BB12_3077 Depth=3
	s_and_not1_saveexec_b32 s41, s41
; %bb.3544:                             ;   in Loop: Header=BB12_3077 Depth=3
	v_and_b32_e32 v37, 0xffff, v102
	v_or_b32_e32 v113, 0x10000, v102
	s_delay_alu instid0(VALU_DEP_2) | instskip(NEXT) | instid1(VALU_DEP_2)
	v_cmp_eq_u32_e32 vcc_lo, 0, v37
	v_cndmask_b32_e32 v37, v113, v102, vcc_lo
; %bb.3545:                             ;   in Loop: Header=BB12_3077 Depth=3
	s_or_b32 exec_lo, exec_lo, s41
	v_and_b32_e32 v102, 0xffff0000, v103
	v_lshlrev_b32_e32 v103, 16, v38
	s_delay_alu instid0(VALU_DEP_1) | instskip(NEXT) | instid1(VALU_DEP_1)
	v_add_f32_e32 v103, v103, v102
	v_and_b32_e32 v102, 0x7f800000, v103
	s_delay_alu instid0(VALU_DEP_1) | instskip(SKIP_1) | instid1(SALU_CYCLE_1)
	v_cmp_ne_u32_e32 vcc_lo, 0x7f800000, v102
                                        ; implicit-def: $vgpr102
	s_and_saveexec_b32 s41, vcc_lo
	s_xor_b32 s41, exec_lo, s41
; %bb.3546:                             ;   in Loop: Header=BB12_3077 Depth=3
	v_bfe_u32 v102, v103, 16, 1
	s_delay_alu instid0(VALU_DEP_1)
	v_add3_u32 v102, v103, v102, 0x7fff
                                        ; implicit-def: $vgpr103
; %bb.3547:                             ;   in Loop: Header=BB12_3077 Depth=3
	s_and_not1_saveexec_b32 s41, s41
; %bb.3548:                             ;   in Loop: Header=BB12_3077 Depth=3
	v_and_b32_e32 v102, 0xffff, v103
	v_or_b32_e32 v113, 0x10000, v103
	s_delay_alu instid0(VALU_DEP_2) | instskip(NEXT) | instid1(VALU_DEP_2)
	v_cmp_eq_u32_e32 vcc_lo, 0, v102
	v_cndmask_b32_e32 v102, v113, v103, vcc_lo
; %bb.3549:                             ;   in Loop: Header=BB12_3077 Depth=3
	s_or_b32 exec_lo, exec_lo, s41
	v_and_b32_e32 v38, 0xffff0000, v38
	v_and_b32_e32 v100, 0xffff0000, v100
	s_delay_alu instid0(VALU_DEP_1) | instskip(NEXT) | instid1(VALU_DEP_1)
	v_add_f32_e32 v100, v38, v100
	v_and_b32_e32 v38, 0x7f800000, v100
	s_delay_alu instid0(VALU_DEP_1) | instskip(SKIP_1) | instid1(SALU_CYCLE_1)
	v_cmp_ne_u32_e32 vcc_lo, 0x7f800000, v38
                                        ; implicit-def: $vgpr38
	s_and_saveexec_b32 s41, vcc_lo
	s_xor_b32 s41, exec_lo, s41
; %bb.3550:                             ;   in Loop: Header=BB12_3077 Depth=3
	v_bfe_u32 v38, v100, 16, 1
	s_delay_alu instid0(VALU_DEP_1)
	v_add3_u32 v38, v100, v38, 0x7fff
                                        ; implicit-def: $vgpr100
; %bb.3551:                             ;   in Loop: Header=BB12_3077 Depth=3
	s_and_not1_saveexec_b32 s41, s41
; %bb.3552:                             ;   in Loop: Header=BB12_3077 Depth=3
	v_and_b32_e32 v38, 0xffff, v100
	v_or_b32_e32 v103, 0x10000, v100
	s_delay_alu instid0(VALU_DEP_2) | instskip(NEXT) | instid1(VALU_DEP_2)
	v_cmp_eq_u32_e32 vcc_lo, 0, v38
	v_cndmask_b32_e32 v38, v103, v100, vcc_lo
; %bb.3553:                             ;   in Loop: Header=BB12_3077 Depth=3
	s_or_b32 exec_lo, exec_lo, s41
	v_and_b32_e32 v100, 0xffff0000, v101
	v_lshlrev_b32_e32 v101, 16, v39
	s_delay_alu instid0(VALU_DEP_1) | instskip(NEXT) | instid1(VALU_DEP_1)
	v_add_f32_e32 v101, v101, v100
	v_and_b32_e32 v100, 0x7f800000, v101
	s_delay_alu instid0(VALU_DEP_1) | instskip(SKIP_1) | instid1(SALU_CYCLE_1)
	v_cmp_ne_u32_e32 vcc_lo, 0x7f800000, v100
                                        ; implicit-def: $vgpr100
	s_and_saveexec_b32 s41, vcc_lo
	s_xor_b32 s41, exec_lo, s41
; %bb.3554:                             ;   in Loop: Header=BB12_3077 Depth=3
	v_bfe_u32 v100, v101, 16, 1
	s_delay_alu instid0(VALU_DEP_1)
	v_add3_u32 v100, v101, v100, 0x7fff
                                        ; implicit-def: $vgpr101
; %bb.3555:                             ;   in Loop: Header=BB12_3077 Depth=3
	s_and_not1_saveexec_b32 s41, s41
; %bb.3556:                             ;   in Loop: Header=BB12_3077 Depth=3
	v_and_b32_e32 v100, 0xffff, v101
	v_or_b32_e32 v103, 0x10000, v101
	s_delay_alu instid0(VALU_DEP_2) | instskip(NEXT) | instid1(VALU_DEP_2)
	v_cmp_eq_u32_e32 vcc_lo, 0, v100
	v_cndmask_b32_e32 v100, v103, v101, vcc_lo
; %bb.3557:                             ;   in Loop: Header=BB12_3077 Depth=3
	s_or_b32 exec_lo, exec_lo, s41
	v_and_b32_e32 v39, 0xffff0000, v39
	v_and_b32_e32 v86, 0xffff0000, v86
	s_delay_alu instid0(VALU_DEP_1) | instskip(NEXT) | instid1(VALU_DEP_1)
	v_add_f32_e32 v86, v39, v86
	v_and_b32_e32 v39, 0x7f800000, v86
	s_delay_alu instid0(VALU_DEP_1) | instskip(SKIP_1) | instid1(SALU_CYCLE_1)
	v_cmp_ne_u32_e32 vcc_lo, 0x7f800000, v39
                                        ; implicit-def: $vgpr39
	s_and_saveexec_b32 s41, vcc_lo
	s_xor_b32 s41, exec_lo, s41
; %bb.3558:                             ;   in Loop: Header=BB12_3077 Depth=3
	v_bfe_u32 v39, v86, 16, 1
	s_delay_alu instid0(VALU_DEP_1)
	v_add3_u32 v39, v86, v39, 0x7fff
                                        ; implicit-def: $vgpr86
; %bb.3559:                             ;   in Loop: Header=BB12_3077 Depth=3
	s_and_not1_saveexec_b32 s41, s41
; %bb.3560:                             ;   in Loop: Header=BB12_3077 Depth=3
	v_and_b32_e32 v39, 0xffff, v86
	v_or_b32_e32 v101, 0x10000, v86
	s_delay_alu instid0(VALU_DEP_2) | instskip(NEXT) | instid1(VALU_DEP_2)
	v_cmp_eq_u32_e32 vcc_lo, 0, v39
	v_cndmask_b32_e32 v39, v101, v86, vcc_lo
; %bb.3561:                             ;   in Loop: Header=BB12_3077 Depth=3
	s_or_b32 exec_lo, exec_lo, s41
	v_and_b32_e32 v86, 0xffff0000, v87
	s_wait_loadcnt 0x0
	v_lshlrev_b32_e32 v87, 16, v32
	s_delay_alu instid0(VALU_DEP_1) | instskip(NEXT) | instid1(VALU_DEP_1)
	v_add_f32_e32 v87, v87, v86
	v_and_b32_e32 v86, 0x7f800000, v87
	s_delay_alu instid0(VALU_DEP_1) | instskip(SKIP_1) | instid1(SALU_CYCLE_1)
	v_cmp_ne_u32_e32 vcc_lo, 0x7f800000, v86
                                        ; implicit-def: $vgpr86
	s_and_saveexec_b32 s41, vcc_lo
	s_xor_b32 s41, exec_lo, s41
; %bb.3562:                             ;   in Loop: Header=BB12_3077 Depth=3
	v_bfe_u32 v86, v87, 16, 1
	s_delay_alu instid0(VALU_DEP_1)
	v_add3_u32 v86, v87, v86, 0x7fff
                                        ; implicit-def: $vgpr87
; %bb.3563:                             ;   in Loop: Header=BB12_3077 Depth=3
	s_and_not1_saveexec_b32 s41, s41
; %bb.3564:                             ;   in Loop: Header=BB12_3077 Depth=3
	v_and_b32_e32 v86, 0xffff, v87
	v_or_b32_e32 v101, 0x10000, v87
	s_delay_alu instid0(VALU_DEP_2) | instskip(NEXT) | instid1(VALU_DEP_2)
	v_cmp_eq_u32_e32 vcc_lo, 0, v86
	v_cndmask_b32_e32 v86, v101, v87, vcc_lo
; %bb.3565:                             ;   in Loop: Header=BB12_3077 Depth=3
	s_or_b32 exec_lo, exec_lo, s41
	v_and_b32_e32 v32, 0xffff0000, v32
	v_and_b32_e32 v84, 0xffff0000, v84
	s_delay_alu instid0(VALU_DEP_1) | instskip(NEXT) | instid1(VALU_DEP_1)
	v_add_f32_e32 v84, v32, v84
	v_and_b32_e32 v32, 0x7f800000, v84
	s_delay_alu instid0(VALU_DEP_1) | instskip(SKIP_1) | instid1(SALU_CYCLE_1)
	v_cmp_ne_u32_e32 vcc_lo, 0x7f800000, v32
                                        ; implicit-def: $vgpr32
	s_and_saveexec_b32 s41, vcc_lo
	s_xor_b32 s41, exec_lo, s41
; %bb.3566:                             ;   in Loop: Header=BB12_3077 Depth=3
	v_bfe_u32 v32, v84, 16, 1
	s_delay_alu instid0(VALU_DEP_1)
	v_add3_u32 v32, v84, v32, 0x7fff
                                        ; implicit-def: $vgpr84
; %bb.3567:                             ;   in Loop: Header=BB12_3077 Depth=3
	s_and_not1_saveexec_b32 s41, s41
; %bb.3568:                             ;   in Loop: Header=BB12_3077 Depth=3
	v_and_b32_e32 v32, 0xffff, v84
	v_or_b32_e32 v87, 0x10000, v84
	s_delay_alu instid0(VALU_DEP_2) | instskip(NEXT) | instid1(VALU_DEP_2)
	v_cmp_eq_u32_e32 vcc_lo, 0, v32
	v_cndmask_b32_e32 v32, v87, v84, vcc_lo
; %bb.3569:                             ;   in Loop: Header=BB12_3077 Depth=3
	s_or_b32 exec_lo, exec_lo, s41
	v_and_b32_e32 v84, 0xffff0000, v85
	v_lshlrev_b32_e32 v85, 16, v33
	s_delay_alu instid0(VALU_DEP_1) | instskip(NEXT) | instid1(VALU_DEP_1)
	v_add_f32_e32 v85, v85, v84
	v_and_b32_e32 v84, 0x7f800000, v85
	s_delay_alu instid0(VALU_DEP_1) | instskip(SKIP_1) | instid1(SALU_CYCLE_1)
	v_cmp_ne_u32_e32 vcc_lo, 0x7f800000, v84
                                        ; implicit-def: $vgpr84
	s_and_saveexec_b32 s41, vcc_lo
	s_xor_b32 s41, exec_lo, s41
; %bb.3570:                             ;   in Loop: Header=BB12_3077 Depth=3
	v_bfe_u32 v84, v85, 16, 1
	s_delay_alu instid0(VALU_DEP_1)
	v_add3_u32 v84, v85, v84, 0x7fff
                                        ; implicit-def: $vgpr85
; %bb.3571:                             ;   in Loop: Header=BB12_3077 Depth=3
	s_and_not1_saveexec_b32 s41, s41
; %bb.3572:                             ;   in Loop: Header=BB12_3077 Depth=3
	v_and_b32_e32 v84, 0xffff, v85
	v_or_b32_e32 v87, 0x10000, v85
	s_delay_alu instid0(VALU_DEP_2) | instskip(NEXT) | instid1(VALU_DEP_2)
	v_cmp_eq_u32_e32 vcc_lo, 0, v84
	v_cndmask_b32_e32 v84, v87, v85, vcc_lo
; %bb.3573:                             ;   in Loop: Header=BB12_3077 Depth=3
	s_or_b32 exec_lo, exec_lo, s41
	v_and_b32_e32 v33, 0xffff0000, v33
	v_and_b32_e32 v80, 0xffff0000, v80
	s_delay_alu instid0(VALU_DEP_1) | instskip(NEXT) | instid1(VALU_DEP_1)
	v_add_f32_e32 v80, v33, v80
	v_and_b32_e32 v33, 0x7f800000, v80
	s_delay_alu instid0(VALU_DEP_1) | instskip(SKIP_1) | instid1(SALU_CYCLE_1)
	v_cmp_ne_u32_e32 vcc_lo, 0x7f800000, v33
                                        ; implicit-def: $vgpr33
	s_and_saveexec_b32 s41, vcc_lo
	s_xor_b32 s41, exec_lo, s41
; %bb.3574:                             ;   in Loop: Header=BB12_3077 Depth=3
	v_bfe_u32 v33, v80, 16, 1
	s_delay_alu instid0(VALU_DEP_1)
	v_add3_u32 v33, v80, v33, 0x7fff
                                        ; implicit-def: $vgpr80
; %bb.3575:                             ;   in Loop: Header=BB12_3077 Depth=3
	s_and_not1_saveexec_b32 s41, s41
; %bb.3576:                             ;   in Loop: Header=BB12_3077 Depth=3
	v_and_b32_e32 v33, 0xffff, v80
	v_or_b32_e32 v85, 0x10000, v80
	s_delay_alu instid0(VALU_DEP_2) | instskip(NEXT) | instid1(VALU_DEP_2)
	v_cmp_eq_u32_e32 vcc_lo, 0, v33
	v_cndmask_b32_e32 v33, v85, v80, vcc_lo
; %bb.3577:                             ;   in Loop: Header=BB12_3077 Depth=3
	s_or_b32 exec_lo, exec_lo, s41
	v_and_b32_e32 v80, 0xffff0000, v81
	v_lshlrev_b32_e32 v81, 16, v34
	s_delay_alu instid0(VALU_DEP_1) | instskip(NEXT) | instid1(VALU_DEP_1)
	v_add_f32_e32 v81, v81, v80
	v_and_b32_e32 v80, 0x7f800000, v81
	s_delay_alu instid0(VALU_DEP_1) | instskip(SKIP_1) | instid1(SALU_CYCLE_1)
	v_cmp_ne_u32_e32 vcc_lo, 0x7f800000, v80
                                        ; implicit-def: $vgpr80
	s_and_saveexec_b32 s41, vcc_lo
	s_xor_b32 s41, exec_lo, s41
; %bb.3578:                             ;   in Loop: Header=BB12_3077 Depth=3
	v_bfe_u32 v80, v81, 16, 1
	s_delay_alu instid0(VALU_DEP_1)
	v_add3_u32 v80, v81, v80, 0x7fff
                                        ; implicit-def: $vgpr81
; %bb.3579:                             ;   in Loop: Header=BB12_3077 Depth=3
	s_and_not1_saveexec_b32 s41, s41
; %bb.3580:                             ;   in Loop: Header=BB12_3077 Depth=3
	v_and_b32_e32 v80, 0xffff, v81
	v_or_b32_e32 v85, 0x10000, v81
	s_delay_alu instid0(VALU_DEP_2) | instskip(NEXT) | instid1(VALU_DEP_2)
	v_cmp_eq_u32_e32 vcc_lo, 0, v80
	v_cndmask_b32_e32 v80, v85, v81, vcc_lo
; %bb.3581:                             ;   in Loop: Header=BB12_3077 Depth=3
	s_or_b32 exec_lo, exec_lo, s41
	v_and_b32_e32 v34, 0xffff0000, v34
	v_and_b32_e32 v30, 0xffff0000, v30
	s_delay_alu instid0(VALU_DEP_1) | instskip(NEXT) | instid1(VALU_DEP_1)
	v_add_f32_e32 v34, v34, v30
	v_and_b32_e32 v30, 0x7f800000, v34
	s_delay_alu instid0(VALU_DEP_1) | instskip(SKIP_1) | instid1(SALU_CYCLE_1)
	v_cmp_ne_u32_e32 vcc_lo, 0x7f800000, v30
                                        ; implicit-def: $vgpr30
	s_and_saveexec_b32 s41, vcc_lo
	s_xor_b32 s41, exec_lo, s41
; %bb.3582:                             ;   in Loop: Header=BB12_3077 Depth=3
	v_bfe_u32 v30, v34, 16, 1
	s_delay_alu instid0(VALU_DEP_1)
	v_add3_u32 v30, v34, v30, 0x7fff
                                        ; implicit-def: $vgpr34
; %bb.3583:                             ;   in Loop: Header=BB12_3077 Depth=3
	s_and_not1_saveexec_b32 s41, s41
; %bb.3584:                             ;   in Loop: Header=BB12_3077 Depth=3
	v_and_b32_e32 v30, 0xffff, v34
	v_or_b32_e32 v81, 0x10000, v34
	s_delay_alu instid0(VALU_DEP_2) | instskip(NEXT) | instid1(VALU_DEP_2)
	v_cmp_eq_u32_e32 vcc_lo, 0, v30
	v_cndmask_b32_e32 v30, v81, v34, vcc_lo
; %bb.3585:                             ;   in Loop: Header=BB12_3077 Depth=3
	s_or_b32 exec_lo, exec_lo, s41
	v_and_b32_e32 v31, 0xffff0000, v31
	v_lshlrev_b32_e32 v34, 16, v35
	s_delay_alu instid0(VALU_DEP_1) | instskip(NEXT) | instid1(VALU_DEP_1)
	v_add_f32_e32 v34, v34, v31
	v_and_b32_e32 v31, 0x7f800000, v34
	s_delay_alu instid0(VALU_DEP_1) | instskip(SKIP_1) | instid1(SALU_CYCLE_1)
	v_cmp_ne_u32_e32 vcc_lo, 0x7f800000, v31
                                        ; implicit-def: $vgpr31
	s_and_saveexec_b32 s41, vcc_lo
	s_xor_b32 s41, exec_lo, s41
; %bb.3586:                             ;   in Loop: Header=BB12_3077 Depth=3
	v_bfe_u32 v31, v34, 16, 1
	s_delay_alu instid0(VALU_DEP_1)
	v_add3_u32 v31, v34, v31, 0x7fff
                                        ; implicit-def: $vgpr34
; %bb.3587:                             ;   in Loop: Header=BB12_3077 Depth=3
	s_and_not1_saveexec_b32 s41, s41
; %bb.3588:                             ;   in Loop: Header=BB12_3077 Depth=3
	v_and_b32_e32 v31, 0xffff, v34
	v_or_b32_e32 v81, 0x10000, v34
	s_delay_alu instid0(VALU_DEP_2) | instskip(NEXT) | instid1(VALU_DEP_2)
	v_cmp_eq_u32_e32 vcc_lo, 0, v31
	v_cndmask_b32_e32 v31, v81, v34, vcc_lo
; %bb.3589:                             ;   in Loop: Header=BB12_3077 Depth=3
	s_or_b32 exec_lo, exec_lo, s41
	v_and_b32_e32 v34, 0xffff0000, v35
	v_and_b32_e32 v29, 0xffff0000, v29
	s_delay_alu instid0(VALU_DEP_1) | instskip(NEXT) | instid1(VALU_DEP_1)
	v_add_f32_e32 v34, v34, v29
	v_and_b32_e32 v29, 0x7f800000, v34
	s_delay_alu instid0(VALU_DEP_1) | instskip(SKIP_1) | instid1(SALU_CYCLE_1)
	v_cmp_ne_u32_e32 vcc_lo, 0x7f800000, v29
                                        ; implicit-def: $vgpr29
	s_and_saveexec_b32 s41, vcc_lo
	s_xor_b32 s41, exec_lo, s41
; %bb.3590:                             ;   in Loop: Header=BB12_3077 Depth=3
	v_bfe_u32 v29, v34, 16, 1
	s_delay_alu instid0(VALU_DEP_1)
	v_add3_u32 v29, v34, v29, 0x7fff
                                        ; implicit-def: $vgpr34
; %bb.3591:                             ;   in Loop: Header=BB12_3077 Depth=3
	s_and_not1_saveexec_b32 s41, s41
; %bb.3592:                             ;   in Loop: Header=BB12_3077 Depth=3
	v_and_b32_e32 v29, 0xffff, v34
	v_or_b32_e32 v35, 0x10000, v34
	s_delay_alu instid0(VALU_DEP_2) | instskip(NEXT) | instid1(VALU_DEP_2)
	v_cmp_eq_u32_e32 vcc_lo, 0, v29
	v_cndmask_b32_e32 v29, v35, v34, vcc_lo
; %bb.3593:                             ;   in Loop: Header=BB12_3077 Depth=3
	s_or_b32 exec_lo, exec_lo, s41
	v_dual_lshrrev_b32 v34, 16, v112 :: v_dual_lshrrev_b32 v81, 16, v114
	v_dual_lshrrev_b32 v85, 16, v102 :: v_dual_lshrrev_b32 v87, 16, v100
	;; [unrolled: 1-line block ×3, first 2 shown]
	v_lshrrev_b32_e32 v1, 16, v1
	s_delay_alu instid0(VALU_DEP_4) | instskip(NEXT) | instid1(VALU_DEP_4)
	v_and_or_b32 v35, 0xffff0000, v37, v34
	v_and_or_b32 v37, 0xffff0000, v39, v87
	v_lshrrev_b32_e32 v39, 16, v42
	v_and_or_b32 v52, 0xffff0000, v52, v67
	v_lshrrev_b32_e32 v67, 16, v82
	;; [unrolled: 2-line block ×3, first 2 shown]
	v_lshrrev_b32_e32 v83, 16, v83
	v_and_or_b32 v34, 0xffff0000, v36, v81
	v_and_or_b32 v36, 0xffff0000, v38, v85
	v_lshrrev_b32_e32 v38, 16, v44
	v_and_or_b32 v100, 0xffff0000, v64, v1
	v_and_or_b32 v102, 0xffff0000, v6, v67
	v_dual_lshrrev_b32 v1, 16, v84 :: v_dual_lshrrev_b32 v6, 16, v86
	v_dual_lshrrev_b32 v7, 16, v80 :: v_dual_lshrrev_b32 v31, 16, v31
	v_and_or_b32 v103, 0xffff0000, v66, v0
	v_and_or_b32 v53, 0xffff0000, v53, v83
	;; [unrolled: 1-line block ×8, first 2 shown]
	s_clause 0x3
	global_store_b128 v[62:63], v[100:103], off th:TH_STORE_NT
	global_store_b128 v[62:63], v[52:55], off offset:512 th:TH_STORE_NT
	global_store_b128 v[62:63], v[34:37], off offset:1024 th:TH_STORE_NT
	;; [unrolled: 1-line block ×3, first 2 shown]
	s_wait_xcnt 0x0
	v_add_nc_u64_e32 v[62:63], 0x800, v[62:63]
	s_clause 0x3
	global_store_b128 v[4:5], v[100:103], off th:TH_STORE_NT
	global_store_b128 v[4:5], v[52:55], off offset:512 th:TH_STORE_NT
	global_store_b128 v[4:5], v[34:37], off offset:1024 th:TH_STORE_NT
	;; [unrolled: 1-line block ×3, first 2 shown]
	s_wait_xcnt 0x0
	v_add_nc_u64_e32 v[4:5], 0x800, v[4:5]
	s_and_saveexec_b32 s41, s40
	s_cbranch_execz .LBB12_3076
; %bb.3594:                             ;   in Loop: Header=BB12_3077 Depth=3
	v_add_nc_u64_e32 v[62:63], v[62:63], v[92:93]
	s_delay_alu instid0(VALU_DEP_2)
	v_add_nc_u64_e32 v[4:5], v[4:5], v[92:93]
	v_add_nc_u64_e32 v[118:119], v[118:119], v[92:93]
	;; [unrolled: 1-line block ×3, first 2 shown]
	v_sub_nc_u32_e32 v75, v75, v60
	s_branch .LBB12_3076
.LBB12_3595:                            ;   in Loop: Header=BB12_2999 Depth=2
	s_mov_b32 s13, 0
	s_wait_xcnt 0x0
	s_and_saveexec_b32 s14, s2
	s_cbranch_execnz .LBB12_5947
	s_branch .LBB12_5965
.LBB12_3596:                            ;   in Loop: Header=BB12_2999 Depth=2
	s_mov_b32 s76, 0
	v_mov_b32_e32 v2, 0
	s_and_not1_b32 vcc_lo, exec_lo, s13
	s_cbranch_vccz .LBB12_3074
.LBB12_3597:                            ;   in Loop: Header=BB12_2999 Depth=2
	scratch_load_b32 v0, off, s33 offset:356 ; 4-byte Folded Reload
	s_wait_loadcnt 0x1
	scratch_load_b32 v19, off, s33 offset:328 ; 4-byte Folded Reload
	v_mov_b32_e32 v18, v123
	s_wait_xcnt 0x0
	s_and_saveexec_b32 s15, s76
	s_cbranch_execnz .LBB12_4074
	s_branch .LBB12_4514
.LBB12_3598:                            ;   in Loop: Header=BB12_2999 Depth=2
	s_or_b32 exec_lo, exec_lo, s14
	scratch_load_b32 v85, off, s33 offset:396 ; 4-byte Folded Reload
	s_and_b32 s14, s15, exec_lo
.LBB12_3599:                            ;   in Loop: Header=BB12_2999 Depth=2
	s_wait_xcnt 0x0
	s_or_b32 exec_lo, exec_lo, s13
	s_and_saveexec_b32 s13, s14
	s_cbranch_execz .LBB12_3857
; %bb.3600:                             ;   in Loop: Header=BB12_2999 Depth=2
	s_trap 2
	ds_load_b32 v0, v0
	s_mov_b32 s14, exec_lo
	s_wait_dscnt 0x0
	v_lshlrev_b32_e32 v33, 16, v0
	s_delay_alu instid0(VALU_DEP_1) | instskip(NEXT) | instid1(VALU_DEP_1)
	v_dual_lshlrev_b32 v32, 16, v96 :: v_dual_mov_b32 v0, v33
	v_pk_mul_f32 v[34:35], v[0:1], v[32:33]
                                        ; implicit-def: $vgpr1
	s_delay_alu instid0(VALU_DEP_1) | instskip(NEXT) | instid1(VALU_DEP_1)
	v_and_b32_e32 v0, 0x7f800000, v34
	v_cmpx_ne_u32_e32 0x7f800000, v0
	s_xor_b32 s14, exec_lo, s14
; %bb.3601:                             ;   in Loop: Header=BB12_2999 Depth=2
	v_bfe_u32 v0, v34, 16, 1
	s_delay_alu instid0(VALU_DEP_1)
	v_add3_u32 v1, v34, v0, 0x7fff
                                        ; implicit-def: $vgpr34_vgpr35
; %bb.3602:                             ;   in Loop: Header=BB12_2999 Depth=2
	s_and_not1_saveexec_b32 s14, s14
; %bb.3603:                             ;   in Loop: Header=BB12_2999 Depth=2
	v_and_b32_e32 v0, 0xffff, v34
	v_or_b32_e32 v1, 0x10000, v34
	s_delay_alu instid0(VALU_DEP_2) | instskip(NEXT) | instid1(VALU_DEP_2)
	v_cmp_eq_u32_e32 vcc_lo, 0, v0
	v_cndmask_b32_e32 v1, v1, v34, vcc_lo
; %bb.3604:                             ;   in Loop: Header=BB12_2999 Depth=2
	s_or_b32 exec_lo, exec_lo, s14
	v_and_b32_e32 v0, 0xffff0000, v96
	s_delay_alu instid0(VALU_DEP_1) | instskip(NEXT) | instid1(VALU_DEP_1)
	v_mul_f32_e32 v2, v33, v0
	v_and_b32_e32 v0, 0x7f800000, v2
	s_delay_alu instid0(VALU_DEP_1) | instskip(SKIP_1) | instid1(SALU_CYCLE_1)
	v_cmp_ne_u32_e32 vcc_lo, 0x7f800000, v0
                                        ; implicit-def: $vgpr0
	s_and_saveexec_b32 s14, vcc_lo
	s_xor_b32 s14, exec_lo, s14
; %bb.3605:                             ;   in Loop: Header=BB12_2999 Depth=2
	v_bfe_u32 v0, v2, 16, 1
	s_delay_alu instid0(VALU_DEP_1)
	v_add3_u32 v0, v2, v0, 0x7fff
                                        ; implicit-def: $vgpr2
; %bb.3606:                             ;   in Loop: Header=BB12_2999 Depth=2
	s_and_not1_saveexec_b32 s14, s14
; %bb.3607:                             ;   in Loop: Header=BB12_2999 Depth=2
	v_and_b32_e32 v0, 0xffff, v2
	v_or_b32_e32 v6, 0x10000, v2
	s_delay_alu instid0(VALU_DEP_2) | instskip(NEXT) | instid1(VALU_DEP_2)
	v_cmp_eq_u32_e32 vcc_lo, 0, v0
	v_cndmask_b32_e32 v0, v6, v2, vcc_lo
; %bb.3608:                             ;   in Loop: Header=BB12_2999 Depth=2
	s_or_b32 exec_lo, exec_lo, s14
	v_lshlrev_b32_e32 v2, 16, v97
	s_mov_b32 s14, exec_lo
                                        ; implicit-def: $vgpr84
	s_delay_alu instid0(VALU_DEP_1) | instskip(NEXT) | instid1(VALU_DEP_1)
	v_mul_f32_e32 v2, v33, v2
	v_and_b32_e32 v6, 0x7f800000, v2
	s_delay_alu instid0(VALU_DEP_1)
	v_cmpx_ne_u32_e32 0x7f800000, v6
	s_xor_b32 s14, exec_lo, s14
; %bb.3609:                             ;   in Loop: Header=BB12_2999 Depth=2
	v_bfe_u32 v6, v2, 16, 1
	s_delay_alu instid0(VALU_DEP_1)
	v_add3_u32 v84, v2, v6, 0x7fff
                                        ; implicit-def: $vgpr2
; %bb.3610:                             ;   in Loop: Header=BB12_2999 Depth=2
	s_and_not1_saveexec_b32 s14, s14
; %bb.3611:                             ;   in Loop: Header=BB12_2999 Depth=2
	v_and_b32_e32 v6, 0xffff, v2
	v_or_b32_e32 v7, 0x10000, v2
	s_delay_alu instid0(VALU_DEP_2) | instskip(NEXT) | instid1(VALU_DEP_2)
	v_cmp_eq_u32_e32 vcc_lo, 0, v6
	v_cndmask_b32_e32 v84, v7, v2, vcc_lo
; %bb.3612:                             ;   in Loop: Header=BB12_2999 Depth=2
	s_or_b32 exec_lo, exec_lo, s14
	v_and_b32_e32 v2, 0xffff0000, v97
	s_mov_b32 s14, exec_lo
                                        ; implicit-def: $vgpr82
	s_delay_alu instid0(VALU_DEP_1) | instskip(NEXT) | instid1(VALU_DEP_1)
	v_mul_f32_e32 v2, v33, v2
	v_and_b32_e32 v6, 0x7f800000, v2
	s_delay_alu instid0(VALU_DEP_1)
	v_cmpx_ne_u32_e32 0x7f800000, v6
	s_xor_b32 s14, exec_lo, s14
; %bb.3613:                             ;   in Loop: Header=BB12_2999 Depth=2
	v_bfe_u32 v6, v2, 16, 1
	s_delay_alu instid0(VALU_DEP_1)
	v_add3_u32 v82, v2, v6, 0x7fff
                                        ; implicit-def: $vgpr2
; %bb.3614:                             ;   in Loop: Header=BB12_2999 Depth=2
	s_and_not1_saveexec_b32 s14, s14
; %bb.3615:                             ;   in Loop: Header=BB12_2999 Depth=2
	v_and_b32_e32 v6, 0xffff, v2
	v_or_b32_e32 v7, 0x10000, v2
	s_delay_alu instid0(VALU_DEP_2) | instskip(NEXT) | instid1(VALU_DEP_2)
	v_cmp_eq_u32_e32 vcc_lo, 0, v6
	v_cndmask_b32_e32 v82, v7, v2, vcc_lo
; %bb.3616:                             ;   in Loop: Header=BB12_2999 Depth=2
	s_or_b32 exec_lo, exec_lo, s14
	v_lshlrev_b32_e32 v2, 16, v98
	s_mov_b32 s14, exec_lo
                                        ; implicit-def: $vgpr83
	s_delay_alu instid0(VALU_DEP_1) | instskip(NEXT) | instid1(VALU_DEP_1)
	v_mul_f32_e32 v2, v33, v2
	v_and_b32_e32 v6, 0x7f800000, v2
	s_delay_alu instid0(VALU_DEP_1)
	v_cmpx_ne_u32_e32 0x7f800000, v6
	s_xor_b32 s14, exec_lo, s14
; %bb.3617:                             ;   in Loop: Header=BB12_2999 Depth=2
	v_bfe_u32 v6, v2, 16, 1
	s_delay_alu instid0(VALU_DEP_1)
	v_add3_u32 v83, v2, v6, 0x7fff
                                        ; implicit-def: $vgpr2
; %bb.3618:                             ;   in Loop: Header=BB12_2999 Depth=2
	s_and_not1_saveexec_b32 s14, s14
; %bb.3619:                             ;   in Loop: Header=BB12_2999 Depth=2
	v_and_b32_e32 v6, 0xffff, v2
	v_or_b32_e32 v7, 0x10000, v2
	s_delay_alu instid0(VALU_DEP_2) | instskip(NEXT) | instid1(VALU_DEP_2)
	v_cmp_eq_u32_e32 vcc_lo, 0, v6
	v_cndmask_b32_e32 v83, v7, v2, vcc_lo
; %bb.3620:                             ;   in Loop: Header=BB12_2999 Depth=2
	s_or_b32 exec_lo, exec_lo, s14
	v_and_b32_e32 v2, 0xffff0000, v98
	s_delay_alu instid0(VALU_DEP_1) | instskip(NEXT) | instid1(VALU_DEP_1)
	v_mul_f32_e32 v2, v33, v2
	v_and_b32_e32 v6, 0x7f800000, v2
	s_delay_alu instid0(VALU_DEP_1) | instskip(SKIP_1) | instid1(SALU_CYCLE_1)
	v_cmp_ne_u32_e32 vcc_lo, 0x7f800000, v6
                                        ; implicit-def: $vgpr6
	s_and_saveexec_b32 s14, vcc_lo
	s_xor_b32 s14, exec_lo, s14
; %bb.3621:                             ;   in Loop: Header=BB12_2999 Depth=2
	v_bfe_u32 v6, v2, 16, 1
	s_delay_alu instid0(VALU_DEP_1)
	v_add3_u32 v6, v2, v6, 0x7fff
                                        ; implicit-def: $vgpr2
; %bb.3622:                             ;   in Loop: Header=BB12_2999 Depth=2
	s_and_not1_saveexec_b32 s14, s14
; %bb.3623:                             ;   in Loop: Header=BB12_2999 Depth=2
	v_and_b32_e32 v6, 0xffff, v2
	v_or_b32_e32 v7, 0x10000, v2
	s_delay_alu instid0(VALU_DEP_2) | instskip(NEXT) | instid1(VALU_DEP_2)
	v_cmp_eq_u32_e32 vcc_lo, 0, v6
	v_cndmask_b32_e32 v6, v7, v2, vcc_lo
; %bb.3624:                             ;   in Loop: Header=BB12_2999 Depth=2
	s_or_b32 exec_lo, exec_lo, s14
	v_lshlrev_b32_e32 v2, 16, v99
	s_delay_alu instid0(VALU_DEP_1) | instskip(NEXT) | instid1(VALU_DEP_1)
	v_mul_f32_e32 v2, v33, v2
	v_and_b32_e32 v7, 0x7f800000, v2
	s_delay_alu instid0(VALU_DEP_1) | instskip(SKIP_1) | instid1(SALU_CYCLE_1)
	v_cmp_ne_u32_e32 vcc_lo, 0x7f800000, v7
                                        ; implicit-def: $vgpr7
	s_and_saveexec_b32 s14, vcc_lo
	s_xor_b32 s14, exec_lo, s14
; %bb.3625:                             ;   in Loop: Header=BB12_2999 Depth=2
	v_bfe_u32 v7, v2, 16, 1
	s_delay_alu instid0(VALU_DEP_1)
	v_add3_u32 v7, v2, v7, 0x7fff
                                        ; implicit-def: $vgpr2
; %bb.3626:                             ;   in Loop: Header=BB12_2999 Depth=2
	s_and_not1_saveexec_b32 s14, s14
; %bb.3627:                             ;   in Loop: Header=BB12_2999 Depth=2
	v_and_b32_e32 v7, 0xffff, v2
	v_or_b32_e32 v29, 0x10000, v2
	s_delay_alu instid0(VALU_DEP_2) | instskip(NEXT) | instid1(VALU_DEP_2)
	v_cmp_eq_u32_e32 vcc_lo, 0, v7
	v_cndmask_b32_e32 v7, v29, v2, vcc_lo
; %bb.3628:                             ;   in Loop: Header=BB12_2999 Depth=2
	s_or_b32 exec_lo, exec_lo, s14
	v_and_b32_e32 v2, 0xffff0000, v99
	s_mov_b32 s14, exec_lo
                                        ; implicit-def: $vgpr80
	s_delay_alu instid0(VALU_DEP_1) | instskip(NEXT) | instid1(VALU_DEP_1)
	v_mul_f32_e32 v2, v33, v2
	v_and_b32_e32 v29, 0x7f800000, v2
	s_delay_alu instid0(VALU_DEP_1)
	v_cmpx_ne_u32_e32 0x7f800000, v29
	s_xor_b32 s14, exec_lo, s14
; %bb.3629:                             ;   in Loop: Header=BB12_2999 Depth=2
	v_bfe_u32 v29, v2, 16, 1
	s_delay_alu instid0(VALU_DEP_1)
	v_add3_u32 v80, v2, v29, 0x7fff
                                        ; implicit-def: $vgpr2
; %bb.3630:                             ;   in Loop: Header=BB12_2999 Depth=2
	s_and_not1_saveexec_b32 s14, s14
; %bb.3631:                             ;   in Loop: Header=BB12_2999 Depth=2
	v_and_b32_e32 v29, 0xffff, v2
	v_or_b32_e32 v30, 0x10000, v2
	s_delay_alu instid0(VALU_DEP_2) | instskip(NEXT) | instid1(VALU_DEP_2)
	v_cmp_eq_u32_e32 vcc_lo, 0, v29
	v_cndmask_b32_e32 v80, v30, v2, vcc_lo
; %bb.3632:                             ;   in Loop: Header=BB12_2999 Depth=2
	s_or_b32 exec_lo, exec_lo, s14
	v_lshlrev_b32_e32 v2, 16, v68
	s_mov_b32 s14, exec_lo
                                        ; implicit-def: $vgpr81
	s_delay_alu instid0(VALU_DEP_1) | instskip(NEXT) | instid1(VALU_DEP_1)
	v_mul_f32_e32 v2, v33, v2
	v_and_b32_e32 v29, 0x7f800000, v2
	s_delay_alu instid0(VALU_DEP_1)
	v_cmpx_ne_u32_e32 0x7f800000, v29
	s_xor_b32 s14, exec_lo, s14
; %bb.3633:                             ;   in Loop: Header=BB12_2999 Depth=2
	v_bfe_u32 v29, v2, 16, 1
	s_delay_alu instid0(VALU_DEP_1)
	v_add3_u32 v81, v2, v29, 0x7fff
                                        ; implicit-def: $vgpr2
; %bb.3634:                             ;   in Loop: Header=BB12_2999 Depth=2
	s_and_not1_saveexec_b32 s14, s14
; %bb.3635:                             ;   in Loop: Header=BB12_2999 Depth=2
	v_and_b32_e32 v29, 0xffff, v2
	v_or_b32_e32 v30, 0x10000, v2
	s_delay_alu instid0(VALU_DEP_2) | instskip(NEXT) | instid1(VALU_DEP_2)
	v_cmp_eq_u32_e32 vcc_lo, 0, v29
	v_cndmask_b32_e32 v81, v30, v2, vcc_lo
; %bb.3636:                             ;   in Loop: Header=BB12_2999 Depth=2
	s_or_b32 exec_lo, exec_lo, s14
	v_and_b32_e32 v2, 0xffff0000, v68
	s_mov_b32 s14, exec_lo
                                        ; implicit-def: $vgpr67
	s_delay_alu instid0(VALU_DEP_1) | instskip(NEXT) | instid1(VALU_DEP_1)
	v_mul_f32_e32 v2, v33, v2
	v_and_b32_e32 v29, 0x7f800000, v2
	s_delay_alu instid0(VALU_DEP_1)
	v_cmpx_ne_u32_e32 0x7f800000, v29
	s_xor_b32 s14, exec_lo, s14
; %bb.3637:                             ;   in Loop: Header=BB12_2999 Depth=2
	v_bfe_u32 v29, v2, 16, 1
	s_delay_alu instid0(VALU_DEP_1)
	v_add3_u32 v67, v2, v29, 0x7fff
                                        ; implicit-def: $vgpr2
; %bb.3638:                             ;   in Loop: Header=BB12_2999 Depth=2
	s_and_not1_saveexec_b32 s14, s14
; %bb.3639:                             ;   in Loop: Header=BB12_2999 Depth=2
	v_and_b32_e32 v29, 0xffff, v2
	v_or_b32_e32 v30, 0x10000, v2
	s_delay_alu instid0(VALU_DEP_2) | instskip(NEXT) | instid1(VALU_DEP_2)
	v_cmp_eq_u32_e32 vcc_lo, 0, v29
	v_cndmask_b32_e32 v67, v30, v2, vcc_lo
; %bb.3640:                             ;   in Loop: Header=BB12_2999 Depth=2
	s_or_b32 exec_lo, exec_lo, s14
	v_lshlrev_b32_e32 v2, 16, v69
	s_mov_b32 s14, exec_lo
                                        ; implicit-def: $vgpr68
	s_delay_alu instid0(VALU_DEP_1) | instskip(NEXT) | instid1(VALU_DEP_1)
	v_mul_f32_e32 v2, v33, v2
	v_and_b32_e32 v29, 0x7f800000, v2
	s_delay_alu instid0(VALU_DEP_1)
	v_cmpx_ne_u32_e32 0x7f800000, v29
	s_xor_b32 s14, exec_lo, s14
; %bb.3641:                             ;   in Loop: Header=BB12_2999 Depth=2
	v_bfe_u32 v29, v2, 16, 1
	s_delay_alu instid0(VALU_DEP_1)
	v_add3_u32 v68, v2, v29, 0x7fff
                                        ; implicit-def: $vgpr2
; %bb.3642:                             ;   in Loop: Header=BB12_2999 Depth=2
	s_and_not1_saveexec_b32 s14, s14
; %bb.3643:                             ;   in Loop: Header=BB12_2999 Depth=2
	v_and_b32_e32 v29, 0xffff, v2
	v_or_b32_e32 v30, 0x10000, v2
	s_delay_alu instid0(VALU_DEP_2) | instskip(NEXT) | instid1(VALU_DEP_2)
	v_cmp_eq_u32_e32 vcc_lo, 0, v29
	v_cndmask_b32_e32 v68, v30, v2, vcc_lo
; %bb.3644:                             ;   in Loop: Header=BB12_2999 Depth=2
	s_or_b32 exec_lo, exec_lo, s14
	v_and_b32_e32 v2, 0xffff0000, v69
	s_mov_b32 s14, exec_lo
                                        ; implicit-def: $vgpr65
	s_delay_alu instid0(VALU_DEP_1) | instskip(NEXT) | instid1(VALU_DEP_1)
	v_mul_f32_e32 v2, v33, v2
	v_and_b32_e32 v29, 0x7f800000, v2
	s_delay_alu instid0(VALU_DEP_1)
	v_cmpx_ne_u32_e32 0x7f800000, v29
	s_xor_b32 s14, exec_lo, s14
; %bb.3645:                             ;   in Loop: Header=BB12_2999 Depth=2
	v_bfe_u32 v29, v2, 16, 1
	s_delay_alu instid0(VALU_DEP_1)
	v_add3_u32 v65, v2, v29, 0x7fff
                                        ; implicit-def: $vgpr2
; %bb.3646:                             ;   in Loop: Header=BB12_2999 Depth=2
	s_and_not1_saveexec_b32 s14, s14
; %bb.3647:                             ;   in Loop: Header=BB12_2999 Depth=2
	v_and_b32_e32 v29, 0xffff, v2
	v_or_b32_e32 v30, 0x10000, v2
	s_delay_alu instid0(VALU_DEP_2) | instskip(NEXT) | instid1(VALU_DEP_2)
	v_cmp_eq_u32_e32 vcc_lo, 0, v29
	v_cndmask_b32_e32 v65, v30, v2, vcc_lo
; %bb.3648:                             ;   in Loop: Header=BB12_2999 Depth=2
	s_or_b32 exec_lo, exec_lo, s14
	v_lshlrev_b32_e32 v2, 16, v70
	s_mov_b32 s14, exec_lo
                                        ; implicit-def: $vgpr66
	s_delay_alu instid0(VALU_DEP_1) | instskip(NEXT) | instid1(VALU_DEP_1)
	v_mul_f32_e32 v2, v33, v2
	v_and_b32_e32 v29, 0x7f800000, v2
	s_delay_alu instid0(VALU_DEP_1)
	v_cmpx_ne_u32_e32 0x7f800000, v29
	s_xor_b32 s14, exec_lo, s14
; %bb.3649:                             ;   in Loop: Header=BB12_2999 Depth=2
	v_bfe_u32 v29, v2, 16, 1
	s_delay_alu instid0(VALU_DEP_1)
	v_add3_u32 v66, v2, v29, 0x7fff
                                        ; implicit-def: $vgpr2
; %bb.3650:                             ;   in Loop: Header=BB12_2999 Depth=2
	s_and_not1_saveexec_b32 s14, s14
; %bb.3651:                             ;   in Loop: Header=BB12_2999 Depth=2
	v_and_b32_e32 v29, 0xffff, v2
	v_or_b32_e32 v30, 0x10000, v2
	s_delay_alu instid0(VALU_DEP_2) | instskip(NEXT) | instid1(VALU_DEP_2)
	v_cmp_eq_u32_e32 vcc_lo, 0, v29
	v_cndmask_b32_e32 v66, v30, v2, vcc_lo
; %bb.3652:                             ;   in Loop: Header=BB12_2999 Depth=2
	s_or_b32 exec_lo, exec_lo, s14
	v_and_b32_e32 v2, 0xffff0000, v70
	s_mov_b32 s14, exec_lo
                                        ; implicit-def: $vgpr55
	s_delay_alu instid0(VALU_DEP_1) | instskip(NEXT) | instid1(VALU_DEP_1)
	v_mul_f32_e32 v2, v33, v2
	v_and_b32_e32 v29, 0x7f800000, v2
	s_delay_alu instid0(VALU_DEP_1)
	v_cmpx_ne_u32_e32 0x7f800000, v29
	s_xor_b32 s14, exec_lo, s14
; %bb.3653:                             ;   in Loop: Header=BB12_2999 Depth=2
	v_bfe_u32 v29, v2, 16, 1
	s_delay_alu instid0(VALU_DEP_1)
	v_add3_u32 v55, v2, v29, 0x7fff
                                        ; implicit-def: $vgpr2
; %bb.3654:                             ;   in Loop: Header=BB12_2999 Depth=2
	s_and_not1_saveexec_b32 s14, s14
; %bb.3655:                             ;   in Loop: Header=BB12_2999 Depth=2
	v_and_b32_e32 v29, 0xffff, v2
	v_or_b32_e32 v30, 0x10000, v2
	s_delay_alu instid0(VALU_DEP_2) | instskip(NEXT) | instid1(VALU_DEP_2)
	v_cmp_eq_u32_e32 vcc_lo, 0, v29
	v_cndmask_b32_e32 v55, v30, v2, vcc_lo
; %bb.3656:                             ;   in Loop: Header=BB12_2999 Depth=2
	s_or_b32 exec_lo, exec_lo, s14
	v_lshlrev_b32_e32 v2, 16, v71
	s_mov_b32 s14, exec_lo
                                        ; implicit-def: $vgpr64
	s_delay_alu instid0(VALU_DEP_1) | instskip(NEXT) | instid1(VALU_DEP_1)
	v_mul_f32_e32 v2, v33, v2
	v_and_b32_e32 v29, 0x7f800000, v2
	s_delay_alu instid0(VALU_DEP_1)
	v_cmpx_ne_u32_e32 0x7f800000, v29
	s_xor_b32 s14, exec_lo, s14
; %bb.3657:                             ;   in Loop: Header=BB12_2999 Depth=2
	v_bfe_u32 v29, v2, 16, 1
	s_delay_alu instid0(VALU_DEP_1)
	v_add3_u32 v64, v2, v29, 0x7fff
                                        ; implicit-def: $vgpr2
; %bb.3658:                             ;   in Loop: Header=BB12_2999 Depth=2
	s_and_not1_saveexec_b32 s14, s14
; %bb.3659:                             ;   in Loop: Header=BB12_2999 Depth=2
	v_and_b32_e32 v29, 0xffff, v2
	v_or_b32_e32 v30, 0x10000, v2
	s_delay_alu instid0(VALU_DEP_2) | instskip(NEXT) | instid1(VALU_DEP_2)
	v_cmp_eq_u32_e32 vcc_lo, 0, v29
	v_cndmask_b32_e32 v64, v30, v2, vcc_lo
; %bb.3660:                             ;   in Loop: Header=BB12_2999 Depth=2
	s_or_b32 exec_lo, exec_lo, s14
	v_and_b32_e32 v2, 0xffff0000, v71
	s_mov_b32 s14, exec_lo
                                        ; implicit-def: $vgpr53
	s_delay_alu instid0(VALU_DEP_1) | instskip(NEXT) | instid1(VALU_DEP_1)
	v_mul_f32_e32 v2, v33, v2
	v_and_b32_e32 v29, 0x7f800000, v2
	s_delay_alu instid0(VALU_DEP_1)
	v_cmpx_ne_u32_e32 0x7f800000, v29
	s_xor_b32 s14, exec_lo, s14
; %bb.3661:                             ;   in Loop: Header=BB12_2999 Depth=2
	v_bfe_u32 v29, v2, 16, 1
	s_delay_alu instid0(VALU_DEP_1)
	v_add3_u32 v53, v2, v29, 0x7fff
                                        ; implicit-def: $vgpr2
; %bb.3662:                             ;   in Loop: Header=BB12_2999 Depth=2
	s_and_not1_saveexec_b32 s14, s14
; %bb.3663:                             ;   in Loop: Header=BB12_2999 Depth=2
	v_and_b32_e32 v29, 0xffff, v2
	v_or_b32_e32 v30, 0x10000, v2
	s_delay_alu instid0(VALU_DEP_2) | instskip(NEXT) | instid1(VALU_DEP_2)
	v_cmp_eq_u32_e32 vcc_lo, 0, v29
	v_cndmask_b32_e32 v53, v30, v2, vcc_lo
; %bb.3664:                             ;   in Loop: Header=BB12_2999 Depth=2
	s_or_b32 exec_lo, exec_lo, s14
	v_lshlrev_b32_e32 v2, 16, v48
	s_mov_b32 s14, exec_lo
                                        ; implicit-def: $vgpr54
	s_delay_alu instid0(VALU_DEP_1) | instskip(NEXT) | instid1(VALU_DEP_1)
	v_mul_f32_e32 v2, v33, v2
	v_and_b32_e32 v29, 0x7f800000, v2
	s_delay_alu instid0(VALU_DEP_1)
	v_cmpx_ne_u32_e32 0x7f800000, v29
	s_xor_b32 s14, exec_lo, s14
; %bb.3665:                             ;   in Loop: Header=BB12_2999 Depth=2
	v_bfe_u32 v29, v2, 16, 1
	s_delay_alu instid0(VALU_DEP_1)
	v_add3_u32 v54, v2, v29, 0x7fff
                                        ; implicit-def: $vgpr2
; %bb.3666:                             ;   in Loop: Header=BB12_2999 Depth=2
	s_and_not1_saveexec_b32 s14, s14
; %bb.3667:                             ;   in Loop: Header=BB12_2999 Depth=2
	v_and_b32_e32 v29, 0xffff, v2
	v_or_b32_e32 v30, 0x10000, v2
	s_delay_alu instid0(VALU_DEP_2) | instskip(NEXT) | instid1(VALU_DEP_2)
	v_cmp_eq_u32_e32 vcc_lo, 0, v29
	v_cndmask_b32_e32 v54, v30, v2, vcc_lo
; %bb.3668:                             ;   in Loop: Header=BB12_2999 Depth=2
	s_or_b32 exec_lo, exec_lo, s14
	v_and_b32_e32 v2, 0xffff0000, v48
	s_mov_b32 s14, exec_lo
                                        ; implicit-def: $vgpr48
	s_delay_alu instid0(VALU_DEP_1) | instskip(NEXT) | instid1(VALU_DEP_1)
	v_mul_f32_e32 v2, v33, v2
	v_and_b32_e32 v29, 0x7f800000, v2
	s_delay_alu instid0(VALU_DEP_1)
	v_cmpx_ne_u32_e32 0x7f800000, v29
	s_xor_b32 s14, exec_lo, s14
; %bb.3669:                             ;   in Loop: Header=BB12_2999 Depth=2
	v_bfe_u32 v29, v2, 16, 1
	s_delay_alu instid0(VALU_DEP_1)
	v_add3_u32 v48, v2, v29, 0x7fff
                                        ; implicit-def: $vgpr2
; %bb.3670:                             ;   in Loop: Header=BB12_2999 Depth=2
	s_and_not1_saveexec_b32 s14, s14
; %bb.3671:                             ;   in Loop: Header=BB12_2999 Depth=2
	v_and_b32_e32 v29, 0xffff, v2
	v_or_b32_e32 v30, 0x10000, v2
	s_delay_alu instid0(VALU_DEP_2) | instskip(NEXT) | instid1(VALU_DEP_2)
	v_cmp_eq_u32_e32 vcc_lo, 0, v29
	v_cndmask_b32_e32 v48, v30, v2, vcc_lo
; %bb.3672:                             ;   in Loop: Header=BB12_2999 Depth=2
	s_or_b32 exec_lo, exec_lo, s14
	v_lshlrev_b32_e32 v2, 16, v49
	s_mov_b32 s14, exec_lo
                                        ; implicit-def: $vgpr52
	s_delay_alu instid0(VALU_DEP_1) | instskip(NEXT) | instid1(VALU_DEP_1)
	v_mul_f32_e32 v2, v33, v2
	v_and_b32_e32 v29, 0x7f800000, v2
	s_delay_alu instid0(VALU_DEP_1)
	v_cmpx_ne_u32_e32 0x7f800000, v29
	s_xor_b32 s14, exec_lo, s14
; %bb.3673:                             ;   in Loop: Header=BB12_2999 Depth=2
	v_bfe_u32 v29, v2, 16, 1
	s_delay_alu instid0(VALU_DEP_1)
	v_add3_u32 v52, v2, v29, 0x7fff
                                        ; implicit-def: $vgpr2
; %bb.3674:                             ;   in Loop: Header=BB12_2999 Depth=2
	s_and_not1_saveexec_b32 s14, s14
; %bb.3675:                             ;   in Loop: Header=BB12_2999 Depth=2
	v_and_b32_e32 v29, 0xffff, v2
	v_or_b32_e32 v30, 0x10000, v2
	s_delay_alu instid0(VALU_DEP_2) | instskip(NEXT) | instid1(VALU_DEP_2)
	v_cmp_eq_u32_e32 vcc_lo, 0, v29
	v_cndmask_b32_e32 v52, v30, v2, vcc_lo
; %bb.3676:                             ;   in Loop: Header=BB12_2999 Depth=2
	s_or_b32 exec_lo, exec_lo, s14
	v_and_b32_e32 v2, 0xffff0000, v49
	s_mov_b32 s14, exec_lo
                                        ; implicit-def: $vgpr38
	s_delay_alu instid0(VALU_DEP_1) | instskip(NEXT) | instid1(VALU_DEP_1)
	v_mul_f32_e32 v2, v33, v2
	v_and_b32_e32 v29, 0x7f800000, v2
	s_delay_alu instid0(VALU_DEP_1)
	v_cmpx_ne_u32_e32 0x7f800000, v29
	s_xor_b32 s14, exec_lo, s14
; %bb.3677:                             ;   in Loop: Header=BB12_2999 Depth=2
	v_bfe_u32 v29, v2, 16, 1
	s_delay_alu instid0(VALU_DEP_1)
	v_add3_u32 v38, v2, v29, 0x7fff
                                        ; implicit-def: $vgpr2
; %bb.3678:                             ;   in Loop: Header=BB12_2999 Depth=2
	s_and_not1_saveexec_b32 s14, s14
; %bb.3679:                             ;   in Loop: Header=BB12_2999 Depth=2
	v_and_b32_e32 v29, 0xffff, v2
	v_or_b32_e32 v30, 0x10000, v2
	s_delay_alu instid0(VALU_DEP_2) | instskip(NEXT) | instid1(VALU_DEP_2)
	v_cmp_eq_u32_e32 vcc_lo, 0, v29
	v_cndmask_b32_e32 v38, v30, v2, vcc_lo
; %bb.3680:                             ;   in Loop: Header=BB12_2999 Depth=2
	s_or_b32 exec_lo, exec_lo, s14
	v_lshlrev_b32_e32 v2, 16, v50
	s_mov_b32 s14, exec_lo
                                        ; implicit-def: $vgpr39
	s_delay_alu instid0(VALU_DEP_1) | instskip(NEXT) | instid1(VALU_DEP_1)
	v_mul_f32_e32 v2, v33, v2
	v_and_b32_e32 v29, 0x7f800000, v2
	s_delay_alu instid0(VALU_DEP_1)
	v_cmpx_ne_u32_e32 0x7f800000, v29
	s_xor_b32 s14, exec_lo, s14
; %bb.3681:                             ;   in Loop: Header=BB12_2999 Depth=2
	v_bfe_u32 v29, v2, 16, 1
	s_delay_alu instid0(VALU_DEP_1)
	v_add3_u32 v39, v2, v29, 0x7fff
                                        ; implicit-def: $vgpr2
; %bb.3682:                             ;   in Loop: Header=BB12_2999 Depth=2
	s_and_not1_saveexec_b32 s14, s14
; %bb.3683:                             ;   in Loop: Header=BB12_2999 Depth=2
	v_and_b32_e32 v29, 0xffff, v2
	v_or_b32_e32 v30, 0x10000, v2
	s_delay_alu instid0(VALU_DEP_2) | instskip(NEXT) | instid1(VALU_DEP_2)
	v_cmp_eq_u32_e32 vcc_lo, 0, v29
	v_cndmask_b32_e32 v39, v30, v2, vcc_lo
; %bb.3684:                             ;   in Loop: Header=BB12_2999 Depth=2
	s_or_b32 exec_lo, exec_lo, s14
	v_and_b32_e32 v2, 0xffff0000, v50
	s_mov_b32 s14, exec_lo
                                        ; implicit-def: $vgpr36
	s_delay_alu instid0(VALU_DEP_1) | instskip(NEXT) | instid1(VALU_DEP_1)
	v_mul_f32_e32 v2, v33, v2
	v_and_b32_e32 v29, 0x7f800000, v2
	s_delay_alu instid0(VALU_DEP_1)
	v_cmpx_ne_u32_e32 0x7f800000, v29
	s_xor_b32 s14, exec_lo, s14
; %bb.3685:                             ;   in Loop: Header=BB12_2999 Depth=2
	v_bfe_u32 v29, v2, 16, 1
	s_delay_alu instid0(VALU_DEP_1)
	v_add3_u32 v36, v2, v29, 0x7fff
                                        ; implicit-def: $vgpr2
; %bb.3686:                             ;   in Loop: Header=BB12_2999 Depth=2
	s_and_not1_saveexec_b32 s14, s14
; %bb.3687:                             ;   in Loop: Header=BB12_2999 Depth=2
	v_and_b32_e32 v29, 0xffff, v2
	v_or_b32_e32 v30, 0x10000, v2
	s_delay_alu instid0(VALU_DEP_2) | instskip(NEXT) | instid1(VALU_DEP_2)
	v_cmp_eq_u32_e32 vcc_lo, 0, v29
	v_cndmask_b32_e32 v36, v30, v2, vcc_lo
; %bb.3688:                             ;   in Loop: Header=BB12_2999 Depth=2
	s_or_b32 exec_lo, exec_lo, s14
	v_lshlrev_b32_e32 v2, 16, v51
	s_mov_b32 s14, exec_lo
                                        ; implicit-def: $vgpr37
	s_delay_alu instid0(VALU_DEP_1) | instskip(NEXT) | instid1(VALU_DEP_1)
	v_mul_f32_e32 v2, v33, v2
	v_and_b32_e32 v29, 0x7f800000, v2
	s_delay_alu instid0(VALU_DEP_1)
	v_cmpx_ne_u32_e32 0x7f800000, v29
	s_xor_b32 s14, exec_lo, s14
; %bb.3689:                             ;   in Loop: Header=BB12_2999 Depth=2
	v_bfe_u32 v29, v2, 16, 1
	s_delay_alu instid0(VALU_DEP_1)
	v_add3_u32 v37, v2, v29, 0x7fff
                                        ; implicit-def: $vgpr2
; %bb.3690:                             ;   in Loop: Header=BB12_2999 Depth=2
	s_and_not1_saveexec_b32 s14, s14
; %bb.3691:                             ;   in Loop: Header=BB12_2999 Depth=2
	v_and_b32_e32 v29, 0xffff, v2
	v_or_b32_e32 v30, 0x10000, v2
	s_delay_alu instid0(VALU_DEP_2) | instskip(NEXT) | instid1(VALU_DEP_2)
	v_cmp_eq_u32_e32 vcc_lo, 0, v29
	v_cndmask_b32_e32 v37, v30, v2, vcc_lo
; %bb.3692:                             ;   in Loop: Header=BB12_2999 Depth=2
	s_or_b32 exec_lo, exec_lo, s14
	v_and_b32_e32 v2, 0xffff0000, v51
	s_mov_b32 s14, exec_lo
                                        ; implicit-def: $vgpr34
	s_delay_alu instid0(VALU_DEP_1) | instskip(NEXT) | instid1(VALU_DEP_1)
	v_mul_f32_e32 v2, v33, v2
	v_and_b32_e32 v29, 0x7f800000, v2
	s_delay_alu instid0(VALU_DEP_1)
	v_cmpx_ne_u32_e32 0x7f800000, v29
	s_xor_b32 s14, exec_lo, s14
; %bb.3693:                             ;   in Loop: Header=BB12_2999 Depth=2
	v_bfe_u32 v29, v2, 16, 1
	s_delay_alu instid0(VALU_DEP_1)
	v_add3_u32 v34, v2, v29, 0x7fff
                                        ; implicit-def: $vgpr2
; %bb.3694:                             ;   in Loop: Header=BB12_2999 Depth=2
	s_and_not1_saveexec_b32 s14, s14
; %bb.3695:                             ;   in Loop: Header=BB12_2999 Depth=2
	v_and_b32_e32 v29, 0xffff, v2
	v_or_b32_e32 v30, 0x10000, v2
	s_delay_alu instid0(VALU_DEP_2) | instskip(NEXT) | instid1(VALU_DEP_2)
	v_cmp_eq_u32_e32 vcc_lo, 0, v29
	v_cndmask_b32_e32 v34, v30, v2, vcc_lo
; %bb.3696:                             ;   in Loop: Header=BB12_2999 Depth=2
	s_or_b32 exec_lo, exec_lo, s14
	v_lshlrev_b32_e32 v2, 16, v24
	s_mov_b32 s14, exec_lo
                                        ; implicit-def: $vgpr35
	s_delay_alu instid0(VALU_DEP_1) | instskip(NEXT) | instid1(VALU_DEP_1)
	v_mul_f32_e32 v2, v33, v2
	v_and_b32_e32 v29, 0x7f800000, v2
	s_delay_alu instid0(VALU_DEP_1)
	v_cmpx_ne_u32_e32 0x7f800000, v29
	s_xor_b32 s14, exec_lo, s14
; %bb.3697:                             ;   in Loop: Header=BB12_2999 Depth=2
	v_bfe_u32 v29, v2, 16, 1
	s_delay_alu instid0(VALU_DEP_1)
	v_add3_u32 v35, v2, v29, 0x7fff
                                        ; implicit-def: $vgpr2
; %bb.3698:                             ;   in Loop: Header=BB12_2999 Depth=2
	s_and_not1_saveexec_b32 s14, s14
; %bb.3699:                             ;   in Loop: Header=BB12_2999 Depth=2
	v_and_b32_e32 v29, 0xffff, v2
	v_or_b32_e32 v30, 0x10000, v2
	s_delay_alu instid0(VALU_DEP_2) | instskip(NEXT) | instid1(VALU_DEP_2)
	v_cmp_eq_u32_e32 vcc_lo, 0, v29
	v_cndmask_b32_e32 v35, v30, v2, vcc_lo
; %bb.3700:                             ;   in Loop: Header=BB12_2999 Depth=2
	s_or_b32 exec_lo, exec_lo, s14
	v_and_b32_e32 v2, 0xffff0000, v24
	s_mov_b32 s14, exec_lo
                                        ; implicit-def: $vgpr31
	s_delay_alu instid0(VALU_DEP_1) | instskip(NEXT) | instid1(VALU_DEP_1)
	v_mul_f32_e32 v2, v33, v2
	v_and_b32_e32 v24, 0x7f800000, v2
	s_delay_alu instid0(VALU_DEP_1)
	v_cmpx_ne_u32_e32 0x7f800000, v24
	s_xor_b32 s14, exec_lo, s14
; %bb.3701:                             ;   in Loop: Header=BB12_2999 Depth=2
	v_bfe_u32 v24, v2, 16, 1
	s_delay_alu instid0(VALU_DEP_1)
	v_add3_u32 v31, v2, v24, 0x7fff
                                        ; implicit-def: $vgpr2
; %bb.3702:                             ;   in Loop: Header=BB12_2999 Depth=2
	s_and_not1_saveexec_b32 s14, s14
; %bb.3703:                             ;   in Loop: Header=BB12_2999 Depth=2
	v_and_b32_e32 v24, 0xffff, v2
	v_or_b32_e32 v29, 0x10000, v2
	s_delay_alu instid0(VALU_DEP_2) | instskip(NEXT) | instid1(VALU_DEP_2)
	v_cmp_eq_u32_e32 vcc_lo, 0, v24
	v_cndmask_b32_e32 v31, v29, v2, vcc_lo
; %bb.3704:                             ;   in Loop: Header=BB12_2999 Depth=2
	s_or_b32 exec_lo, exec_lo, s14
	v_lshlrev_b32_e32 v2, 16, v25
	s_mov_b32 s14, exec_lo
                                        ; implicit-def: $vgpr32
	s_delay_alu instid0(VALU_DEP_1) | instskip(NEXT) | instid1(VALU_DEP_1)
	v_mul_f32_e32 v2, v33, v2
	v_and_b32_e32 v24, 0x7f800000, v2
	s_delay_alu instid0(VALU_DEP_1)
	v_cmpx_ne_u32_e32 0x7f800000, v24
	s_xor_b32 s14, exec_lo, s14
; %bb.3705:                             ;   in Loop: Header=BB12_2999 Depth=2
	v_bfe_u32 v24, v2, 16, 1
	s_delay_alu instid0(VALU_DEP_1)
	v_add3_u32 v32, v2, v24, 0x7fff
                                        ; implicit-def: $vgpr2
; %bb.3706:                             ;   in Loop: Header=BB12_2999 Depth=2
	s_and_not1_saveexec_b32 s14, s14
; %bb.3707:                             ;   in Loop: Header=BB12_2999 Depth=2
	v_and_b32_e32 v24, 0xffff, v2
	v_or_b32_e32 v29, 0x10000, v2
	s_delay_alu instid0(VALU_DEP_2) | instskip(NEXT) | instid1(VALU_DEP_2)
	v_cmp_eq_u32_e32 vcc_lo, 0, v24
	v_cndmask_b32_e32 v32, v29, v2, vcc_lo
; %bb.3708:                             ;   in Loop: Header=BB12_2999 Depth=2
	s_or_b32 exec_lo, exec_lo, s14
	v_and_b32_e32 v2, 0xffff0000, v25
	s_mov_b32 s14, exec_lo
                                        ; implicit-def: $vgpr29
	s_delay_alu instid0(VALU_DEP_1) | instskip(NEXT) | instid1(VALU_DEP_1)
	v_mul_f32_e32 v2, v33, v2
	v_and_b32_e32 v24, 0x7f800000, v2
	s_delay_alu instid0(VALU_DEP_1)
	v_cmpx_ne_u32_e32 0x7f800000, v24
	s_xor_b32 s14, exec_lo, s14
; %bb.3709:                             ;   in Loop: Header=BB12_2999 Depth=2
	v_bfe_u32 v24, v2, 16, 1
	s_delay_alu instid0(VALU_DEP_1)
	v_add3_u32 v29, v2, v24, 0x7fff
                                        ; implicit-def: $vgpr2
; %bb.3710:                             ;   in Loop: Header=BB12_2999 Depth=2
	s_and_not1_saveexec_b32 s14, s14
; %bb.3711:                             ;   in Loop: Header=BB12_2999 Depth=2
	v_and_b32_e32 v24, 0xffff, v2
	v_or_b32_e32 v25, 0x10000, v2
	s_delay_alu instid0(VALU_DEP_2) | instskip(NEXT) | instid1(VALU_DEP_2)
	v_cmp_eq_u32_e32 vcc_lo, 0, v24
	v_cndmask_b32_e32 v29, v25, v2, vcc_lo
; %bb.3712:                             ;   in Loop: Header=BB12_2999 Depth=2
	s_or_b32 exec_lo, exec_lo, s14
	v_lshlrev_b32_e32 v2, 16, v26
	s_mov_b32 s14, exec_lo
                                        ; implicit-def: $vgpr30
	s_delay_alu instid0(VALU_DEP_1) | instskip(NEXT) | instid1(VALU_DEP_1)
	v_mul_f32_e32 v2, v33, v2
	v_and_b32_e32 v24, 0x7f800000, v2
	s_delay_alu instid0(VALU_DEP_1)
	v_cmpx_ne_u32_e32 0x7f800000, v24
	s_xor_b32 s14, exec_lo, s14
; %bb.3713:                             ;   in Loop: Header=BB12_2999 Depth=2
	v_bfe_u32 v24, v2, 16, 1
	s_delay_alu instid0(VALU_DEP_1)
	v_add3_u32 v30, v2, v24, 0x7fff
                                        ; implicit-def: $vgpr2
; %bb.3714:                             ;   in Loop: Header=BB12_2999 Depth=2
	s_and_not1_saveexec_b32 s14, s14
; %bb.3715:                             ;   in Loop: Header=BB12_2999 Depth=2
	v_and_b32_e32 v24, 0xffff, v2
	v_or_b32_e32 v25, 0x10000, v2
	s_delay_alu instid0(VALU_DEP_2) | instskip(NEXT) | instid1(VALU_DEP_2)
	v_cmp_eq_u32_e32 vcc_lo, 0, v24
	v_cndmask_b32_e32 v30, v25, v2, vcc_lo
; %bb.3716:                             ;   in Loop: Header=BB12_2999 Depth=2
	s_or_b32 exec_lo, exec_lo, s14
	v_and_b32_e32 v2, 0xffff0000, v26
	s_delay_alu instid0(VALU_DEP_1) | instskip(NEXT) | instid1(VALU_DEP_1)
	v_mul_f32_e32 v2, v33, v2
	v_and_b32_e32 v24, 0x7f800000, v2
	s_delay_alu instid0(VALU_DEP_1) | instskip(SKIP_1) | instid1(SALU_CYCLE_1)
	v_cmp_ne_u32_e32 vcc_lo, 0x7f800000, v24
                                        ; implicit-def: $vgpr24
	s_and_saveexec_b32 s14, vcc_lo
	s_xor_b32 s14, exec_lo, s14
; %bb.3717:                             ;   in Loop: Header=BB12_2999 Depth=2
	v_bfe_u32 v24, v2, 16, 1
	s_delay_alu instid0(VALU_DEP_1)
	v_add3_u32 v24, v2, v24, 0x7fff
                                        ; implicit-def: $vgpr2
; %bb.3718:                             ;   in Loop: Header=BB12_2999 Depth=2
	s_and_not1_saveexec_b32 s14, s14
; %bb.3719:                             ;   in Loop: Header=BB12_2999 Depth=2
	v_and_b32_e32 v24, 0xffff, v2
	v_or_b32_e32 v25, 0x10000, v2
	s_delay_alu instid0(VALU_DEP_2) | instskip(NEXT) | instid1(VALU_DEP_2)
	v_cmp_eq_u32_e32 vcc_lo, 0, v24
	v_cndmask_b32_e32 v24, v25, v2, vcc_lo
; %bb.3720:                             ;   in Loop: Header=BB12_2999 Depth=2
	s_or_b32 exec_lo, exec_lo, s14
	v_lshlrev_b32_e32 v2, 16, v27
	s_delay_alu instid0(VALU_DEP_1) | instskip(NEXT) | instid1(VALU_DEP_1)
	v_mul_f32_e32 v2, v33, v2
	v_and_b32_e32 v25, 0x7f800000, v2
	s_delay_alu instid0(VALU_DEP_1) | instskip(SKIP_1) | instid1(SALU_CYCLE_1)
	v_cmp_ne_u32_e32 vcc_lo, 0x7f800000, v25
                                        ; implicit-def: $vgpr25
	s_and_saveexec_b32 s14, vcc_lo
	s_xor_b32 s14, exec_lo, s14
; %bb.3721:                             ;   in Loop: Header=BB12_2999 Depth=2
	v_bfe_u32 v25, v2, 16, 1
	s_delay_alu instid0(VALU_DEP_1)
	v_add3_u32 v25, v2, v25, 0x7fff
                                        ; implicit-def: $vgpr2
; %bb.3722:                             ;   in Loop: Header=BB12_2999 Depth=2
	s_and_not1_saveexec_b32 s14, s14
; %bb.3723:                             ;   in Loop: Header=BB12_2999 Depth=2
	v_and_b32_e32 v25, 0xffff, v2
	v_or_b32_e32 v26, 0x10000, v2
	s_delay_alu instid0(VALU_DEP_2) | instskip(NEXT) | instid1(VALU_DEP_2)
	v_cmp_eq_u32_e32 vcc_lo, 0, v25
	v_cndmask_b32_e32 v25, v26, v2, vcc_lo
; %bb.3724:                             ;   in Loop: Header=BB12_2999 Depth=2
	s_or_b32 exec_lo, exec_lo, s14
	v_and_b32_e32 v2, 0xffff0000, v27
	s_delay_alu instid0(VALU_DEP_1) | instskip(NEXT) | instid1(VALU_DEP_1)
	v_mul_f32_e32 v26, v33, v2
	v_and_b32_e32 v2, 0x7f800000, v26
	s_delay_alu instid0(VALU_DEP_1) | instskip(SKIP_1) | instid1(SALU_CYCLE_1)
	v_cmp_ne_u32_e32 vcc_lo, 0x7f800000, v2
                                        ; implicit-def: $vgpr2
	s_and_saveexec_b32 s14, vcc_lo
	s_xor_b32 s14, exec_lo, s14
; %bb.3725:                             ;   in Loop: Header=BB12_2999 Depth=2
	v_bfe_u32 v2, v26, 16, 1
	s_delay_alu instid0(VALU_DEP_1)
	v_add3_u32 v2, v26, v2, 0x7fff
                                        ; implicit-def: $vgpr26
; %bb.3726:                             ;   in Loop: Header=BB12_2999 Depth=2
	s_and_not1_saveexec_b32 s14, s14
; %bb.3727:                             ;   in Loop: Header=BB12_2999 Depth=2
	v_and_b32_e32 v2, 0xffff, v26
	v_or_b32_e32 v27, 0x10000, v26
	s_delay_alu instid0(VALU_DEP_2) | instskip(NEXT) | instid1(VALU_DEP_2)
	v_cmp_eq_u32_e32 vcc_lo, 0, v2
	v_cndmask_b32_e32 v2, v27, v26, vcc_lo
; %bb.3728:                             ;   in Loop: Header=BB12_2999 Depth=2
	s_or_b32 exec_lo, exec_lo, s14
	v_and_b32_e32 v1, 0xffff0000, v1
	v_lshlrev_b32_e32 v26, 16, v20
	s_delay_alu instid0(VALU_DEP_1) | instskip(NEXT) | instid1(VALU_DEP_1)
	v_add_f32_e32 v26, v26, v1
	v_and_b32_e32 v1, 0x7f800000, v26
	s_delay_alu instid0(VALU_DEP_1) | instskip(SKIP_1) | instid1(SALU_CYCLE_1)
	v_cmp_ne_u32_e32 vcc_lo, 0x7f800000, v1
                                        ; implicit-def: $vgpr1
	s_and_saveexec_b32 s14, vcc_lo
	s_xor_b32 s14, exec_lo, s14
; %bb.3729:                             ;   in Loop: Header=BB12_2999 Depth=2
	v_bfe_u32 v1, v26, 16, 1
	s_delay_alu instid0(VALU_DEP_1)
	v_add3_u32 v1, v26, v1, 0x7fff
                                        ; implicit-def: $vgpr26
; %bb.3730:                             ;   in Loop: Header=BB12_2999 Depth=2
	s_and_not1_saveexec_b32 s14, s14
; %bb.3731:                             ;   in Loop: Header=BB12_2999 Depth=2
	v_and_b32_e32 v1, 0xffff, v26
	v_or_b32_e32 v27, 0x10000, v26
	s_delay_alu instid0(VALU_DEP_2) | instskip(NEXT) | instid1(VALU_DEP_2)
	v_cmp_eq_u32_e32 vcc_lo, 0, v1
	v_cndmask_b32_e32 v1, v27, v26, vcc_lo
; %bb.3732:                             ;   in Loop: Header=BB12_2999 Depth=2
	s_or_b32 exec_lo, exec_lo, s14
	v_and_b32_e32 v20, 0xffff0000, v20
	v_and_b32_e32 v0, 0xffff0000, v0
	s_delay_alu instid0(VALU_DEP_1) | instskip(NEXT) | instid1(VALU_DEP_1)
	v_add_f32_e32 v0, v20, v0
	v_and_b32_e32 v20, 0x7f800000, v0
	s_delay_alu instid0(VALU_DEP_1) | instskip(SKIP_1) | instid1(SALU_CYCLE_1)
	v_cmp_ne_u32_e32 vcc_lo, 0x7f800000, v20
                                        ; implicit-def: $vgpr20
	s_and_saveexec_b32 s14, vcc_lo
	s_xor_b32 s14, exec_lo, s14
; %bb.3733:                             ;   in Loop: Header=BB12_2999 Depth=2
	v_bfe_u32 v20, v0, 16, 1
	s_delay_alu instid0(VALU_DEP_1)
	v_add3_u32 v20, v0, v20, 0x7fff
                                        ; implicit-def: $vgpr0
; %bb.3734:                             ;   in Loop: Header=BB12_2999 Depth=2
	s_and_not1_saveexec_b32 s14, s14
; %bb.3735:                             ;   in Loop: Header=BB12_2999 Depth=2
	v_and_b32_e32 v20, 0xffff, v0
	v_or_b32_e32 v26, 0x10000, v0
	s_delay_alu instid0(VALU_DEP_2) | instskip(NEXT) | instid1(VALU_DEP_2)
	v_cmp_eq_u32_e32 vcc_lo, 0, v20
	v_cndmask_b32_e32 v20, v26, v0, vcc_lo
; %bb.3736:                             ;   in Loop: Header=BB12_2999 Depth=2
	s_or_b32 exec_lo, exec_lo, s14
	v_and_b32_e32 v0, 0xffff0000, v84
	v_lshlrev_b32_e32 v26, 16, v21
	s_delay_alu instid0(VALU_DEP_1) | instskip(NEXT) | instid1(VALU_DEP_1)
	v_add_f32_e32 v26, v26, v0
	v_and_b32_e32 v0, 0x7f800000, v26
	s_delay_alu instid0(VALU_DEP_1) | instskip(SKIP_1) | instid1(SALU_CYCLE_1)
	v_cmp_ne_u32_e32 vcc_lo, 0x7f800000, v0
                                        ; implicit-def: $vgpr0
	s_and_saveexec_b32 s14, vcc_lo
	s_xor_b32 s14, exec_lo, s14
; %bb.3737:                             ;   in Loop: Header=BB12_2999 Depth=2
	v_bfe_u32 v0, v26, 16, 1
	s_delay_alu instid0(VALU_DEP_1)
	v_add3_u32 v0, v26, v0, 0x7fff
                                        ; implicit-def: $vgpr26
; %bb.3738:                             ;   in Loop: Header=BB12_2999 Depth=2
	s_and_not1_saveexec_b32 s14, s14
; %bb.3739:                             ;   in Loop: Header=BB12_2999 Depth=2
	v_and_b32_e32 v0, 0xffff, v26
	v_or_b32_e32 v27, 0x10000, v26
	s_delay_alu instid0(VALU_DEP_2) | instskip(NEXT) | instid1(VALU_DEP_2)
	v_cmp_eq_u32_e32 vcc_lo, 0, v0
	v_cndmask_b32_e32 v0, v27, v26, vcc_lo
; %bb.3740:                             ;   in Loop: Header=BB12_2999 Depth=2
	s_or_b32 exec_lo, exec_lo, s14
	v_and_b32_e32 v21, 0xffff0000, v21
	v_and_b32_e32 v26, 0xffff0000, v82
	s_delay_alu instid0(VALU_DEP_1) | instskip(NEXT) | instid1(VALU_DEP_1)
	v_add_f32_e32 v26, v21, v26
	v_and_b32_e32 v21, 0x7f800000, v26
	s_delay_alu instid0(VALU_DEP_1) | instskip(SKIP_1) | instid1(SALU_CYCLE_1)
	v_cmp_ne_u32_e32 vcc_lo, 0x7f800000, v21
                                        ; implicit-def: $vgpr21
	s_and_saveexec_b32 s14, vcc_lo
	s_xor_b32 s14, exec_lo, s14
; %bb.3741:                             ;   in Loop: Header=BB12_2999 Depth=2
	v_bfe_u32 v21, v26, 16, 1
	s_delay_alu instid0(VALU_DEP_1)
	v_add3_u32 v21, v26, v21, 0x7fff
                                        ; implicit-def: $vgpr26
; %bb.3742:                             ;   in Loop: Header=BB12_2999 Depth=2
	s_and_not1_saveexec_b32 s14, s14
; %bb.3743:                             ;   in Loop: Header=BB12_2999 Depth=2
	v_and_b32_e32 v21, 0xffff, v26
	v_or_b32_e32 v27, 0x10000, v26
	s_delay_alu instid0(VALU_DEP_2) | instskip(NEXT) | instid1(VALU_DEP_2)
	v_cmp_eq_u32_e32 vcc_lo, 0, v21
	v_cndmask_b32_e32 v21, v27, v26, vcc_lo
; %bb.3744:                             ;   in Loop: Header=BB12_2999 Depth=2
	s_or_b32 exec_lo, exec_lo, s14
	v_and_b32_e32 v26, 0xffff0000, v83
	v_lshlrev_b32_e32 v27, 16, v22
	s_delay_alu instid0(VALU_DEP_1) | instskip(NEXT) | instid1(VALU_DEP_1)
	v_add_f32_e32 v27, v27, v26
	v_and_b32_e32 v26, 0x7f800000, v27
	s_delay_alu instid0(VALU_DEP_1) | instskip(SKIP_1) | instid1(SALU_CYCLE_1)
	v_cmp_ne_u32_e32 vcc_lo, 0x7f800000, v26
                                        ; implicit-def: $vgpr26
	s_and_saveexec_b32 s14, vcc_lo
	s_xor_b32 s14, exec_lo, s14
; %bb.3745:                             ;   in Loop: Header=BB12_2999 Depth=2
	v_bfe_u32 v26, v27, 16, 1
	s_delay_alu instid0(VALU_DEP_1)
	v_add3_u32 v26, v27, v26, 0x7fff
                                        ; implicit-def: $vgpr27
; %bb.3746:                             ;   in Loop: Header=BB12_2999 Depth=2
	s_and_not1_saveexec_b32 s14, s14
; %bb.3747:                             ;   in Loop: Header=BB12_2999 Depth=2
	v_and_b32_e32 v26, 0xffff, v27
	v_or_b32_e32 v33, 0x10000, v27
	s_delay_alu instid0(VALU_DEP_2) | instskip(NEXT) | instid1(VALU_DEP_2)
	v_cmp_eq_u32_e32 vcc_lo, 0, v26
	v_cndmask_b32_e32 v26, v33, v27, vcc_lo
; %bb.3748:                             ;   in Loop: Header=BB12_2999 Depth=2
	s_or_b32 exec_lo, exec_lo, s14
	v_and_b32_e32 v22, 0xffff0000, v22
	v_and_b32_e32 v6, 0xffff0000, v6
	s_delay_alu instid0(VALU_DEP_1) | instskip(NEXT) | instid1(VALU_DEP_1)
	v_add_f32_e32 v22, v22, v6
	v_and_b32_e32 v6, 0x7f800000, v22
	s_delay_alu instid0(VALU_DEP_1) | instskip(SKIP_1) | instid1(SALU_CYCLE_1)
	v_cmp_ne_u32_e32 vcc_lo, 0x7f800000, v6
                                        ; implicit-def: $vgpr6
	s_and_saveexec_b32 s14, vcc_lo
	s_xor_b32 s14, exec_lo, s14
; %bb.3749:                             ;   in Loop: Header=BB12_2999 Depth=2
	v_bfe_u32 v6, v22, 16, 1
	s_delay_alu instid0(VALU_DEP_1)
	v_add3_u32 v6, v22, v6, 0x7fff
                                        ; implicit-def: $vgpr22
; %bb.3750:                             ;   in Loop: Header=BB12_2999 Depth=2
	s_and_not1_saveexec_b32 s14, s14
; %bb.3751:                             ;   in Loop: Header=BB12_2999 Depth=2
	v_and_b32_e32 v6, 0xffff, v22
	v_or_b32_e32 v27, 0x10000, v22
	s_delay_alu instid0(VALU_DEP_2) | instskip(NEXT) | instid1(VALU_DEP_2)
	v_cmp_eq_u32_e32 vcc_lo, 0, v6
	v_cndmask_b32_e32 v6, v27, v22, vcc_lo
; %bb.3752:                             ;   in Loop: Header=BB12_2999 Depth=2
	s_or_b32 exec_lo, exec_lo, s14
	v_and_b32_e32 v7, 0xffff0000, v7
	v_lshlrev_b32_e32 v22, 16, v23
	s_delay_alu instid0(VALU_DEP_1) | instskip(NEXT) | instid1(VALU_DEP_1)
	v_add_f32_e32 v22, v22, v7
	v_and_b32_e32 v7, 0x7f800000, v22
	s_delay_alu instid0(VALU_DEP_1) | instskip(SKIP_1) | instid1(SALU_CYCLE_1)
	v_cmp_ne_u32_e32 vcc_lo, 0x7f800000, v7
                                        ; implicit-def: $vgpr7
	s_and_saveexec_b32 s14, vcc_lo
	s_xor_b32 s14, exec_lo, s14
; %bb.3753:                             ;   in Loop: Header=BB12_2999 Depth=2
	v_bfe_u32 v7, v22, 16, 1
	s_delay_alu instid0(VALU_DEP_1)
	v_add3_u32 v7, v22, v7, 0x7fff
                                        ; implicit-def: $vgpr22
; %bb.3754:                             ;   in Loop: Header=BB12_2999 Depth=2
	s_and_not1_saveexec_b32 s14, s14
; %bb.3755:                             ;   in Loop: Header=BB12_2999 Depth=2
	v_and_b32_e32 v7, 0xffff, v22
	v_or_b32_e32 v27, 0x10000, v22
	s_delay_alu instid0(VALU_DEP_2) | instskip(NEXT) | instid1(VALU_DEP_2)
	v_cmp_eq_u32_e32 vcc_lo, 0, v7
	v_cndmask_b32_e32 v7, v27, v22, vcc_lo
; %bb.3756:                             ;   in Loop: Header=BB12_2999 Depth=2
	s_or_b32 exec_lo, exec_lo, s14
	v_and_b32_e32 v22, 0xffff0000, v23
	v_and_b32_e32 v23, 0xffff0000, v80
	s_delay_alu instid0(VALU_DEP_1) | instskip(NEXT) | instid1(VALU_DEP_1)
	v_add_f32_e32 v23, v22, v23
	v_and_b32_e32 v22, 0x7f800000, v23
	s_delay_alu instid0(VALU_DEP_1) | instskip(SKIP_1) | instid1(SALU_CYCLE_1)
	v_cmp_ne_u32_e32 vcc_lo, 0x7f800000, v22
                                        ; implicit-def: $vgpr22
	s_and_saveexec_b32 s14, vcc_lo
	s_xor_b32 s14, exec_lo, s14
; %bb.3757:                             ;   in Loop: Header=BB12_2999 Depth=2
	v_bfe_u32 v22, v23, 16, 1
	s_delay_alu instid0(VALU_DEP_1)
	v_add3_u32 v22, v23, v22, 0x7fff
                                        ; implicit-def: $vgpr23
; %bb.3758:                             ;   in Loop: Header=BB12_2999 Depth=2
	s_and_not1_saveexec_b32 s14, s14
; %bb.3759:                             ;   in Loop: Header=BB12_2999 Depth=2
	v_and_b32_e32 v22, 0xffff, v23
	v_or_b32_e32 v27, 0x10000, v23
	s_delay_alu instid0(VALU_DEP_2) | instskip(NEXT) | instid1(VALU_DEP_2)
	v_cmp_eq_u32_e32 vcc_lo, 0, v22
	v_cndmask_b32_e32 v22, v27, v23, vcc_lo
; %bb.3760:                             ;   in Loop: Header=BB12_2999 Depth=2
	s_or_b32 exec_lo, exec_lo, s14
	v_and_b32_e32 v23, 0xffff0000, v81
	v_lshlrev_b32_e32 v27, 16, v16
	s_delay_alu instid0(VALU_DEP_1) | instskip(NEXT) | instid1(VALU_DEP_1)
	v_add_f32_e32 v27, v27, v23
	v_and_b32_e32 v23, 0x7f800000, v27
	s_delay_alu instid0(VALU_DEP_1) | instskip(SKIP_1) | instid1(SALU_CYCLE_1)
	v_cmp_ne_u32_e32 vcc_lo, 0x7f800000, v23
                                        ; implicit-def: $vgpr23
	s_and_saveexec_b32 s14, vcc_lo
	s_xor_b32 s14, exec_lo, s14
; %bb.3761:                             ;   in Loop: Header=BB12_2999 Depth=2
	v_bfe_u32 v23, v27, 16, 1
	s_delay_alu instid0(VALU_DEP_1)
	v_add3_u32 v23, v27, v23, 0x7fff
                                        ; implicit-def: $vgpr27
; %bb.3762:                             ;   in Loop: Header=BB12_2999 Depth=2
	s_and_not1_saveexec_b32 s14, s14
; %bb.3763:                             ;   in Loop: Header=BB12_2999 Depth=2
	v_and_b32_e32 v23, 0xffff, v27
	v_or_b32_e32 v33, 0x10000, v27
	s_delay_alu instid0(VALU_DEP_2) | instskip(NEXT) | instid1(VALU_DEP_2)
	v_cmp_eq_u32_e32 vcc_lo, 0, v23
	v_cndmask_b32_e32 v23, v33, v27, vcc_lo
; %bb.3764:                             ;   in Loop: Header=BB12_2999 Depth=2
	s_or_b32 exec_lo, exec_lo, s14
	v_and_b32_e32 v16, 0xffff0000, v16
	v_and_b32_e32 v27, 0xffff0000, v67
	s_delay_alu instid0(VALU_DEP_1) | instskip(NEXT) | instid1(VALU_DEP_1)
	v_add_f32_e32 v27, v16, v27
	v_and_b32_e32 v16, 0x7f800000, v27
	s_delay_alu instid0(VALU_DEP_1) | instskip(SKIP_1) | instid1(SALU_CYCLE_1)
	v_cmp_ne_u32_e32 vcc_lo, 0x7f800000, v16
                                        ; implicit-def: $vgpr16
	s_and_saveexec_b32 s14, vcc_lo
	s_xor_b32 s14, exec_lo, s14
; %bb.3765:                             ;   in Loop: Header=BB12_2999 Depth=2
	v_bfe_u32 v16, v27, 16, 1
	s_delay_alu instid0(VALU_DEP_1)
	v_add3_u32 v16, v27, v16, 0x7fff
                                        ; implicit-def: $vgpr27
; %bb.3766:                             ;   in Loop: Header=BB12_2999 Depth=2
	s_and_not1_saveexec_b32 s14, s14
; %bb.3767:                             ;   in Loop: Header=BB12_2999 Depth=2
	v_and_b32_e32 v16, 0xffff, v27
	v_or_b32_e32 v33, 0x10000, v27
	s_delay_alu instid0(VALU_DEP_2) | instskip(NEXT) | instid1(VALU_DEP_2)
	v_cmp_eq_u32_e32 vcc_lo, 0, v16
	v_cndmask_b32_e32 v16, v33, v27, vcc_lo
; %bb.3768:                             ;   in Loop: Header=BB12_2999 Depth=2
	s_or_b32 exec_lo, exec_lo, s14
	v_and_b32_e32 v27, 0xffff0000, v68
	v_lshlrev_b32_e32 v33, 16, v17
	s_delay_alu instid0(VALU_DEP_1) | instskip(NEXT) | instid1(VALU_DEP_1)
	v_add_f32_e32 v33, v33, v27
	v_and_b32_e32 v27, 0x7f800000, v33
	s_delay_alu instid0(VALU_DEP_1) | instskip(SKIP_1) | instid1(SALU_CYCLE_1)
	v_cmp_ne_u32_e32 vcc_lo, 0x7f800000, v27
                                        ; implicit-def: $vgpr27
	s_and_saveexec_b32 s14, vcc_lo
	s_xor_b32 s14, exec_lo, s14
; %bb.3769:                             ;   in Loop: Header=BB12_2999 Depth=2
	v_bfe_u32 v27, v33, 16, 1
	s_delay_alu instid0(VALU_DEP_1)
	v_add3_u32 v27, v33, v27, 0x7fff
                                        ; implicit-def: $vgpr33
; %bb.3770:                             ;   in Loop: Header=BB12_2999 Depth=2
	s_and_not1_saveexec_b32 s14, s14
; %bb.3771:                             ;   in Loop: Header=BB12_2999 Depth=2
	v_and_b32_e32 v27, 0xffff, v33
	v_or_b32_e32 v49, 0x10000, v33
	s_delay_alu instid0(VALU_DEP_2) | instskip(NEXT) | instid1(VALU_DEP_2)
	v_cmp_eq_u32_e32 vcc_lo, 0, v27
	v_cndmask_b32_e32 v27, v49, v33, vcc_lo
; %bb.3772:                             ;   in Loop: Header=BB12_2999 Depth=2
	s_or_b32 exec_lo, exec_lo, s14
	v_and_b32_e32 v17, 0xffff0000, v17
	v_and_b32_e32 v33, 0xffff0000, v65
	s_delay_alu instid0(VALU_DEP_1) | instskip(NEXT) | instid1(VALU_DEP_1)
	v_add_f32_e32 v33, v17, v33
	v_and_b32_e32 v17, 0x7f800000, v33
	s_delay_alu instid0(VALU_DEP_1) | instskip(SKIP_1) | instid1(SALU_CYCLE_1)
	v_cmp_ne_u32_e32 vcc_lo, 0x7f800000, v17
                                        ; implicit-def: $vgpr17
	s_and_saveexec_b32 s14, vcc_lo
	s_xor_b32 s14, exec_lo, s14
; %bb.3773:                             ;   in Loop: Header=BB12_2999 Depth=2
	v_bfe_u32 v17, v33, 16, 1
	s_delay_alu instid0(VALU_DEP_1)
	v_add3_u32 v17, v33, v17, 0x7fff
                                        ; implicit-def: $vgpr33
; %bb.3774:                             ;   in Loop: Header=BB12_2999 Depth=2
	s_and_not1_saveexec_b32 s14, s14
; %bb.3775:                             ;   in Loop: Header=BB12_2999 Depth=2
	v_and_b32_e32 v17, 0xffff, v33
	v_or_b32_e32 v49, 0x10000, v33
	s_delay_alu instid0(VALU_DEP_2) | instskip(NEXT) | instid1(VALU_DEP_2)
	v_cmp_eq_u32_e32 vcc_lo, 0, v17
	v_cndmask_b32_e32 v17, v49, v33, vcc_lo
; %bb.3776:                             ;   in Loop: Header=BB12_2999 Depth=2
	s_or_b32 exec_lo, exec_lo, s14
	v_and_b32_e32 v33, 0xffff0000, v66
	v_lshlrev_b32_e32 v49, 16, v18
	s_delay_alu instid0(VALU_DEP_1) | instskip(NEXT) | instid1(VALU_DEP_1)
	v_add_f32_e32 v49, v49, v33
	v_and_b32_e32 v33, 0x7f800000, v49
	s_delay_alu instid0(VALU_DEP_1) | instskip(SKIP_1) | instid1(SALU_CYCLE_1)
	v_cmp_ne_u32_e32 vcc_lo, 0x7f800000, v33
                                        ; implicit-def: $vgpr33
	s_and_saveexec_b32 s14, vcc_lo
	s_xor_b32 s14, exec_lo, s14
; %bb.3777:                             ;   in Loop: Header=BB12_2999 Depth=2
	v_bfe_u32 v33, v49, 16, 1
	s_delay_alu instid0(VALU_DEP_1)
	v_add3_u32 v33, v49, v33, 0x7fff
                                        ; implicit-def: $vgpr49
; %bb.3778:                             ;   in Loop: Header=BB12_2999 Depth=2
	s_and_not1_saveexec_b32 s14, s14
; %bb.3779:                             ;   in Loop: Header=BB12_2999 Depth=2
	v_and_b32_e32 v33, 0xffff, v49
	v_or_b32_e32 v50, 0x10000, v49
	s_delay_alu instid0(VALU_DEP_2) | instskip(NEXT) | instid1(VALU_DEP_2)
	v_cmp_eq_u32_e32 vcc_lo, 0, v33
	v_cndmask_b32_e32 v33, v50, v49, vcc_lo
; %bb.3780:                             ;   in Loop: Header=BB12_2999 Depth=2
	s_or_b32 exec_lo, exec_lo, s14
	v_and_b32_e32 v18, 0xffff0000, v18
	v_and_b32_e32 v49, 0xffff0000, v55
	s_delay_alu instid0(VALU_DEP_1) | instskip(NEXT) | instid1(VALU_DEP_1)
	v_add_f32_e32 v49, v18, v49
	v_and_b32_e32 v18, 0x7f800000, v49
	s_delay_alu instid0(VALU_DEP_1) | instskip(SKIP_1) | instid1(SALU_CYCLE_1)
	v_cmp_ne_u32_e32 vcc_lo, 0x7f800000, v18
                                        ; implicit-def: $vgpr18
	s_and_saveexec_b32 s14, vcc_lo
	s_xor_b32 s14, exec_lo, s14
; %bb.3781:                             ;   in Loop: Header=BB12_2999 Depth=2
	v_bfe_u32 v18, v49, 16, 1
	s_delay_alu instid0(VALU_DEP_1)
	v_add3_u32 v18, v49, v18, 0x7fff
                                        ; implicit-def: $vgpr49
; %bb.3782:                             ;   in Loop: Header=BB12_2999 Depth=2
	s_and_not1_saveexec_b32 s14, s14
; %bb.3783:                             ;   in Loop: Header=BB12_2999 Depth=2
	v_and_b32_e32 v18, 0xffff, v49
	v_or_b32_e32 v50, 0x10000, v49
	s_delay_alu instid0(VALU_DEP_2) | instskip(NEXT) | instid1(VALU_DEP_2)
	v_cmp_eq_u32_e32 vcc_lo, 0, v18
	v_cndmask_b32_e32 v18, v50, v49, vcc_lo
; %bb.3784:                             ;   in Loop: Header=BB12_2999 Depth=2
	s_or_b32 exec_lo, exec_lo, s14
	v_and_b32_e32 v49, 0xffff0000, v64
	v_lshlrev_b32_e32 v50, 16, v19
	s_delay_alu instid0(VALU_DEP_1) | instskip(NEXT) | instid1(VALU_DEP_1)
	v_add_f32_e32 v50, v50, v49
	v_and_b32_e32 v49, 0x7f800000, v50
	s_delay_alu instid0(VALU_DEP_1) | instskip(SKIP_1) | instid1(SALU_CYCLE_1)
	v_cmp_ne_u32_e32 vcc_lo, 0x7f800000, v49
                                        ; implicit-def: $vgpr49
	s_and_saveexec_b32 s14, vcc_lo
	s_xor_b32 s14, exec_lo, s14
; %bb.3785:                             ;   in Loop: Header=BB12_2999 Depth=2
	v_bfe_u32 v49, v50, 16, 1
	s_delay_alu instid0(VALU_DEP_1)
	v_add3_u32 v49, v50, v49, 0x7fff
                                        ; implicit-def: $vgpr50
; %bb.3786:                             ;   in Loop: Header=BB12_2999 Depth=2
	s_and_not1_saveexec_b32 s14, s14
; %bb.3787:                             ;   in Loop: Header=BB12_2999 Depth=2
	v_and_b32_e32 v49, 0xffff, v50
	v_or_b32_e32 v51, 0x10000, v50
	s_delay_alu instid0(VALU_DEP_2) | instskip(NEXT) | instid1(VALU_DEP_2)
	v_cmp_eq_u32_e32 vcc_lo, 0, v49
	v_cndmask_b32_e32 v49, v51, v50, vcc_lo
; %bb.3788:                             ;   in Loop: Header=BB12_2999 Depth=2
	s_or_b32 exec_lo, exec_lo, s14
	v_and_b32_e32 v19, 0xffff0000, v19
	v_and_b32_e32 v50, 0xffff0000, v53
	s_delay_alu instid0(VALU_DEP_1) | instskip(NEXT) | instid1(VALU_DEP_1)
	v_add_f32_e32 v50, v19, v50
	v_and_b32_e32 v19, 0x7f800000, v50
	s_delay_alu instid0(VALU_DEP_1) | instskip(SKIP_1) | instid1(SALU_CYCLE_1)
	v_cmp_ne_u32_e32 vcc_lo, 0x7f800000, v19
                                        ; implicit-def: $vgpr19
	s_and_saveexec_b32 s14, vcc_lo
	s_xor_b32 s14, exec_lo, s14
; %bb.3789:                             ;   in Loop: Header=BB12_2999 Depth=2
	v_bfe_u32 v19, v50, 16, 1
	s_delay_alu instid0(VALU_DEP_1)
	v_add3_u32 v19, v50, v19, 0x7fff
                                        ; implicit-def: $vgpr50
; %bb.3790:                             ;   in Loop: Header=BB12_2999 Depth=2
	s_and_not1_saveexec_b32 s14, s14
; %bb.3791:                             ;   in Loop: Header=BB12_2999 Depth=2
	v_and_b32_e32 v19, 0xffff, v50
	v_or_b32_e32 v51, 0x10000, v50
	s_delay_alu instid0(VALU_DEP_2) | instskip(NEXT) | instid1(VALU_DEP_2)
	v_cmp_eq_u32_e32 vcc_lo, 0, v19
	v_cndmask_b32_e32 v19, v51, v50, vcc_lo
; %bb.3792:                             ;   in Loop: Header=BB12_2999 Depth=2
	s_or_b32 exec_lo, exec_lo, s14
	v_and_b32_e32 v50, 0xffff0000, v54
	v_lshlrev_b32_e32 v51, 16, v12
	s_delay_alu instid0(VALU_DEP_1) | instskip(NEXT) | instid1(VALU_DEP_1)
	v_add_f32_e32 v51, v51, v50
	v_and_b32_e32 v50, 0x7f800000, v51
	s_delay_alu instid0(VALU_DEP_1) | instskip(SKIP_1) | instid1(SALU_CYCLE_1)
	v_cmp_ne_u32_e32 vcc_lo, 0x7f800000, v50
                                        ; implicit-def: $vgpr50
	s_and_saveexec_b32 s14, vcc_lo
	s_xor_b32 s14, exec_lo, s14
; %bb.3793:                             ;   in Loop: Header=BB12_2999 Depth=2
	v_bfe_u32 v50, v51, 16, 1
	s_delay_alu instid0(VALU_DEP_1)
	v_add3_u32 v50, v51, v50, 0x7fff
                                        ; implicit-def: $vgpr51
; %bb.3794:                             ;   in Loop: Header=BB12_2999 Depth=2
	s_and_not1_saveexec_b32 s14, s14
; %bb.3795:                             ;   in Loop: Header=BB12_2999 Depth=2
	v_and_b32_e32 v50, 0xffff, v51
	v_or_b32_e32 v53, 0x10000, v51
	s_delay_alu instid0(VALU_DEP_2) | instskip(NEXT) | instid1(VALU_DEP_2)
	v_cmp_eq_u32_e32 vcc_lo, 0, v50
	v_cndmask_b32_e32 v50, v53, v51, vcc_lo
; %bb.3796:                             ;   in Loop: Header=BB12_2999 Depth=2
	s_or_b32 exec_lo, exec_lo, s14
	v_and_b32_e32 v12, 0xffff0000, v12
	v_and_b32_e32 v48, 0xffff0000, v48
	s_delay_alu instid0(VALU_DEP_1) | instskip(NEXT) | instid1(VALU_DEP_1)
	v_add_f32_e32 v48, v12, v48
	v_and_b32_e32 v12, 0x7f800000, v48
	s_delay_alu instid0(VALU_DEP_1) | instskip(SKIP_1) | instid1(SALU_CYCLE_1)
	v_cmp_ne_u32_e32 vcc_lo, 0x7f800000, v12
                                        ; implicit-def: $vgpr12
	s_and_saveexec_b32 s14, vcc_lo
	s_xor_b32 s14, exec_lo, s14
; %bb.3797:                             ;   in Loop: Header=BB12_2999 Depth=2
	v_bfe_u32 v12, v48, 16, 1
	s_delay_alu instid0(VALU_DEP_1)
	v_add3_u32 v12, v48, v12, 0x7fff
                                        ; implicit-def: $vgpr48
; %bb.3798:                             ;   in Loop: Header=BB12_2999 Depth=2
	s_and_not1_saveexec_b32 s14, s14
; %bb.3799:                             ;   in Loop: Header=BB12_2999 Depth=2
	v_and_b32_e32 v12, 0xffff, v48
	v_or_b32_e32 v51, 0x10000, v48
	s_delay_alu instid0(VALU_DEP_2) | instskip(NEXT) | instid1(VALU_DEP_2)
	v_cmp_eq_u32_e32 vcc_lo, 0, v12
	v_cndmask_b32_e32 v12, v51, v48, vcc_lo
; %bb.3800:                             ;   in Loop: Header=BB12_2999 Depth=2
	s_or_b32 exec_lo, exec_lo, s14
	v_and_b32_e32 v48, 0xffff0000, v52
	v_lshlrev_b32_e32 v51, 16, v13
	s_delay_alu instid0(VALU_DEP_1) | instskip(NEXT) | instid1(VALU_DEP_1)
	v_add_f32_e32 v51, v51, v48
	v_and_b32_e32 v48, 0x7f800000, v51
	s_delay_alu instid0(VALU_DEP_1) | instskip(SKIP_1) | instid1(SALU_CYCLE_1)
	v_cmp_ne_u32_e32 vcc_lo, 0x7f800000, v48
                                        ; implicit-def: $vgpr48
	s_and_saveexec_b32 s14, vcc_lo
	s_xor_b32 s14, exec_lo, s14
; %bb.3801:                             ;   in Loop: Header=BB12_2999 Depth=2
	v_bfe_u32 v48, v51, 16, 1
	s_delay_alu instid0(VALU_DEP_1)
	v_add3_u32 v48, v51, v48, 0x7fff
                                        ; implicit-def: $vgpr51
; %bb.3802:                             ;   in Loop: Header=BB12_2999 Depth=2
	s_and_not1_saveexec_b32 s14, s14
; %bb.3803:                             ;   in Loop: Header=BB12_2999 Depth=2
	v_and_b32_e32 v48, 0xffff, v51
	v_or_b32_e32 v52, 0x10000, v51
	s_delay_alu instid0(VALU_DEP_2) | instskip(NEXT) | instid1(VALU_DEP_2)
	v_cmp_eq_u32_e32 vcc_lo, 0, v48
	v_cndmask_b32_e32 v48, v52, v51, vcc_lo
; %bb.3804:                             ;   in Loop: Header=BB12_2999 Depth=2
	s_or_b32 exec_lo, exec_lo, s14
	v_and_b32_e32 v13, 0xffff0000, v13
	v_and_b32_e32 v38, 0xffff0000, v38
	s_delay_alu instid0(VALU_DEP_1) | instskip(NEXT) | instid1(VALU_DEP_1)
	v_add_f32_e32 v38, v13, v38
	v_and_b32_e32 v13, 0x7f800000, v38
	s_delay_alu instid0(VALU_DEP_1) | instskip(SKIP_1) | instid1(SALU_CYCLE_1)
	v_cmp_ne_u32_e32 vcc_lo, 0x7f800000, v13
                                        ; implicit-def: $vgpr13
	s_and_saveexec_b32 s14, vcc_lo
	s_xor_b32 s14, exec_lo, s14
; %bb.3805:                             ;   in Loop: Header=BB12_2999 Depth=2
	v_bfe_u32 v13, v38, 16, 1
	s_delay_alu instid0(VALU_DEP_1)
	v_add3_u32 v13, v38, v13, 0x7fff
                                        ; implicit-def: $vgpr38
; %bb.3806:                             ;   in Loop: Header=BB12_2999 Depth=2
	s_and_not1_saveexec_b32 s14, s14
; %bb.3807:                             ;   in Loop: Header=BB12_2999 Depth=2
	v_and_b32_e32 v13, 0xffff, v38
	v_or_b32_e32 v51, 0x10000, v38
	s_delay_alu instid0(VALU_DEP_2) | instskip(NEXT) | instid1(VALU_DEP_2)
	v_cmp_eq_u32_e32 vcc_lo, 0, v13
	v_cndmask_b32_e32 v13, v51, v38, vcc_lo
; %bb.3808:                             ;   in Loop: Header=BB12_2999 Depth=2
	s_or_b32 exec_lo, exec_lo, s14
	v_and_b32_e32 v38, 0xffff0000, v39
	v_lshlrev_b32_e32 v39, 16, v14
	s_delay_alu instid0(VALU_DEP_1) | instskip(NEXT) | instid1(VALU_DEP_1)
	v_add_f32_e32 v39, v39, v38
	v_and_b32_e32 v38, 0x7f800000, v39
	s_delay_alu instid0(VALU_DEP_1) | instskip(SKIP_1) | instid1(SALU_CYCLE_1)
	v_cmp_ne_u32_e32 vcc_lo, 0x7f800000, v38
                                        ; implicit-def: $vgpr38
	s_and_saveexec_b32 s14, vcc_lo
	s_xor_b32 s14, exec_lo, s14
; %bb.3809:                             ;   in Loop: Header=BB12_2999 Depth=2
	v_bfe_u32 v38, v39, 16, 1
	s_delay_alu instid0(VALU_DEP_1)
	v_add3_u32 v38, v39, v38, 0x7fff
                                        ; implicit-def: $vgpr39
; %bb.3810:                             ;   in Loop: Header=BB12_2999 Depth=2
	s_and_not1_saveexec_b32 s14, s14
; %bb.3811:                             ;   in Loop: Header=BB12_2999 Depth=2
	v_and_b32_e32 v38, 0xffff, v39
	v_or_b32_e32 v51, 0x10000, v39
	s_delay_alu instid0(VALU_DEP_2) | instskip(NEXT) | instid1(VALU_DEP_2)
	v_cmp_eq_u32_e32 vcc_lo, 0, v38
	v_cndmask_b32_e32 v38, v51, v39, vcc_lo
; %bb.3812:                             ;   in Loop: Header=BB12_2999 Depth=2
	s_or_b32 exec_lo, exec_lo, s14
	v_and_b32_e32 v14, 0xffff0000, v14
	v_and_b32_e32 v36, 0xffff0000, v36
	s_delay_alu instid0(VALU_DEP_1) | instskip(NEXT) | instid1(VALU_DEP_1)
	v_add_f32_e32 v36, v14, v36
	v_and_b32_e32 v14, 0x7f800000, v36
	s_delay_alu instid0(VALU_DEP_1) | instskip(SKIP_1) | instid1(SALU_CYCLE_1)
	v_cmp_ne_u32_e32 vcc_lo, 0x7f800000, v14
                                        ; implicit-def: $vgpr14
	s_and_saveexec_b32 s14, vcc_lo
	s_xor_b32 s14, exec_lo, s14
; %bb.3813:                             ;   in Loop: Header=BB12_2999 Depth=2
	v_bfe_u32 v14, v36, 16, 1
	s_delay_alu instid0(VALU_DEP_1)
	v_add3_u32 v14, v36, v14, 0x7fff
                                        ; implicit-def: $vgpr36
; %bb.3814:                             ;   in Loop: Header=BB12_2999 Depth=2
	s_and_not1_saveexec_b32 s14, s14
; %bb.3815:                             ;   in Loop: Header=BB12_2999 Depth=2
	v_and_b32_e32 v14, 0xffff, v36
	v_or_b32_e32 v39, 0x10000, v36
	s_delay_alu instid0(VALU_DEP_2) | instskip(NEXT) | instid1(VALU_DEP_2)
	v_cmp_eq_u32_e32 vcc_lo, 0, v14
	v_cndmask_b32_e32 v14, v39, v36, vcc_lo
; %bb.3816:                             ;   in Loop: Header=BB12_2999 Depth=2
	s_or_b32 exec_lo, exec_lo, s14
	v_and_b32_e32 v36, 0xffff0000, v37
	v_lshlrev_b32_e32 v37, 16, v15
	s_delay_alu instid0(VALU_DEP_1) | instskip(NEXT) | instid1(VALU_DEP_1)
	v_add_f32_e32 v37, v37, v36
	v_and_b32_e32 v36, 0x7f800000, v37
	s_delay_alu instid0(VALU_DEP_1) | instskip(SKIP_1) | instid1(SALU_CYCLE_1)
	v_cmp_ne_u32_e32 vcc_lo, 0x7f800000, v36
                                        ; implicit-def: $vgpr36
	s_and_saveexec_b32 s14, vcc_lo
	s_xor_b32 s14, exec_lo, s14
; %bb.3817:                             ;   in Loop: Header=BB12_2999 Depth=2
	v_bfe_u32 v36, v37, 16, 1
	s_delay_alu instid0(VALU_DEP_1)
	v_add3_u32 v36, v37, v36, 0x7fff
                                        ; implicit-def: $vgpr37
; %bb.3818:                             ;   in Loop: Header=BB12_2999 Depth=2
	s_and_not1_saveexec_b32 s14, s14
; %bb.3819:                             ;   in Loop: Header=BB12_2999 Depth=2
	v_and_b32_e32 v36, 0xffff, v37
	v_or_b32_e32 v39, 0x10000, v37
	s_delay_alu instid0(VALU_DEP_2) | instskip(NEXT) | instid1(VALU_DEP_2)
	v_cmp_eq_u32_e32 vcc_lo, 0, v36
	v_cndmask_b32_e32 v36, v39, v37, vcc_lo
; %bb.3820:                             ;   in Loop: Header=BB12_2999 Depth=2
	s_or_b32 exec_lo, exec_lo, s14
	v_and_b32_e32 v15, 0xffff0000, v15
	v_and_b32_e32 v34, 0xffff0000, v34
	s_delay_alu instid0(VALU_DEP_1) | instskip(NEXT) | instid1(VALU_DEP_1)
	v_add_f32_e32 v34, v15, v34
	v_and_b32_e32 v15, 0x7f800000, v34
	s_delay_alu instid0(VALU_DEP_1) | instskip(SKIP_1) | instid1(SALU_CYCLE_1)
	v_cmp_ne_u32_e32 vcc_lo, 0x7f800000, v15
                                        ; implicit-def: $vgpr15
	s_and_saveexec_b32 s14, vcc_lo
	s_xor_b32 s14, exec_lo, s14
; %bb.3821:                             ;   in Loop: Header=BB12_2999 Depth=2
	v_bfe_u32 v15, v34, 16, 1
	s_delay_alu instid0(VALU_DEP_1)
	v_add3_u32 v15, v34, v15, 0x7fff
                                        ; implicit-def: $vgpr34
; %bb.3822:                             ;   in Loop: Header=BB12_2999 Depth=2
	s_and_not1_saveexec_b32 s14, s14
; %bb.3823:                             ;   in Loop: Header=BB12_2999 Depth=2
	v_and_b32_e32 v15, 0xffff, v34
	v_or_b32_e32 v37, 0x10000, v34
	s_delay_alu instid0(VALU_DEP_2) | instskip(NEXT) | instid1(VALU_DEP_2)
	v_cmp_eq_u32_e32 vcc_lo, 0, v15
	v_cndmask_b32_e32 v15, v37, v34, vcc_lo
; %bb.3824:                             ;   in Loop: Header=BB12_2999 Depth=2
	s_or_b32 exec_lo, exec_lo, s14
	v_and_b32_e32 v34, 0xffff0000, v35
	v_lshlrev_b32_e32 v35, 16, v8
	s_delay_alu instid0(VALU_DEP_1) | instskip(NEXT) | instid1(VALU_DEP_1)
	v_add_f32_e32 v35, v35, v34
	v_and_b32_e32 v34, 0x7f800000, v35
	s_delay_alu instid0(VALU_DEP_1) | instskip(SKIP_1) | instid1(SALU_CYCLE_1)
	v_cmp_ne_u32_e32 vcc_lo, 0x7f800000, v34
                                        ; implicit-def: $vgpr34
	s_and_saveexec_b32 s14, vcc_lo
	s_xor_b32 s14, exec_lo, s14
; %bb.3825:                             ;   in Loop: Header=BB12_2999 Depth=2
	v_bfe_u32 v34, v35, 16, 1
	s_delay_alu instid0(VALU_DEP_1)
	v_add3_u32 v34, v35, v34, 0x7fff
                                        ; implicit-def: $vgpr35
; %bb.3826:                             ;   in Loop: Header=BB12_2999 Depth=2
	s_and_not1_saveexec_b32 s14, s14
; %bb.3827:                             ;   in Loop: Header=BB12_2999 Depth=2
	v_and_b32_e32 v34, 0xffff, v35
	v_or_b32_e32 v37, 0x10000, v35
	s_delay_alu instid0(VALU_DEP_2) | instskip(NEXT) | instid1(VALU_DEP_2)
	v_cmp_eq_u32_e32 vcc_lo, 0, v34
	v_cndmask_b32_e32 v34, v37, v35, vcc_lo
; %bb.3828:                             ;   in Loop: Header=BB12_2999 Depth=2
	s_or_b32 exec_lo, exec_lo, s14
	v_and_b32_e32 v8, 0xffff0000, v8
	v_and_b32_e32 v31, 0xffff0000, v31
	s_delay_alu instid0(VALU_DEP_1) | instskip(NEXT) | instid1(VALU_DEP_1)
	v_add_f32_e32 v31, v8, v31
	v_and_b32_e32 v8, 0x7f800000, v31
	s_delay_alu instid0(VALU_DEP_1) | instskip(SKIP_1) | instid1(SALU_CYCLE_1)
	v_cmp_ne_u32_e32 vcc_lo, 0x7f800000, v8
                                        ; implicit-def: $vgpr8
	s_and_saveexec_b32 s14, vcc_lo
	s_xor_b32 s14, exec_lo, s14
; %bb.3829:                             ;   in Loop: Header=BB12_2999 Depth=2
	v_bfe_u32 v8, v31, 16, 1
	s_delay_alu instid0(VALU_DEP_1)
	v_add3_u32 v8, v31, v8, 0x7fff
                                        ; implicit-def: $vgpr31
; %bb.3830:                             ;   in Loop: Header=BB12_2999 Depth=2
	s_and_not1_saveexec_b32 s14, s14
; %bb.3831:                             ;   in Loop: Header=BB12_2999 Depth=2
	v_and_b32_e32 v8, 0xffff, v31
	v_or_b32_e32 v35, 0x10000, v31
	s_delay_alu instid0(VALU_DEP_2) | instskip(NEXT) | instid1(VALU_DEP_2)
	v_cmp_eq_u32_e32 vcc_lo, 0, v8
	v_cndmask_b32_e32 v8, v35, v31, vcc_lo
; %bb.3832:                             ;   in Loop: Header=BB12_2999 Depth=2
	s_or_b32 exec_lo, exec_lo, s14
	v_and_b32_e32 v31, 0xffff0000, v32
	v_lshlrev_b32_e32 v32, 16, v9
	s_delay_alu instid0(VALU_DEP_1) | instskip(NEXT) | instid1(VALU_DEP_1)
	v_add_f32_e32 v32, v32, v31
	v_and_b32_e32 v31, 0x7f800000, v32
	s_delay_alu instid0(VALU_DEP_1) | instskip(SKIP_1) | instid1(SALU_CYCLE_1)
	v_cmp_ne_u32_e32 vcc_lo, 0x7f800000, v31
                                        ; implicit-def: $vgpr31
	s_and_saveexec_b32 s14, vcc_lo
	s_xor_b32 s14, exec_lo, s14
; %bb.3833:                             ;   in Loop: Header=BB12_2999 Depth=2
	v_bfe_u32 v31, v32, 16, 1
	s_delay_alu instid0(VALU_DEP_1)
	v_add3_u32 v31, v32, v31, 0x7fff
                                        ; implicit-def: $vgpr32
; %bb.3834:                             ;   in Loop: Header=BB12_2999 Depth=2
	s_and_not1_saveexec_b32 s14, s14
; %bb.3835:                             ;   in Loop: Header=BB12_2999 Depth=2
	v_and_b32_e32 v31, 0xffff, v32
	v_or_b32_e32 v35, 0x10000, v32
	s_delay_alu instid0(VALU_DEP_2) | instskip(NEXT) | instid1(VALU_DEP_2)
	v_cmp_eq_u32_e32 vcc_lo, 0, v31
	v_cndmask_b32_e32 v31, v35, v32, vcc_lo
; %bb.3836:                             ;   in Loop: Header=BB12_2999 Depth=2
	s_or_b32 exec_lo, exec_lo, s14
	v_and_b32_e32 v9, 0xffff0000, v9
	v_and_b32_e32 v29, 0xffff0000, v29
	s_delay_alu instid0(VALU_DEP_1) | instskip(NEXT) | instid1(VALU_DEP_1)
	v_add_f32_e32 v29, v9, v29
	v_and_b32_e32 v9, 0x7f800000, v29
	s_delay_alu instid0(VALU_DEP_1) | instskip(SKIP_1) | instid1(SALU_CYCLE_1)
	v_cmp_ne_u32_e32 vcc_lo, 0x7f800000, v9
                                        ; implicit-def: $vgpr9
	s_and_saveexec_b32 s14, vcc_lo
	s_xor_b32 s14, exec_lo, s14
; %bb.3837:                             ;   in Loop: Header=BB12_2999 Depth=2
	v_bfe_u32 v9, v29, 16, 1
	s_delay_alu instid0(VALU_DEP_1)
	v_add3_u32 v9, v29, v9, 0x7fff
                                        ; implicit-def: $vgpr29
; %bb.3838:                             ;   in Loop: Header=BB12_2999 Depth=2
	s_and_not1_saveexec_b32 s14, s14
; %bb.3839:                             ;   in Loop: Header=BB12_2999 Depth=2
	v_and_b32_e32 v9, 0xffff, v29
	v_or_b32_e32 v32, 0x10000, v29
	s_delay_alu instid0(VALU_DEP_2) | instskip(NEXT) | instid1(VALU_DEP_2)
	v_cmp_eq_u32_e32 vcc_lo, 0, v9
	v_cndmask_b32_e32 v9, v32, v29, vcc_lo
; %bb.3840:                             ;   in Loop: Header=BB12_2999 Depth=2
	s_or_b32 exec_lo, exec_lo, s14
	v_and_b32_e32 v29, 0xffff0000, v30
	v_lshlrev_b32_e32 v30, 16, v10
	s_delay_alu instid0(VALU_DEP_1) | instskip(NEXT) | instid1(VALU_DEP_1)
	v_add_f32_e32 v30, v30, v29
	v_and_b32_e32 v29, 0x7f800000, v30
	s_delay_alu instid0(VALU_DEP_1) | instskip(SKIP_1) | instid1(SALU_CYCLE_1)
	v_cmp_ne_u32_e32 vcc_lo, 0x7f800000, v29
                                        ; implicit-def: $vgpr29
	s_and_saveexec_b32 s14, vcc_lo
	s_xor_b32 s14, exec_lo, s14
; %bb.3841:                             ;   in Loop: Header=BB12_2999 Depth=2
	v_bfe_u32 v29, v30, 16, 1
	s_delay_alu instid0(VALU_DEP_1)
	v_add3_u32 v29, v30, v29, 0x7fff
                                        ; implicit-def: $vgpr30
; %bb.3842:                             ;   in Loop: Header=BB12_2999 Depth=2
	s_and_not1_saveexec_b32 s14, s14
; %bb.3843:                             ;   in Loop: Header=BB12_2999 Depth=2
	v_and_b32_e32 v29, 0xffff, v30
	v_or_b32_e32 v32, 0x10000, v30
	s_delay_alu instid0(VALU_DEP_2) | instskip(NEXT) | instid1(VALU_DEP_2)
	v_cmp_eq_u32_e32 vcc_lo, 0, v29
	v_cndmask_b32_e32 v29, v32, v30, vcc_lo
; %bb.3844:                             ;   in Loop: Header=BB12_2999 Depth=2
	s_or_b32 exec_lo, exec_lo, s14
	v_and_b32_e32 v10, 0xffff0000, v10
	v_and_b32_e32 v24, 0xffff0000, v24
	s_delay_alu instid0(VALU_DEP_1) | instskip(NEXT) | instid1(VALU_DEP_1)
	v_add_f32_e32 v24, v10, v24
	v_and_b32_e32 v10, 0x7f800000, v24
	s_delay_alu instid0(VALU_DEP_1) | instskip(SKIP_1) | instid1(SALU_CYCLE_1)
	v_cmp_ne_u32_e32 vcc_lo, 0x7f800000, v10
                                        ; implicit-def: $vgpr10
	s_and_saveexec_b32 s14, vcc_lo
	s_xor_b32 s14, exec_lo, s14
; %bb.3845:                             ;   in Loop: Header=BB12_2999 Depth=2
	v_bfe_u32 v10, v24, 16, 1
	s_delay_alu instid0(VALU_DEP_1)
	v_add3_u32 v10, v24, v10, 0x7fff
                                        ; implicit-def: $vgpr24
; %bb.3846:                             ;   in Loop: Header=BB12_2999 Depth=2
	s_and_not1_saveexec_b32 s14, s14
; %bb.3847:                             ;   in Loop: Header=BB12_2999 Depth=2
	v_and_b32_e32 v10, 0xffff, v24
	v_or_b32_e32 v30, 0x10000, v24
	s_delay_alu instid0(VALU_DEP_2) | instskip(NEXT) | instid1(VALU_DEP_2)
	v_cmp_eq_u32_e32 vcc_lo, 0, v10
	v_cndmask_b32_e32 v10, v30, v24, vcc_lo
; %bb.3848:                             ;   in Loop: Header=BB12_2999 Depth=2
	s_or_b32 exec_lo, exec_lo, s14
	v_and_b32_e32 v24, 0xffff0000, v25
	v_lshlrev_b32_e32 v25, 16, v11
	s_delay_alu instid0(VALU_DEP_1) | instskip(NEXT) | instid1(VALU_DEP_1)
	v_add_f32_e32 v25, v25, v24
	v_and_b32_e32 v24, 0x7f800000, v25
	s_delay_alu instid0(VALU_DEP_1) | instskip(SKIP_1) | instid1(SALU_CYCLE_1)
	v_cmp_ne_u32_e32 vcc_lo, 0x7f800000, v24
                                        ; implicit-def: $vgpr24
	s_and_saveexec_b32 s14, vcc_lo
	s_xor_b32 s14, exec_lo, s14
; %bb.3849:                             ;   in Loop: Header=BB12_2999 Depth=2
	v_bfe_u32 v24, v25, 16, 1
	s_delay_alu instid0(VALU_DEP_1)
	v_add3_u32 v24, v25, v24, 0x7fff
                                        ; implicit-def: $vgpr25
; %bb.3850:                             ;   in Loop: Header=BB12_2999 Depth=2
	s_and_not1_saveexec_b32 s14, s14
; %bb.3851:                             ;   in Loop: Header=BB12_2999 Depth=2
	v_and_b32_e32 v24, 0xffff, v25
	v_or_b32_e32 v30, 0x10000, v25
	s_delay_alu instid0(VALU_DEP_2) | instskip(NEXT) | instid1(VALU_DEP_2)
	v_cmp_eq_u32_e32 vcc_lo, 0, v24
	v_cndmask_b32_e32 v24, v30, v25, vcc_lo
; %bb.3852:                             ;   in Loop: Header=BB12_2999 Depth=2
	s_or_b32 exec_lo, exec_lo, s14
	v_and_b32_e32 v11, 0xffff0000, v11
	v_and_b32_e32 v2, 0xffff0000, v2
	s_delay_alu instid0(VALU_DEP_1) | instskip(NEXT) | instid1(VALU_DEP_1)
	v_add_f32_e32 v11, v11, v2
	v_and_b32_e32 v2, 0x7f800000, v11
	s_delay_alu instid0(VALU_DEP_1) | instskip(SKIP_1) | instid1(SALU_CYCLE_1)
	v_cmp_ne_u32_e32 vcc_lo, 0x7f800000, v2
                                        ; implicit-def: $vgpr2
	s_and_saveexec_b32 s14, vcc_lo
	s_xor_b32 s14, exec_lo, s14
; %bb.3853:                             ;   in Loop: Header=BB12_2999 Depth=2
	v_bfe_u32 v2, v11, 16, 1
	s_delay_alu instid0(VALU_DEP_1)
	v_add3_u32 v2, v11, v2, 0x7fff
                                        ; implicit-def: $vgpr11
; %bb.3854:                             ;   in Loop: Header=BB12_2999 Depth=2
	s_and_not1_saveexec_b32 s14, s14
; %bb.3855:                             ;   in Loop: Header=BB12_2999 Depth=2
	v_and_b32_e32 v2, 0xffff, v11
	v_or_b32_e32 v25, 0x10000, v11
	s_delay_alu instid0(VALU_DEP_2) | instskip(NEXT) | instid1(VALU_DEP_2)
	v_cmp_eq_u32_e32 vcc_lo, 0, v2
	v_cndmask_b32_e32 v2, v25, v11, vcc_lo
; %bb.3856:                             ;   in Loop: Header=BB12_2999 Depth=2
	s_or_b32 exec_lo, exec_lo, s14
	v_dual_lshrrev_b32 v11, 16, v48 :: v_dual_lshrrev_b32 v25, 16, v50
	v_dual_lshrrev_b32 v0, 16, v0 :: v_dual_lshrrev_b32 v1, 16, v1
	v_lshrrev_b32_e32 v27, 16, v27
	s_delay_alu instid0(VALU_DEP_3) | instskip(SKIP_4) | instid1(VALU_DEP_4)
	v_and_or_b32 v13, 0xffff0000, v13, v11
	v_dual_lshrrev_b32 v11, 16, v23 :: v_dual_lshrrev_b32 v23, 16, v49
	v_and_or_b32 v12, 0xffff0000, v12, v25
	v_lshrrev_b32_e32 v25, 16, v26
	v_and_or_b32 v37, 0xffff0000, v21, v0
	v_and_or_b32 v16, 0xffff0000, v16, v11
	v_dual_lshrrev_b32 v11, 16, v33 :: v_dual_lshrrev_b32 v0, 16, v7
	v_dual_lshrrev_b32 v30, 16, v38 :: v_dual_lshrrev_b32 v32, 16, v36
	v_and_or_b32 v36, 0xffff0000, v20, v1
	s_delay_alu instid0(VALU_DEP_3)
	v_and_or_b32 v18, 0xffff0000, v18, v11
	v_and_or_b32 v38, 0xffff0000, v6, v25
	v_dual_lshrrev_b32 v1, 16, v31 :: v_dual_lshrrev_b32 v6, 16, v34
	v_dual_lshrrev_b32 v11, 16, v29 :: v_dual_lshrrev_b32 v20, 16, v24
	v_and_or_b32 v39, 0xffff0000, v22, v0
	v_and_or_b32 v17, 0xffff0000, v17, v27
	v_and_or_b32 v19, 0xffff0000, v19, v23
	v_and_or_b32 v14, 0xffff0000, v14, v30
	v_and_or_b32 v15, 0xffff0000, v15, v32
	v_and_or_b32 v7, 0xffff0000, v9, v1
	v_and_or_b32 v6, 0xffff0000, v8, v6
	v_and_or_b32 v8, 0xffff0000, v10, v11
	v_and_or_b32 v9, 0xffff0000, v2, v20
	s_clause 0x3
	global_store_b128 v[62:63], v[36:39], off th:TH_STORE_NT
	global_store_b128 v[62:63], v[16:19], off offset:512 th:TH_STORE_NT
	global_store_b128 v[62:63], v[12:15], off offset:1024 th:TH_STORE_NT
	;; [unrolled: 1-line block ×3, first 2 shown]
	s_clause 0x3
	global_store_b128 v[4:5], v[36:39], off th:TH_STORE_NT
	global_store_b128 v[4:5], v[16:19], off offset:512 th:TH_STORE_NT
	global_store_b128 v[4:5], v[12:15], off offset:1024 th:TH_STORE_NT
	;; [unrolled: 1-line block ×3, first 2 shown]
.LBB12_3857:                            ;   in Loop: Header=BB12_2999 Depth=2
	s_wait_xcnt 0x0
	s_or_b32 exec_lo, exec_lo, s13
	s_wait_loadcnt 0x0
	v_lshlrev_b32_e32 v20, 11, v85
	s_mov_b32 s77, exec_lo
                                        ; implicit-def: $vgpr18
                                        ; implicit-def: $vgpr2
                                        ; implicit-def: $vgpr0
                                        ; implicit-def: $vgpr19
	s_delay_alu instid0(VALU_DEP_1)
	v_cmpx_ne_u32_e64 v123, v20
	s_cbranch_execz .LBB12_4073
; %bb.3858:                             ;   in Loop: Header=BB12_2999 Depth=2
	scratch_load_b32 v1, off, s33 offset:328 ; 4-byte Folded Reload
	v_dual_lshlrev_b32 v0, 5, v75 :: v_dual_sub_nc_u32 v2, v123, v20
	s_mov_b32 s14, 0
	s_mov_b32 s78, exec_lo
	s_wait_loadcnt 0x0
	s_delay_alu instid0(VALU_DEP_1) | instskip(NEXT) | instid1(VALU_DEP_1)
	v_dual_ashrrev_i32 v5, 31, v2 :: v_dual_sub_nc_u32 v0, v1, v0
	v_ashrrev_i32_e32 v1, 31, v0
	s_delay_alu instid0(VALU_DEP_1) | instskip(NEXT) | instid1(VALU_DEP_1)
	v_lshrrev_b32_e32 v1, 27, v1
	v_add_nc_u32_e32 v1, v0, v1
	s_delay_alu instid0(VALU_DEP_1) | instskip(NEXT) | instid1(VALU_DEP_1)
	v_and_b32_e32 v4, 0xffffffe0, v1
	v_dual_sub_nc_u32 v21, v0, v4 :: v_dual_lshrrev_b32 v0, 23, v5
	v_ashrrev_i32_e32 v1, 5, v1
	s_delay_alu instid0(VALU_DEP_2) | instskip(NEXT) | instid1(VALU_DEP_1)
	v_dual_lshlrev_b32 v4, 4, v21 :: v_dual_add_nc_u32 v0, v2, v0
	v_lshl_add_u32 v4, v1, 9, v4
	s_delay_alu instid0(VALU_DEP_2) | instskip(SKIP_1) | instid1(VALU_DEP_2)
	v_and_b32_e32 v22, 0xfffffe00, v0
	v_ashrrev_i32_e32 v0, 9, v0
	v_dual_add_nc_u32 v8, v4, v20 :: v_dual_sub_nc_u32 v23, v2, v22
	v_sub_nc_u32_e32 v2, v2, v4
	scratch_load_b64 v[4:5], off, s33 offset:340 ; 8-byte Folded Reload
	v_cmp_lt_i32_e64 s13, 15, v23
	s_delay_alu instid0(VALU_DEP_1) | instskip(NEXT) | instid1(VALU_DEP_1)
	v_add_co_ci_u32_e64 v0, null, 0, v0, s13
	v_dual_ashrrev_i32 v9, 31, v8 :: v_dual_sub_nc_u32 v24, v0, v1
	s_delay_alu instid0(VALU_DEP_1)
	v_add_nc_u64_e32 v[12:13], v[8:9], v[76:77]
	s_wait_loadcnt 0x0
	v_add_nc_u64_e32 v[4:5], v[8:9], v[4:5]
	s_wait_xcnt 0x0
	v_cmpx_lt_i32_e32 15, v2
	s_cbranch_execz .LBB12_4003
; %bb.3859:                             ;   in Loop: Header=BB12_2999 Depth=2
	s_trap 2
	ds_load_b64 v[0:1], v0
	v_add_nc_u64_e32 v[14:15], v[8:9], v[72:73]
	s_mov_b32 s89, 0
	s_mov_b32 s79, 0
                                        ; implicit-def: $sgpr88
	s_wait_dscnt 0x0
	ds_load_b32 v6, v0
	v_add_nc_u64_e32 v[16:17], v[0:1], v[8:9]
	s_wait_dscnt 0x0
	v_lshlrev_b32_e32 v1, 16, v6
	s_branch .LBB12_3861
.LBB12_3860:                            ;   in Loop: Header=BB12_3861 Depth=3
	s_wait_xcnt 0x0
	s_or_b32 exec_lo, exec_lo, s14
	v_cmp_gt_i32_e32 vcc_lo, 16, v2
	s_or_b32 s79, vcc_lo, s79
	s_and_not1_b32 s14, s88, exec_lo
	s_and_b32 s15, s89, exec_lo
	s_delay_alu instid0(SALU_CYCLE_1)
	s_or_b32 s88, s14, s15
	s_and_not1_b32 exec_lo, exec_lo, s79
	s_cbranch_execz .LBB12_4002
.LBB12_3861:                            ;   Parent Loop BB12_47 Depth=1
                                        ;     Parent Loop BB12_2999 Depth=2
                                        ; =>    This Loop Header: Depth=3
                                        ;         Child Loop BB12_3862 Depth 4
                                        ;         Child Loop BB12_3929 Depth 4
                                        ;         Child Loop BB12_3933 Depth 4
                                        ;         Child Loop BB12_3999 Depth 4
	s_add_co_i32 s14, s33, 0xc0
	s_mov_b64 s[40:41], 0
	s_mov_b32 s90, s14
	s_mov_b32 s91, -1
.LBB12_3862:                            ;   Parent Loop BB12_47 Depth=1
                                        ;     Parent Loop BB12_2999 Depth=2
                                        ;       Parent Loop BB12_3861 Depth=3
                                        ; =>      This Inner Loop Header: Depth=4
	s_cmp_eq_u32 s40, 1
	s_cselect_b32 vcc_lo, -1, 0
	s_cmp_eq_u32 s40, 0
	v_dual_cndmask_b32 v11, v15, v17 :: v_dual_cndmask_b32 v10, v14, v16
	s_cselect_b32 s14, -1, 0
	s_and_b32 s15, exec_lo, s91
	s_mov_b64 s[40:41], 1
	s_mov_b32 s91, 0
	global_load_b128 v[6:9], v[10:11], off th:TH_LOAD_NT
	s_wait_xcnt 0x0
	v_add_nc_u64_e32 v[10:11], 0x200, v[10:11]
	s_delay_alu instid0(VALU_DEP_1)
	v_dual_cndmask_b32 v15, v15, v11, s14 :: v_dual_cndmask_b32 v14, v14, v10, s14
	v_dual_cndmask_b32 v17, v17, v11 :: v_dual_cndmask_b32 v16, v16, v10
	s_mov_b32 vcc_lo, s15
	s_wait_loadcnt 0x0
	scratch_store_b128 off, v[6:9], s90
	s_wait_xcnt 0x0
	s_mov_b32 s90, s58
	s_cbranch_vccnz .LBB12_3862
; %bb.3863:                             ;   in Loop: Header=BB12_3861 Depth=3
	s_and_saveexec_b32 s90, s89
	s_cbranch_execz .LBB12_3931
; %bb.3864:                             ;   in Loop: Header=BB12_3861 Depth=3
	scratch_load_b128 v[8:11], off, s33 offset:224
	s_wait_loadcnt 0x0
	v_lshlrev_b32_e32 v0, 16, v8
	s_delay_alu instid0(VALU_DEP_1) | instskip(NEXT) | instid1(VALU_DEP_1)
	v_mul_f32_e32 v0, v1, v0
	v_and_b32_e32 v6, 0x7f800000, v0
	s_delay_alu instid0(VALU_DEP_1) | instskip(SKIP_2) | instid1(SALU_CYCLE_1)
	v_cmp_ne_u32_e32 vcc_lo, 0x7f800000, v6
                                        ; implicit-def: $vgpr6
	s_wait_xcnt 0x0
	s_and_saveexec_b32 s14, vcc_lo
	s_xor_b32 s14, exec_lo, s14
; %bb.3865:                             ;   in Loop: Header=BB12_3861 Depth=3
	v_bfe_u32 v6, v0, 16, 1
	s_delay_alu instid0(VALU_DEP_1)
	v_add3_u32 v6, v0, v6, 0x7fff
                                        ; implicit-def: $vgpr0
; %bb.3866:                             ;   in Loop: Header=BB12_3861 Depth=3
	s_and_not1_saveexec_b32 s14, s14
; %bb.3867:                             ;   in Loop: Header=BB12_3861 Depth=3
	v_and_b32_e32 v6, 0xffff, v0
	v_or_b32_e32 v7, 0x10000, v0
	s_delay_alu instid0(VALU_DEP_2) | instskip(NEXT) | instid1(VALU_DEP_2)
	v_cmp_eq_u32_e32 vcc_lo, 0, v6
	v_cndmask_b32_e32 v6, v7, v0, vcc_lo
; %bb.3868:                             ;   in Loop: Header=BB12_3861 Depth=3
	s_or_b32 exec_lo, exec_lo, s14
	v_and_b32_e32 v0, 0xffff0000, v8
	s_mov_b32 s14, exec_lo
                                        ; implicit-def: $vgpr18
	s_delay_alu instid0(VALU_DEP_1) | instskip(NEXT) | instid1(VALU_DEP_1)
	v_mul_f32_e32 v0, v1, v0
	v_and_b32_e32 v7, 0x7f800000, v0
	s_delay_alu instid0(VALU_DEP_1)
	v_cmpx_ne_u32_e32 0x7f800000, v7
	s_xor_b32 s14, exec_lo, s14
; %bb.3869:                             ;   in Loop: Header=BB12_3861 Depth=3
	v_bfe_u32 v7, v0, 16, 1
	s_delay_alu instid0(VALU_DEP_1)
	v_add3_u32 v18, v0, v7, 0x7fff
                                        ; implicit-def: $vgpr0
; %bb.3870:                             ;   in Loop: Header=BB12_3861 Depth=3
	s_and_not1_saveexec_b32 s14, s14
; %bb.3871:                             ;   in Loop: Header=BB12_3861 Depth=3
	v_and_b32_e32 v7, 0xffff, v0
	v_or_b32_e32 v8, 0x10000, v0
	s_delay_alu instid0(VALU_DEP_2) | instskip(NEXT) | instid1(VALU_DEP_2)
	v_cmp_eq_u32_e32 vcc_lo, 0, v7
	v_cndmask_b32_e32 v18, v8, v0, vcc_lo
; %bb.3872:                             ;   in Loop: Header=BB12_3861 Depth=3
	s_or_b32 exec_lo, exec_lo, s14
	v_lshlrev_b32_e32 v0, 16, v9
	s_mov_b32 s14, exec_lo
                                        ; implicit-def: $vgpr29
	s_delay_alu instid0(VALU_DEP_1) | instskip(NEXT) | instid1(VALU_DEP_1)
	v_mul_f32_e32 v0, v1, v0
	v_and_b32_e32 v7, 0x7f800000, v0
	s_delay_alu instid0(VALU_DEP_1)
	v_cmpx_ne_u32_e32 0x7f800000, v7
	s_xor_b32 s14, exec_lo, s14
; %bb.3873:                             ;   in Loop: Header=BB12_3861 Depth=3
	v_bfe_u32 v7, v0, 16, 1
	s_delay_alu instid0(VALU_DEP_1)
	v_add3_u32 v29, v0, v7, 0x7fff
                                        ; implicit-def: $vgpr0
; %bb.3874:                             ;   in Loop: Header=BB12_3861 Depth=3
	s_and_not1_saveexec_b32 s14, s14
; %bb.3875:                             ;   in Loop: Header=BB12_3861 Depth=3
	v_and_b32_e32 v7, 0xffff, v0
	v_or_b32_e32 v8, 0x10000, v0
	s_delay_alu instid0(VALU_DEP_2) | instskip(NEXT) | instid1(VALU_DEP_2)
	v_cmp_eq_u32_e32 vcc_lo, 0, v7
	v_cndmask_b32_e32 v29, v8, v0, vcc_lo
; %bb.3876:                             ;   in Loop: Header=BB12_3861 Depth=3
	s_or_b32 exec_lo, exec_lo, s14
	v_and_b32_e32 v0, 0xffff0000, v9
	s_mov_b32 s14, exec_lo
                                        ; implicit-def: $vgpr26
	s_delay_alu instid0(VALU_DEP_1) | instskip(NEXT) | instid1(VALU_DEP_1)
	v_mul_f32_e32 v0, v1, v0
	v_and_b32_e32 v7, 0x7f800000, v0
	s_delay_alu instid0(VALU_DEP_1)
	v_cmpx_ne_u32_e32 0x7f800000, v7
	s_xor_b32 s14, exec_lo, s14
; %bb.3877:                             ;   in Loop: Header=BB12_3861 Depth=3
	v_bfe_u32 v7, v0, 16, 1
	s_delay_alu instid0(VALU_DEP_1)
	v_add3_u32 v26, v0, v7, 0x7fff
                                        ; implicit-def: $vgpr0
; %bb.3878:                             ;   in Loop: Header=BB12_3861 Depth=3
	s_and_not1_saveexec_b32 s14, s14
; %bb.3879:                             ;   in Loop: Header=BB12_3861 Depth=3
	v_and_b32_e32 v7, 0xffff, v0
	v_or_b32_e32 v8, 0x10000, v0
	s_delay_alu instid0(VALU_DEP_2) | instskip(NEXT) | instid1(VALU_DEP_2)
	v_cmp_eq_u32_e32 vcc_lo, 0, v7
	v_cndmask_b32_e32 v26, v8, v0, vcc_lo
; %bb.3880:                             ;   in Loop: Header=BB12_3861 Depth=3
	s_or_b32 exec_lo, exec_lo, s14
	v_lshlrev_b32_e32 v0, 16, v10
	s_mov_b32 s14, exec_lo
                                        ; implicit-def: $vgpr27
	s_delay_alu instid0(VALU_DEP_1) | instskip(NEXT) | instid1(VALU_DEP_1)
	v_mul_f32_e32 v0, v1, v0
	v_and_b32_e32 v7, 0x7f800000, v0
	s_delay_alu instid0(VALU_DEP_1)
	v_cmpx_ne_u32_e32 0x7f800000, v7
	s_xor_b32 s14, exec_lo, s14
; %bb.3881:                             ;   in Loop: Header=BB12_3861 Depth=3
	v_bfe_u32 v7, v0, 16, 1
	s_delay_alu instid0(VALU_DEP_1)
	v_add3_u32 v27, v0, v7, 0x7fff
                                        ; implicit-def: $vgpr0
; %bb.3882:                             ;   in Loop: Header=BB12_3861 Depth=3
	s_and_not1_saveexec_b32 s14, s14
; %bb.3883:                             ;   in Loop: Header=BB12_3861 Depth=3
	v_and_b32_e32 v7, 0xffff, v0
	v_or_b32_e32 v8, 0x10000, v0
	s_delay_alu instid0(VALU_DEP_2) | instskip(NEXT) | instid1(VALU_DEP_2)
	v_cmp_eq_u32_e32 vcc_lo, 0, v7
	v_cndmask_b32_e32 v27, v8, v0, vcc_lo
; %bb.3884:                             ;   in Loop: Header=BB12_3861 Depth=3
	s_or_b32 exec_lo, exec_lo, s14
	v_and_b32_e32 v0, 0xffff0000, v10
	s_delay_alu instid0(VALU_DEP_1) | instskip(NEXT) | instid1(VALU_DEP_1)
	v_mul_f32_e32 v0, v1, v0
	v_and_b32_e32 v7, 0x7f800000, v0
	s_delay_alu instid0(VALU_DEP_1) | instskip(SKIP_1) | instid1(SALU_CYCLE_1)
	v_cmp_ne_u32_e32 vcc_lo, 0x7f800000, v7
                                        ; implicit-def: $vgpr7
	s_and_saveexec_b32 s14, vcc_lo
	s_xor_b32 s14, exec_lo, s14
; %bb.3885:                             ;   in Loop: Header=BB12_3861 Depth=3
	v_bfe_u32 v7, v0, 16, 1
	s_delay_alu instid0(VALU_DEP_1)
	v_add3_u32 v7, v0, v7, 0x7fff
                                        ; implicit-def: $vgpr0
; %bb.3886:                             ;   in Loop: Header=BB12_3861 Depth=3
	s_and_not1_saveexec_b32 s14, s14
; %bb.3887:                             ;   in Loop: Header=BB12_3861 Depth=3
	v_and_b32_e32 v7, 0xffff, v0
	v_or_b32_e32 v8, 0x10000, v0
	s_delay_alu instid0(VALU_DEP_2) | instskip(NEXT) | instid1(VALU_DEP_2)
	v_cmp_eq_u32_e32 vcc_lo, 0, v7
	v_cndmask_b32_e32 v7, v8, v0, vcc_lo
; %bb.3888:                             ;   in Loop: Header=BB12_3861 Depth=3
	s_or_b32 exec_lo, exec_lo, s14
	v_lshlrev_b32_e32 v0, 16, v11
	s_mov_b32 s14, exec_lo
                                        ; implicit-def: $vgpr25
	s_delay_alu instid0(VALU_DEP_1) | instskip(NEXT) | instid1(VALU_DEP_1)
	v_mul_f32_e32 v0, v1, v0
	v_and_b32_e32 v8, 0x7f800000, v0
	s_delay_alu instid0(VALU_DEP_1)
	v_cmpx_ne_u32_e32 0x7f800000, v8
	s_xor_b32 s14, exec_lo, s14
; %bb.3889:                             ;   in Loop: Header=BB12_3861 Depth=3
	v_bfe_u32 v8, v0, 16, 1
	s_delay_alu instid0(VALU_DEP_1)
	v_add3_u32 v25, v0, v8, 0x7fff
                                        ; implicit-def: $vgpr0
; %bb.3890:                             ;   in Loop: Header=BB12_3861 Depth=3
	s_and_not1_saveexec_b32 s14, s14
; %bb.3891:                             ;   in Loop: Header=BB12_3861 Depth=3
	v_and_b32_e32 v8, 0xffff, v0
	v_or_b32_e32 v9, 0x10000, v0
	s_delay_alu instid0(VALU_DEP_2) | instskip(NEXT) | instid1(VALU_DEP_2)
	v_cmp_eq_u32_e32 vcc_lo, 0, v8
	v_cndmask_b32_e32 v25, v9, v0, vcc_lo
; %bb.3892:                             ;   in Loop: Header=BB12_3861 Depth=3
	s_or_b32 exec_lo, exec_lo, s14
	v_and_b32_e32 v0, 0xffff0000, v11
	s_delay_alu instid0(VALU_DEP_1) | instskip(NEXT) | instid1(VALU_DEP_1)
	v_mul_f32_e32 v8, v1, v0
	v_and_b32_e32 v0, 0x7f800000, v8
	s_delay_alu instid0(VALU_DEP_1) | instskip(SKIP_1) | instid1(SALU_CYCLE_1)
	v_cmp_ne_u32_e32 vcc_lo, 0x7f800000, v0
                                        ; implicit-def: $vgpr0
	s_and_saveexec_b32 s14, vcc_lo
	s_xor_b32 s14, exec_lo, s14
; %bb.3893:                             ;   in Loop: Header=BB12_3861 Depth=3
	v_bfe_u32 v0, v8, 16, 1
	s_delay_alu instid0(VALU_DEP_1)
	v_add3_u32 v0, v8, v0, 0x7fff
                                        ; implicit-def: $vgpr8
; %bb.3894:                             ;   in Loop: Header=BB12_3861 Depth=3
	s_and_not1_saveexec_b32 s14, s14
; %bb.3895:                             ;   in Loop: Header=BB12_3861 Depth=3
	v_and_b32_e32 v0, 0xffff, v8
	v_or_b32_e32 v9, 0x10000, v8
	s_delay_alu instid0(VALU_DEP_2) | instskip(NEXT) | instid1(VALU_DEP_2)
	v_cmp_eq_u32_e32 vcc_lo, 0, v0
	v_cndmask_b32_e32 v0, v9, v8, vcc_lo
; %bb.3896:                             ;   in Loop: Header=BB12_3861 Depth=3
	s_or_b32 exec_lo, exec_lo, s14
	scratch_load_b128 v[8:11], off, s33 offset:240
	v_and_b32_e32 v6, 0xffff0000, v6
	s_wait_loadcnt 0x0
	v_lshlrev_b32_e32 v19, 16, v8
	s_delay_alu instid0(VALU_DEP_1) | instskip(NEXT) | instid1(VALU_DEP_1)
	v_add_f32_e32 v19, v6, v19
	v_and_b32_e32 v6, 0x7f800000, v19
	s_delay_alu instid0(VALU_DEP_1) | instskip(SKIP_2) | instid1(SALU_CYCLE_1)
	v_cmp_ne_u32_e32 vcc_lo, 0x7f800000, v6
                                        ; implicit-def: $vgpr6
	s_wait_xcnt 0x0
	s_and_saveexec_b32 s14, vcc_lo
	s_xor_b32 s14, exec_lo, s14
; %bb.3897:                             ;   in Loop: Header=BB12_3861 Depth=3
	v_bfe_u32 v6, v19, 16, 1
	s_delay_alu instid0(VALU_DEP_1)
	v_add3_u32 v6, v19, v6, 0x7fff
                                        ; implicit-def: $vgpr19
; %bb.3898:                             ;   in Loop: Header=BB12_3861 Depth=3
	s_and_not1_saveexec_b32 s14, s14
; %bb.3899:                             ;   in Loop: Header=BB12_3861 Depth=3
	v_and_b32_e32 v6, 0xffff, v19
	v_or_b32_e32 v30, 0x10000, v19
	s_delay_alu instid0(VALU_DEP_2) | instskip(NEXT) | instid1(VALU_DEP_2)
	v_cmp_eq_u32_e32 vcc_lo, 0, v6
	v_cndmask_b32_e32 v6, v30, v19, vcc_lo
; %bb.3900:                             ;   in Loop: Header=BB12_3861 Depth=3
	s_or_b32 exec_lo, exec_lo, s14
	v_and_b32_e32 v19, 0xffff0000, v8
	v_and_b32_e32 v18, 0xffff0000, v18
	s_delay_alu instid0(VALU_DEP_2) | instskip(NEXT) | instid1(VALU_DEP_1)
	v_mov_b32_e32 v8, v19
	v_pk_add_f32 v[18:19], v[8:9], v[18:19]
	s_delay_alu instid0(VALU_DEP_1) | instskip(NEXT) | instid1(VALU_DEP_1)
	v_and_b32_e32 v8, 0x7f800000, v18
	v_cmp_ne_u32_e32 vcc_lo, 0x7f800000, v8
                                        ; implicit-def: $vgpr8
	s_and_saveexec_b32 s14, vcc_lo
	s_delay_alu instid0(SALU_CYCLE_1)
	s_xor_b32 s14, exec_lo, s14
; %bb.3901:                             ;   in Loop: Header=BB12_3861 Depth=3
	v_bfe_u32 v8, v18, 16, 1
	s_delay_alu instid0(VALU_DEP_1)
	v_add3_u32 v8, v18, v8, 0x7fff
                                        ; implicit-def: $vgpr18_vgpr19
; %bb.3902:                             ;   in Loop: Header=BB12_3861 Depth=3
	s_and_not1_saveexec_b32 s14, s14
; %bb.3903:                             ;   in Loop: Header=BB12_3861 Depth=3
	v_and_b32_e32 v8, 0xffff, v18
	v_or_b32_e32 v19, 0x10000, v18
	s_delay_alu instid0(VALU_DEP_2) | instskip(NEXT) | instid1(VALU_DEP_2)
	v_cmp_eq_u32_e32 vcc_lo, 0, v8
	v_cndmask_b32_e32 v8, v19, v18, vcc_lo
; %bb.3904:                             ;   in Loop: Header=BB12_3861 Depth=3
	s_or_b32 exec_lo, exec_lo, s14
	v_and_b32_e32 v18, 0xffff0000, v29
	v_lshlrev_b32_e32 v19, 16, v9
	s_delay_alu instid0(VALU_DEP_1) | instskip(NEXT) | instid1(VALU_DEP_1)
	v_add_f32_e32 v19, v18, v19
	v_and_b32_e32 v18, 0x7f800000, v19
	s_delay_alu instid0(VALU_DEP_1) | instskip(SKIP_1) | instid1(SALU_CYCLE_1)
	v_cmp_ne_u32_e32 vcc_lo, 0x7f800000, v18
                                        ; implicit-def: $vgpr18
	s_and_saveexec_b32 s14, vcc_lo
	s_xor_b32 s14, exec_lo, s14
; %bb.3905:                             ;   in Loop: Header=BB12_3861 Depth=3
	v_bfe_u32 v18, v19, 16, 1
	s_delay_alu instid0(VALU_DEP_1)
	v_add3_u32 v18, v19, v18, 0x7fff
                                        ; implicit-def: $vgpr19
; %bb.3906:                             ;   in Loop: Header=BB12_3861 Depth=3
	s_and_not1_saveexec_b32 s14, s14
; %bb.3907:                             ;   in Loop: Header=BB12_3861 Depth=3
	v_and_b32_e32 v18, 0xffff, v19
	v_or_b32_e32 v29, 0x10000, v19
	s_delay_alu instid0(VALU_DEP_2) | instskip(NEXT) | instid1(VALU_DEP_2)
	v_cmp_eq_u32_e32 vcc_lo, 0, v18
	v_cndmask_b32_e32 v18, v29, v19, vcc_lo
; %bb.3908:                             ;   in Loop: Header=BB12_3861 Depth=3
	s_or_b32 exec_lo, exec_lo, s14
	v_and_b32_e32 v9, 0xffff0000, v9
	v_and_b32_e32 v19, 0xffff0000, v26
	s_delay_alu instid0(VALU_DEP_1) | instskip(NEXT) | instid1(VALU_DEP_1)
	v_add_f32_e32 v19, v19, v9
	v_and_b32_e32 v9, 0x7f800000, v19
	s_delay_alu instid0(VALU_DEP_1) | instskip(SKIP_1) | instid1(SALU_CYCLE_1)
	v_cmp_ne_u32_e32 vcc_lo, 0x7f800000, v9
                                        ; implicit-def: $vgpr9
	s_and_saveexec_b32 s14, vcc_lo
	s_xor_b32 s14, exec_lo, s14
; %bb.3909:                             ;   in Loop: Header=BB12_3861 Depth=3
	v_bfe_u32 v9, v19, 16, 1
	s_delay_alu instid0(VALU_DEP_1)
	v_add3_u32 v9, v19, v9, 0x7fff
                                        ; implicit-def: $vgpr19
; %bb.3910:                             ;   in Loop: Header=BB12_3861 Depth=3
	s_and_not1_saveexec_b32 s14, s14
; %bb.3911:                             ;   in Loop: Header=BB12_3861 Depth=3
	v_and_b32_e32 v9, 0xffff, v19
	v_or_b32_e32 v26, 0x10000, v19
	s_delay_alu instid0(VALU_DEP_2) | instskip(NEXT) | instid1(VALU_DEP_2)
	v_cmp_eq_u32_e32 vcc_lo, 0, v9
	v_cndmask_b32_e32 v9, v26, v19, vcc_lo
; %bb.3912:                             ;   in Loop: Header=BB12_3861 Depth=3
	s_or_b32 exec_lo, exec_lo, s14
	v_and_b32_e32 v19, 0xffff0000, v27
	v_lshlrev_b32_e32 v26, 16, v10
	s_delay_alu instid0(VALU_DEP_1) | instskip(NEXT) | instid1(VALU_DEP_1)
	v_add_f32_e32 v26, v19, v26
	v_and_b32_e32 v19, 0x7f800000, v26
	s_delay_alu instid0(VALU_DEP_1) | instskip(SKIP_1) | instid1(SALU_CYCLE_1)
	v_cmp_ne_u32_e32 vcc_lo, 0x7f800000, v19
                                        ; implicit-def: $vgpr19
	s_and_saveexec_b32 s14, vcc_lo
	s_xor_b32 s14, exec_lo, s14
; %bb.3913:                             ;   in Loop: Header=BB12_3861 Depth=3
	v_bfe_u32 v19, v26, 16, 1
	s_delay_alu instid0(VALU_DEP_1)
	v_add3_u32 v19, v26, v19, 0x7fff
                                        ; implicit-def: $vgpr26
; %bb.3914:                             ;   in Loop: Header=BB12_3861 Depth=3
	s_and_not1_saveexec_b32 s14, s14
; %bb.3915:                             ;   in Loop: Header=BB12_3861 Depth=3
	v_and_b32_e32 v19, 0xffff, v26
	v_or_b32_e32 v27, 0x10000, v26
	s_delay_alu instid0(VALU_DEP_2) | instskip(NEXT) | instid1(VALU_DEP_2)
	v_cmp_eq_u32_e32 vcc_lo, 0, v19
	v_cndmask_b32_e32 v19, v27, v26, vcc_lo
; %bb.3916:                             ;   in Loop: Header=BB12_3861 Depth=3
	s_or_b32 exec_lo, exec_lo, s14
	v_and_b32_e32 v10, 0xffff0000, v10
	v_and_b32_e32 v7, 0xffff0000, v7
	s_delay_alu instid0(VALU_DEP_1) | instskip(NEXT) | instid1(VALU_DEP_1)
	v_add_f32_e32 v10, v7, v10
	v_and_b32_e32 v7, 0x7f800000, v10
	s_delay_alu instid0(VALU_DEP_1) | instskip(SKIP_1) | instid1(SALU_CYCLE_1)
	v_cmp_ne_u32_e32 vcc_lo, 0x7f800000, v7
                                        ; implicit-def: $vgpr7
	s_and_saveexec_b32 s14, vcc_lo
	s_xor_b32 s14, exec_lo, s14
; %bb.3917:                             ;   in Loop: Header=BB12_3861 Depth=3
	v_bfe_u32 v7, v10, 16, 1
	s_delay_alu instid0(VALU_DEP_1)
	v_add3_u32 v7, v10, v7, 0x7fff
                                        ; implicit-def: $vgpr10
; %bb.3918:                             ;   in Loop: Header=BB12_3861 Depth=3
	s_and_not1_saveexec_b32 s14, s14
; %bb.3919:                             ;   in Loop: Header=BB12_3861 Depth=3
	v_and_b32_e32 v7, 0xffff, v10
	v_or_b32_e32 v26, 0x10000, v10
	s_delay_alu instid0(VALU_DEP_2) | instskip(NEXT) | instid1(VALU_DEP_2)
	v_cmp_eq_u32_e32 vcc_lo, 0, v7
	v_cndmask_b32_e32 v7, v26, v10, vcc_lo
; %bb.3920:                             ;   in Loop: Header=BB12_3861 Depth=3
	s_or_b32 exec_lo, exec_lo, s14
	v_and_b32_e32 v10, 0xffff0000, v25
	v_lshlrev_b32_e32 v25, 16, v11
	s_delay_alu instid0(VALU_DEP_1) | instskip(NEXT) | instid1(VALU_DEP_1)
	v_add_f32_e32 v25, v10, v25
	v_and_b32_e32 v10, 0x7f800000, v25
	s_delay_alu instid0(VALU_DEP_1) | instskip(SKIP_1) | instid1(SALU_CYCLE_1)
	v_cmp_ne_u32_e32 vcc_lo, 0x7f800000, v10
                                        ; implicit-def: $vgpr10
	s_and_saveexec_b32 s14, vcc_lo
	s_xor_b32 s14, exec_lo, s14
; %bb.3921:                             ;   in Loop: Header=BB12_3861 Depth=3
	v_bfe_u32 v10, v25, 16, 1
	s_delay_alu instid0(VALU_DEP_1)
	v_add3_u32 v10, v25, v10, 0x7fff
                                        ; implicit-def: $vgpr25
; %bb.3922:                             ;   in Loop: Header=BB12_3861 Depth=3
	s_and_not1_saveexec_b32 s14, s14
; %bb.3923:                             ;   in Loop: Header=BB12_3861 Depth=3
	v_and_b32_e32 v10, 0xffff, v25
	v_or_b32_e32 v26, 0x10000, v25
	s_delay_alu instid0(VALU_DEP_2) | instskip(NEXT) | instid1(VALU_DEP_2)
	v_cmp_eq_u32_e32 vcc_lo, 0, v10
	v_cndmask_b32_e32 v10, v26, v25, vcc_lo
; %bb.3924:                             ;   in Loop: Header=BB12_3861 Depth=3
	s_or_b32 exec_lo, exec_lo, s14
	v_and_b32_e32 v11, 0xffff0000, v11
	v_and_b32_e32 v0, 0xffff0000, v0
	s_delay_alu instid0(VALU_DEP_1) | instskip(NEXT) | instid1(VALU_DEP_1)
	v_add_f32_e32 v11, v0, v11
	v_and_b32_e32 v0, 0x7f800000, v11
	s_delay_alu instid0(VALU_DEP_1) | instskip(SKIP_1) | instid1(SALU_CYCLE_1)
	v_cmp_ne_u32_e32 vcc_lo, 0x7f800000, v0
                                        ; implicit-def: $vgpr0
	s_and_saveexec_b32 s14, vcc_lo
	s_xor_b32 s14, exec_lo, s14
; %bb.3925:                             ;   in Loop: Header=BB12_3861 Depth=3
	v_bfe_u32 v0, v11, 16, 1
	s_delay_alu instid0(VALU_DEP_1)
	v_add3_u32 v0, v11, v0, 0x7fff
                                        ; implicit-def: $vgpr11
; %bb.3926:                             ;   in Loop: Header=BB12_3861 Depth=3
	s_and_not1_saveexec_b32 s14, s14
; %bb.3927:                             ;   in Loop: Header=BB12_3861 Depth=3
	v_and_b32_e32 v0, 0xffff, v11
	v_or_b32_e32 v25, 0x10000, v11
	s_delay_alu instid0(VALU_DEP_2) | instskip(NEXT) | instid1(VALU_DEP_2)
	v_cmp_eq_u32_e32 vcc_lo, 0, v0
	v_cndmask_b32_e32 v0, v25, v11, vcc_lo
; %bb.3928:                             ;   in Loop: Header=BB12_3861 Depth=3
	s_or_b32 exec_lo, exec_lo, s14
	v_dual_lshrrev_b32 v11, 16, v18 :: v_dual_lshrrev_b32 v18, 16, v19
	v_lshrrev_b32_e32 v6, 16, v6
	v_lshrrev_b32_e32 v19, 16, v10
	s_mov_b64 s[40:41], 0
	s_delay_alu instid0(VALU_DEP_3)
	v_and_or_b32 v9, 0xffff0000, v9, v11
	v_and_or_b32 v10, 0xffff0000, v7, v18
	;; [unrolled: 1-line block ×4, first 2 shown]
	s_mov_b32 s89, -1
	scratch_store_b128 off, v[8:11], s33 offset:224
.LBB12_3929:                            ;   Parent Loop BB12_47 Depth=1
                                        ;     Parent Loop BB12_2999 Depth=2
                                        ;       Parent Loop BB12_3861 Depth=3
                                        ; =>      This Inner Loop Header: Depth=4
	s_cmp_eq_u32 s40, 1
	s_cselect_b32 vcc_lo, -1, 0
	s_cmp_eq_u32 s40, 0
	s_wait_xcnt 0x0
	v_dual_cndmask_b32 v7, v5, v13 :: v_dual_cndmask_b32 v6, v4, v12
	s_cselect_b32 s14, -1, 0
	s_and_b32 s15, exec_lo, s89
	s_mov_b64 s[40:41], 1
	s_mov_b32 s89, 0
	v_add_nc_u64_e32 v[18:19], 0x200, v[6:7]
	global_store_b128 v[6:7], v[8:11], off th:TH_STORE_NT
	v_dual_cndmask_b32 v13, v13, v19 :: v_dual_cndmask_b32 v12, v12, v18
	v_dual_cndmask_b32 v5, v5, v19, s14 :: v_dual_cndmask_b32 v4, v4, v18, s14
	s_mov_b32 vcc_lo, s15
	s_cbranch_vccnz .LBB12_3929
; %bb.3930:                             ;   in Loop: Header=BB12_3861 Depth=3
	scratch_load_b64 v[6:7], off, s33 offset:256 ; 8-byte Folded Reload
	s_wait_loadcnt 0x0
	v_add_nc_u64_e32 v[4:5], v[4:5], v[6:7]
	v_add_nc_u64_e32 v[12:13], v[12:13], v[6:7]
.LBB12_3931:                            ;   in Loop: Header=BB12_3861 Depth=3
	s_wait_xcnt 0x0
	s_or_b32 exec_lo, exec_lo, s90
	scratch_load_b64 v[6:7], off, s33 offset:256 ; 8-byte Folded Reload
	v_lshlrev_b32_e32 v0, 9, v60
	s_delay_alu instid0(VALU_DEP_1) | instskip(NEXT) | instid1(VALU_DEP_1)
	v_sub_nc_u32_e32 v2, v2, v0
	v_cmp_lt_i32_e64 s89, 15, v2
	s_wait_loadcnt 0x0
	v_add_nc_u64_e32 v[14:15], v[14:15], v[6:7]
	v_add_nc_u64_e32 v[16:17], v[16:17], v[6:7]
	s_wait_xcnt 0x0
	s_and_saveexec_b32 s90, s89
	s_cbranch_execz .LBB12_3934
; %bb.3932:                             ;   in Loop: Header=BB12_3861 Depth=3
	s_add_co_i32 s14, s33, 0xe0
	s_mov_b64 s[40:41], 0
	s_mov_b32 s91, s14
	s_mov_b32 s92, -1
.LBB12_3933:                            ;   Parent Loop BB12_47 Depth=1
                                        ;     Parent Loop BB12_2999 Depth=2
                                        ;       Parent Loop BB12_3861 Depth=3
                                        ; =>      This Inner Loop Header: Depth=4
	s_cmp_eq_u32 s40, 1
	s_cselect_b32 vcc_lo, -1, 0
	s_cmp_eq_u32 s40, 0
	v_dual_cndmask_b32 v11, v15, v17 :: v_dual_cndmask_b32 v10, v14, v16
	s_cselect_b32 s14, -1, 0
	s_and_b32 s15, exec_lo, s92
	s_mov_b64 s[40:41], 1
	s_mov_b32 s92, 0
	global_load_b128 v[6:9], v[10:11], off th:TH_LOAD_NT
	s_wait_xcnt 0x0
	v_add_nc_u64_e32 v[10:11], 0x200, v[10:11]
	s_delay_alu instid0(VALU_DEP_1)
	v_dual_cndmask_b32 v15, v15, v11, s14 :: v_dual_cndmask_b32 v14, v14, v10, s14
	v_dual_cndmask_b32 v17, v17, v11 :: v_dual_cndmask_b32 v16, v16, v10
	s_mov_b32 vcc_lo, s15
	s_wait_loadcnt 0x0
	scratch_store_b128 off, v[6:9], s91
	s_wait_xcnt 0x0
	s_mov_b32 s91, s57
	s_cbranch_vccnz .LBB12_3933
.LBB12_3934:                            ;   in Loop: Header=BB12_3861 Depth=3
	s_or_b32 exec_lo, exec_lo, s90
	scratch_load_b128 v[8:11], off, s33 offset:192
	s_wait_loadcnt 0x0
	v_lshlrev_b32_e32 v0, 16, v8
	s_delay_alu instid0(VALU_DEP_1) | instskip(NEXT) | instid1(VALU_DEP_1)
	v_mul_f32_e32 v0, v1, v0
	v_and_b32_e32 v6, 0x7f800000, v0
	s_delay_alu instid0(VALU_DEP_1) | instskip(SKIP_2) | instid1(SALU_CYCLE_1)
	v_cmp_ne_u32_e32 vcc_lo, 0x7f800000, v6
                                        ; implicit-def: $vgpr6
	s_wait_xcnt 0x0
	s_and_saveexec_b32 s14, vcc_lo
	s_xor_b32 s14, exec_lo, s14
; %bb.3935:                             ;   in Loop: Header=BB12_3861 Depth=3
	v_bfe_u32 v6, v0, 16, 1
	s_delay_alu instid0(VALU_DEP_1)
	v_add3_u32 v6, v0, v6, 0x7fff
                                        ; implicit-def: $vgpr0
; %bb.3936:                             ;   in Loop: Header=BB12_3861 Depth=3
	s_and_not1_saveexec_b32 s14, s14
; %bb.3937:                             ;   in Loop: Header=BB12_3861 Depth=3
	v_and_b32_e32 v6, 0xffff, v0
	v_or_b32_e32 v7, 0x10000, v0
	s_delay_alu instid0(VALU_DEP_2) | instskip(NEXT) | instid1(VALU_DEP_2)
	v_cmp_eq_u32_e32 vcc_lo, 0, v6
	v_cndmask_b32_e32 v6, v7, v0, vcc_lo
; %bb.3938:                             ;   in Loop: Header=BB12_3861 Depth=3
	s_or_b32 exec_lo, exec_lo, s14
	v_and_b32_e32 v0, 0xffff0000, v8
	s_mov_b32 s14, exec_lo
                                        ; implicit-def: $vgpr18
	s_delay_alu instid0(VALU_DEP_1) | instskip(NEXT) | instid1(VALU_DEP_1)
	v_mul_f32_e32 v0, v1, v0
	v_and_b32_e32 v7, 0x7f800000, v0
	s_delay_alu instid0(VALU_DEP_1)
	v_cmpx_ne_u32_e32 0x7f800000, v7
	s_xor_b32 s14, exec_lo, s14
; %bb.3939:                             ;   in Loop: Header=BB12_3861 Depth=3
	v_bfe_u32 v7, v0, 16, 1
	s_delay_alu instid0(VALU_DEP_1)
	v_add3_u32 v18, v0, v7, 0x7fff
                                        ; implicit-def: $vgpr0
; %bb.3940:                             ;   in Loop: Header=BB12_3861 Depth=3
	s_and_not1_saveexec_b32 s14, s14
; %bb.3941:                             ;   in Loop: Header=BB12_3861 Depth=3
	v_and_b32_e32 v7, 0xffff, v0
	v_or_b32_e32 v8, 0x10000, v0
	s_delay_alu instid0(VALU_DEP_2) | instskip(NEXT) | instid1(VALU_DEP_2)
	v_cmp_eq_u32_e32 vcc_lo, 0, v7
	v_cndmask_b32_e32 v18, v8, v0, vcc_lo
; %bb.3942:                             ;   in Loop: Header=BB12_3861 Depth=3
	s_or_b32 exec_lo, exec_lo, s14
	v_lshlrev_b32_e32 v0, 16, v9
	s_mov_b32 s14, exec_lo
                                        ; implicit-def: $vgpr29
	s_delay_alu instid0(VALU_DEP_1) | instskip(NEXT) | instid1(VALU_DEP_1)
	v_mul_f32_e32 v0, v1, v0
	v_and_b32_e32 v7, 0x7f800000, v0
	s_delay_alu instid0(VALU_DEP_1)
	v_cmpx_ne_u32_e32 0x7f800000, v7
	s_xor_b32 s14, exec_lo, s14
; %bb.3943:                             ;   in Loop: Header=BB12_3861 Depth=3
	v_bfe_u32 v7, v0, 16, 1
	s_delay_alu instid0(VALU_DEP_1)
	v_add3_u32 v29, v0, v7, 0x7fff
                                        ; implicit-def: $vgpr0
; %bb.3944:                             ;   in Loop: Header=BB12_3861 Depth=3
	s_and_not1_saveexec_b32 s14, s14
; %bb.3945:                             ;   in Loop: Header=BB12_3861 Depth=3
	v_and_b32_e32 v7, 0xffff, v0
	v_or_b32_e32 v8, 0x10000, v0
	s_delay_alu instid0(VALU_DEP_2) | instskip(NEXT) | instid1(VALU_DEP_2)
	v_cmp_eq_u32_e32 vcc_lo, 0, v7
	v_cndmask_b32_e32 v29, v8, v0, vcc_lo
; %bb.3946:                             ;   in Loop: Header=BB12_3861 Depth=3
	s_or_b32 exec_lo, exec_lo, s14
	v_and_b32_e32 v0, 0xffff0000, v9
	s_mov_b32 s14, exec_lo
                                        ; implicit-def: $vgpr26
	s_delay_alu instid0(VALU_DEP_1) | instskip(NEXT) | instid1(VALU_DEP_1)
	v_mul_f32_e32 v0, v1, v0
	v_and_b32_e32 v7, 0x7f800000, v0
	s_delay_alu instid0(VALU_DEP_1)
	v_cmpx_ne_u32_e32 0x7f800000, v7
	s_xor_b32 s14, exec_lo, s14
; %bb.3947:                             ;   in Loop: Header=BB12_3861 Depth=3
	v_bfe_u32 v7, v0, 16, 1
	s_delay_alu instid0(VALU_DEP_1)
	v_add3_u32 v26, v0, v7, 0x7fff
                                        ; implicit-def: $vgpr0
; %bb.3948:                             ;   in Loop: Header=BB12_3861 Depth=3
	s_and_not1_saveexec_b32 s14, s14
; %bb.3949:                             ;   in Loop: Header=BB12_3861 Depth=3
	v_and_b32_e32 v7, 0xffff, v0
	v_or_b32_e32 v8, 0x10000, v0
	s_delay_alu instid0(VALU_DEP_2) | instskip(NEXT) | instid1(VALU_DEP_2)
	v_cmp_eq_u32_e32 vcc_lo, 0, v7
	v_cndmask_b32_e32 v26, v8, v0, vcc_lo
; %bb.3950:                             ;   in Loop: Header=BB12_3861 Depth=3
	s_or_b32 exec_lo, exec_lo, s14
	v_lshlrev_b32_e32 v0, 16, v10
	s_mov_b32 s14, exec_lo
                                        ; implicit-def: $vgpr27
	s_delay_alu instid0(VALU_DEP_1) | instskip(NEXT) | instid1(VALU_DEP_1)
	v_mul_f32_e32 v0, v1, v0
	v_and_b32_e32 v7, 0x7f800000, v0
	s_delay_alu instid0(VALU_DEP_1)
	v_cmpx_ne_u32_e32 0x7f800000, v7
	s_xor_b32 s14, exec_lo, s14
; %bb.3951:                             ;   in Loop: Header=BB12_3861 Depth=3
	v_bfe_u32 v7, v0, 16, 1
	s_delay_alu instid0(VALU_DEP_1)
	v_add3_u32 v27, v0, v7, 0x7fff
                                        ; implicit-def: $vgpr0
; %bb.3952:                             ;   in Loop: Header=BB12_3861 Depth=3
	s_and_not1_saveexec_b32 s14, s14
; %bb.3953:                             ;   in Loop: Header=BB12_3861 Depth=3
	v_and_b32_e32 v7, 0xffff, v0
	v_or_b32_e32 v8, 0x10000, v0
	s_delay_alu instid0(VALU_DEP_2) | instskip(NEXT) | instid1(VALU_DEP_2)
	v_cmp_eq_u32_e32 vcc_lo, 0, v7
	v_cndmask_b32_e32 v27, v8, v0, vcc_lo
; %bb.3954:                             ;   in Loop: Header=BB12_3861 Depth=3
	s_or_b32 exec_lo, exec_lo, s14
	v_and_b32_e32 v0, 0xffff0000, v10
	s_delay_alu instid0(VALU_DEP_1) | instskip(NEXT) | instid1(VALU_DEP_1)
	v_mul_f32_e32 v0, v1, v0
	v_and_b32_e32 v7, 0x7f800000, v0
	s_delay_alu instid0(VALU_DEP_1) | instskip(SKIP_1) | instid1(SALU_CYCLE_1)
	v_cmp_ne_u32_e32 vcc_lo, 0x7f800000, v7
                                        ; implicit-def: $vgpr7
	s_and_saveexec_b32 s14, vcc_lo
	s_xor_b32 s14, exec_lo, s14
; %bb.3955:                             ;   in Loop: Header=BB12_3861 Depth=3
	v_bfe_u32 v7, v0, 16, 1
	s_delay_alu instid0(VALU_DEP_1)
	v_add3_u32 v7, v0, v7, 0x7fff
                                        ; implicit-def: $vgpr0
; %bb.3956:                             ;   in Loop: Header=BB12_3861 Depth=3
	s_and_not1_saveexec_b32 s14, s14
; %bb.3957:                             ;   in Loop: Header=BB12_3861 Depth=3
	v_and_b32_e32 v7, 0xffff, v0
	v_or_b32_e32 v8, 0x10000, v0
	s_delay_alu instid0(VALU_DEP_2) | instskip(NEXT) | instid1(VALU_DEP_2)
	v_cmp_eq_u32_e32 vcc_lo, 0, v7
	v_cndmask_b32_e32 v7, v8, v0, vcc_lo
; %bb.3958:                             ;   in Loop: Header=BB12_3861 Depth=3
	s_or_b32 exec_lo, exec_lo, s14
	v_lshlrev_b32_e32 v0, 16, v11
	s_mov_b32 s14, exec_lo
                                        ; implicit-def: $vgpr25
	s_delay_alu instid0(VALU_DEP_1) | instskip(NEXT) | instid1(VALU_DEP_1)
	v_mul_f32_e32 v0, v1, v0
	v_and_b32_e32 v8, 0x7f800000, v0
	s_delay_alu instid0(VALU_DEP_1)
	v_cmpx_ne_u32_e32 0x7f800000, v8
	s_xor_b32 s14, exec_lo, s14
; %bb.3959:                             ;   in Loop: Header=BB12_3861 Depth=3
	v_bfe_u32 v8, v0, 16, 1
	s_delay_alu instid0(VALU_DEP_1)
	v_add3_u32 v25, v0, v8, 0x7fff
                                        ; implicit-def: $vgpr0
; %bb.3960:                             ;   in Loop: Header=BB12_3861 Depth=3
	s_and_not1_saveexec_b32 s14, s14
; %bb.3961:                             ;   in Loop: Header=BB12_3861 Depth=3
	v_and_b32_e32 v8, 0xffff, v0
	v_or_b32_e32 v9, 0x10000, v0
	s_delay_alu instid0(VALU_DEP_2) | instskip(NEXT) | instid1(VALU_DEP_2)
	v_cmp_eq_u32_e32 vcc_lo, 0, v8
	v_cndmask_b32_e32 v25, v9, v0, vcc_lo
; %bb.3962:                             ;   in Loop: Header=BB12_3861 Depth=3
	s_or_b32 exec_lo, exec_lo, s14
	v_and_b32_e32 v0, 0xffff0000, v11
	s_delay_alu instid0(VALU_DEP_1) | instskip(NEXT) | instid1(VALU_DEP_1)
	v_mul_f32_e32 v8, v1, v0
	v_and_b32_e32 v0, 0x7f800000, v8
	s_delay_alu instid0(VALU_DEP_1) | instskip(SKIP_1) | instid1(SALU_CYCLE_1)
	v_cmp_ne_u32_e32 vcc_lo, 0x7f800000, v0
                                        ; implicit-def: $vgpr0
	s_and_saveexec_b32 s14, vcc_lo
	s_xor_b32 s14, exec_lo, s14
; %bb.3963:                             ;   in Loop: Header=BB12_3861 Depth=3
	v_bfe_u32 v0, v8, 16, 1
	s_delay_alu instid0(VALU_DEP_1)
	v_add3_u32 v0, v8, v0, 0x7fff
                                        ; implicit-def: $vgpr8
; %bb.3964:                             ;   in Loop: Header=BB12_3861 Depth=3
	s_and_not1_saveexec_b32 s14, s14
; %bb.3965:                             ;   in Loop: Header=BB12_3861 Depth=3
	v_and_b32_e32 v0, 0xffff, v8
	v_or_b32_e32 v9, 0x10000, v8
	s_delay_alu instid0(VALU_DEP_2) | instskip(NEXT) | instid1(VALU_DEP_2)
	v_cmp_eq_u32_e32 vcc_lo, 0, v0
	v_cndmask_b32_e32 v0, v9, v8, vcc_lo
; %bb.3966:                             ;   in Loop: Header=BB12_3861 Depth=3
	s_or_b32 exec_lo, exec_lo, s14
	scratch_load_b128 v[8:11], off, s33 offset:208
	v_and_b32_e32 v6, 0xffff0000, v6
	s_wait_loadcnt 0x0
	v_lshlrev_b32_e32 v19, 16, v8
	s_delay_alu instid0(VALU_DEP_1) | instskip(NEXT) | instid1(VALU_DEP_1)
	v_add_f32_e32 v19, v6, v19
	v_and_b32_e32 v6, 0x7f800000, v19
	s_delay_alu instid0(VALU_DEP_1) | instskip(SKIP_2) | instid1(SALU_CYCLE_1)
	v_cmp_ne_u32_e32 vcc_lo, 0x7f800000, v6
                                        ; implicit-def: $vgpr6
	s_wait_xcnt 0x0
	s_and_saveexec_b32 s14, vcc_lo
	s_xor_b32 s14, exec_lo, s14
; %bb.3967:                             ;   in Loop: Header=BB12_3861 Depth=3
	v_bfe_u32 v6, v19, 16, 1
	s_delay_alu instid0(VALU_DEP_1)
	v_add3_u32 v6, v19, v6, 0x7fff
                                        ; implicit-def: $vgpr19
; %bb.3968:                             ;   in Loop: Header=BB12_3861 Depth=3
	s_and_not1_saveexec_b32 s14, s14
; %bb.3969:                             ;   in Loop: Header=BB12_3861 Depth=3
	v_and_b32_e32 v6, 0xffff, v19
	v_or_b32_e32 v30, 0x10000, v19
	s_delay_alu instid0(VALU_DEP_2) | instskip(NEXT) | instid1(VALU_DEP_2)
	v_cmp_eq_u32_e32 vcc_lo, 0, v6
	v_cndmask_b32_e32 v6, v30, v19, vcc_lo
; %bb.3970:                             ;   in Loop: Header=BB12_3861 Depth=3
	s_or_b32 exec_lo, exec_lo, s14
	v_and_b32_e32 v19, 0xffff0000, v8
	v_and_b32_e32 v18, 0xffff0000, v18
	s_delay_alu instid0(VALU_DEP_2) | instskip(NEXT) | instid1(VALU_DEP_1)
	v_mov_b32_e32 v8, v19
	v_pk_add_f32 v[18:19], v[8:9], v[18:19]
	s_delay_alu instid0(VALU_DEP_1) | instskip(NEXT) | instid1(VALU_DEP_1)
	v_and_b32_e32 v8, 0x7f800000, v18
	v_cmp_ne_u32_e32 vcc_lo, 0x7f800000, v8
                                        ; implicit-def: $vgpr8
	s_and_saveexec_b32 s14, vcc_lo
	s_delay_alu instid0(SALU_CYCLE_1)
	s_xor_b32 s14, exec_lo, s14
; %bb.3971:                             ;   in Loop: Header=BB12_3861 Depth=3
	v_bfe_u32 v8, v18, 16, 1
	s_delay_alu instid0(VALU_DEP_1)
	v_add3_u32 v8, v18, v8, 0x7fff
                                        ; implicit-def: $vgpr18_vgpr19
; %bb.3972:                             ;   in Loop: Header=BB12_3861 Depth=3
	s_and_not1_saveexec_b32 s14, s14
; %bb.3973:                             ;   in Loop: Header=BB12_3861 Depth=3
	v_and_b32_e32 v8, 0xffff, v18
	v_or_b32_e32 v19, 0x10000, v18
	s_delay_alu instid0(VALU_DEP_2) | instskip(NEXT) | instid1(VALU_DEP_2)
	v_cmp_eq_u32_e32 vcc_lo, 0, v8
	v_cndmask_b32_e32 v8, v19, v18, vcc_lo
; %bb.3974:                             ;   in Loop: Header=BB12_3861 Depth=3
	s_or_b32 exec_lo, exec_lo, s14
	v_and_b32_e32 v18, 0xffff0000, v29
	v_lshlrev_b32_e32 v19, 16, v9
	s_delay_alu instid0(VALU_DEP_1) | instskip(NEXT) | instid1(VALU_DEP_1)
	v_add_f32_e32 v19, v18, v19
	v_and_b32_e32 v18, 0x7f800000, v19
	s_delay_alu instid0(VALU_DEP_1) | instskip(SKIP_1) | instid1(SALU_CYCLE_1)
	v_cmp_ne_u32_e32 vcc_lo, 0x7f800000, v18
                                        ; implicit-def: $vgpr18
	s_and_saveexec_b32 s14, vcc_lo
	s_xor_b32 s14, exec_lo, s14
; %bb.3975:                             ;   in Loop: Header=BB12_3861 Depth=3
	v_bfe_u32 v18, v19, 16, 1
	s_delay_alu instid0(VALU_DEP_1)
	v_add3_u32 v18, v19, v18, 0x7fff
                                        ; implicit-def: $vgpr19
; %bb.3976:                             ;   in Loop: Header=BB12_3861 Depth=3
	s_and_not1_saveexec_b32 s14, s14
; %bb.3977:                             ;   in Loop: Header=BB12_3861 Depth=3
	v_and_b32_e32 v18, 0xffff, v19
	v_or_b32_e32 v29, 0x10000, v19
	s_delay_alu instid0(VALU_DEP_2) | instskip(NEXT) | instid1(VALU_DEP_2)
	v_cmp_eq_u32_e32 vcc_lo, 0, v18
	v_cndmask_b32_e32 v18, v29, v19, vcc_lo
; %bb.3978:                             ;   in Loop: Header=BB12_3861 Depth=3
	s_or_b32 exec_lo, exec_lo, s14
	v_and_b32_e32 v9, 0xffff0000, v9
	v_and_b32_e32 v19, 0xffff0000, v26
	s_delay_alu instid0(VALU_DEP_1) | instskip(NEXT) | instid1(VALU_DEP_1)
	v_add_f32_e32 v19, v19, v9
	v_and_b32_e32 v9, 0x7f800000, v19
	s_delay_alu instid0(VALU_DEP_1) | instskip(SKIP_1) | instid1(SALU_CYCLE_1)
	v_cmp_ne_u32_e32 vcc_lo, 0x7f800000, v9
                                        ; implicit-def: $vgpr9
	s_and_saveexec_b32 s14, vcc_lo
	s_xor_b32 s14, exec_lo, s14
; %bb.3979:                             ;   in Loop: Header=BB12_3861 Depth=3
	v_bfe_u32 v9, v19, 16, 1
	s_delay_alu instid0(VALU_DEP_1)
	v_add3_u32 v9, v19, v9, 0x7fff
                                        ; implicit-def: $vgpr19
; %bb.3980:                             ;   in Loop: Header=BB12_3861 Depth=3
	s_and_not1_saveexec_b32 s14, s14
; %bb.3981:                             ;   in Loop: Header=BB12_3861 Depth=3
	v_and_b32_e32 v9, 0xffff, v19
	v_or_b32_e32 v26, 0x10000, v19
	s_delay_alu instid0(VALU_DEP_2) | instskip(NEXT) | instid1(VALU_DEP_2)
	v_cmp_eq_u32_e32 vcc_lo, 0, v9
	v_cndmask_b32_e32 v9, v26, v19, vcc_lo
; %bb.3982:                             ;   in Loop: Header=BB12_3861 Depth=3
	s_or_b32 exec_lo, exec_lo, s14
	v_and_b32_e32 v19, 0xffff0000, v27
	v_lshlrev_b32_e32 v26, 16, v10
	s_delay_alu instid0(VALU_DEP_1) | instskip(NEXT) | instid1(VALU_DEP_1)
	v_add_f32_e32 v26, v19, v26
	v_and_b32_e32 v19, 0x7f800000, v26
	s_delay_alu instid0(VALU_DEP_1) | instskip(SKIP_1) | instid1(SALU_CYCLE_1)
	v_cmp_ne_u32_e32 vcc_lo, 0x7f800000, v19
                                        ; implicit-def: $vgpr19
	s_and_saveexec_b32 s14, vcc_lo
	s_xor_b32 s14, exec_lo, s14
; %bb.3983:                             ;   in Loop: Header=BB12_3861 Depth=3
	v_bfe_u32 v19, v26, 16, 1
	s_delay_alu instid0(VALU_DEP_1)
	v_add3_u32 v19, v26, v19, 0x7fff
                                        ; implicit-def: $vgpr26
; %bb.3984:                             ;   in Loop: Header=BB12_3861 Depth=3
	s_and_not1_saveexec_b32 s14, s14
; %bb.3985:                             ;   in Loop: Header=BB12_3861 Depth=3
	v_and_b32_e32 v19, 0xffff, v26
	v_or_b32_e32 v27, 0x10000, v26
	s_delay_alu instid0(VALU_DEP_2) | instskip(NEXT) | instid1(VALU_DEP_2)
	v_cmp_eq_u32_e32 vcc_lo, 0, v19
	v_cndmask_b32_e32 v19, v27, v26, vcc_lo
; %bb.3986:                             ;   in Loop: Header=BB12_3861 Depth=3
	s_or_b32 exec_lo, exec_lo, s14
	v_and_b32_e32 v10, 0xffff0000, v10
	v_and_b32_e32 v7, 0xffff0000, v7
	s_delay_alu instid0(VALU_DEP_1) | instskip(NEXT) | instid1(VALU_DEP_1)
	v_add_f32_e32 v10, v7, v10
	v_and_b32_e32 v7, 0x7f800000, v10
	s_delay_alu instid0(VALU_DEP_1) | instskip(SKIP_1) | instid1(SALU_CYCLE_1)
	v_cmp_ne_u32_e32 vcc_lo, 0x7f800000, v7
                                        ; implicit-def: $vgpr7
	s_and_saveexec_b32 s14, vcc_lo
	s_xor_b32 s14, exec_lo, s14
; %bb.3987:                             ;   in Loop: Header=BB12_3861 Depth=3
	v_bfe_u32 v7, v10, 16, 1
	s_delay_alu instid0(VALU_DEP_1)
	v_add3_u32 v7, v10, v7, 0x7fff
                                        ; implicit-def: $vgpr10
; %bb.3988:                             ;   in Loop: Header=BB12_3861 Depth=3
	s_and_not1_saveexec_b32 s14, s14
; %bb.3989:                             ;   in Loop: Header=BB12_3861 Depth=3
	v_and_b32_e32 v7, 0xffff, v10
	v_or_b32_e32 v26, 0x10000, v10
	s_delay_alu instid0(VALU_DEP_2) | instskip(NEXT) | instid1(VALU_DEP_2)
	v_cmp_eq_u32_e32 vcc_lo, 0, v7
	v_cndmask_b32_e32 v7, v26, v10, vcc_lo
; %bb.3990:                             ;   in Loop: Header=BB12_3861 Depth=3
	s_or_b32 exec_lo, exec_lo, s14
	v_and_b32_e32 v10, 0xffff0000, v25
	v_lshlrev_b32_e32 v25, 16, v11
	s_delay_alu instid0(VALU_DEP_1) | instskip(NEXT) | instid1(VALU_DEP_1)
	v_add_f32_e32 v25, v10, v25
	v_and_b32_e32 v10, 0x7f800000, v25
	s_delay_alu instid0(VALU_DEP_1) | instskip(SKIP_1) | instid1(SALU_CYCLE_1)
	v_cmp_ne_u32_e32 vcc_lo, 0x7f800000, v10
                                        ; implicit-def: $vgpr10
	s_and_saveexec_b32 s14, vcc_lo
	s_xor_b32 s14, exec_lo, s14
; %bb.3991:                             ;   in Loop: Header=BB12_3861 Depth=3
	v_bfe_u32 v10, v25, 16, 1
	s_delay_alu instid0(VALU_DEP_1)
	v_add3_u32 v10, v25, v10, 0x7fff
                                        ; implicit-def: $vgpr25
; %bb.3992:                             ;   in Loop: Header=BB12_3861 Depth=3
	s_and_not1_saveexec_b32 s14, s14
; %bb.3993:                             ;   in Loop: Header=BB12_3861 Depth=3
	v_and_b32_e32 v10, 0xffff, v25
	v_or_b32_e32 v26, 0x10000, v25
	s_delay_alu instid0(VALU_DEP_2) | instskip(NEXT) | instid1(VALU_DEP_2)
	v_cmp_eq_u32_e32 vcc_lo, 0, v10
	v_cndmask_b32_e32 v10, v26, v25, vcc_lo
; %bb.3994:                             ;   in Loop: Header=BB12_3861 Depth=3
	s_or_b32 exec_lo, exec_lo, s14
	v_and_b32_e32 v11, 0xffff0000, v11
	v_and_b32_e32 v0, 0xffff0000, v0
	s_delay_alu instid0(VALU_DEP_1) | instskip(NEXT) | instid1(VALU_DEP_1)
	v_add_f32_e32 v11, v0, v11
	v_and_b32_e32 v0, 0x7f800000, v11
	s_delay_alu instid0(VALU_DEP_1) | instskip(SKIP_1) | instid1(SALU_CYCLE_1)
	v_cmp_ne_u32_e32 vcc_lo, 0x7f800000, v0
                                        ; implicit-def: $vgpr0
	s_and_saveexec_b32 s14, vcc_lo
	s_xor_b32 s14, exec_lo, s14
; %bb.3995:                             ;   in Loop: Header=BB12_3861 Depth=3
	v_bfe_u32 v0, v11, 16, 1
	s_delay_alu instid0(VALU_DEP_1)
	v_add3_u32 v0, v11, v0, 0x7fff
                                        ; implicit-def: $vgpr11
; %bb.3996:                             ;   in Loop: Header=BB12_3861 Depth=3
	s_and_not1_saveexec_b32 s14, s14
; %bb.3997:                             ;   in Loop: Header=BB12_3861 Depth=3
	v_and_b32_e32 v0, 0xffff, v11
	v_or_b32_e32 v25, 0x10000, v11
	s_delay_alu instid0(VALU_DEP_2) | instskip(NEXT) | instid1(VALU_DEP_2)
	v_cmp_eq_u32_e32 vcc_lo, 0, v0
	v_cndmask_b32_e32 v0, v25, v11, vcc_lo
; %bb.3998:                             ;   in Loop: Header=BB12_3861 Depth=3
	s_or_b32 exec_lo, exec_lo, s14
	v_dual_lshrrev_b32 v11, 16, v18 :: v_dual_lshrrev_b32 v18, 16, v19
	v_lshrrev_b32_e32 v6, 16, v6
	v_lshrrev_b32_e32 v19, 16, v10
	s_mov_b64 s[40:41], 0
	s_delay_alu instid0(VALU_DEP_3)
	v_and_or_b32 v9, 0xffff0000, v9, v11
	v_and_or_b32 v10, 0xffff0000, v7, v18
	;; [unrolled: 1-line block ×4, first 2 shown]
	s_mov_b32 s90, -1
	scratch_store_b128 off, v[8:11], s33 offset:192
.LBB12_3999:                            ;   Parent Loop BB12_47 Depth=1
                                        ;     Parent Loop BB12_2999 Depth=2
                                        ;       Parent Loop BB12_3861 Depth=3
                                        ; =>      This Inner Loop Header: Depth=4
	s_cmp_eq_u32 s40, 1
	s_cselect_b32 vcc_lo, -1, 0
	s_cmp_eq_u32 s40, 0
	s_wait_xcnt 0x0
	v_dual_cndmask_b32 v7, v5, v13 :: v_dual_cndmask_b32 v6, v4, v12
	s_cselect_b32 s14, -1, 0
	s_and_b32 s15, exec_lo, s90
	s_mov_b64 s[40:41], 1
	s_mov_b32 s90, 0
	v_add_nc_u64_e32 v[18:19], 0x200, v[6:7]
	global_store_b128 v[6:7], v[8:11], off th:TH_STORE_NT
	v_dual_cndmask_b32 v13, v13, v19 :: v_dual_cndmask_b32 v12, v12, v18
	v_dual_cndmask_b32 v5, v5, v19, s14 :: v_dual_cndmask_b32 v4, v4, v18, s14
	s_mov_b32 vcc_lo, s15
	s_cbranch_vccnz .LBB12_3999
; %bb.4000:                             ;   in Loop: Header=BB12_3861 Depth=3
	v_sub_nc_u32_e32 v24, v24, v60
	s_wait_xcnt 0x0
	s_and_saveexec_b32 s14, s89
	s_cbranch_execz .LBB12_3860
; %bb.4001:                             ;   in Loop: Header=BB12_3861 Depth=3
	scratch_load_b64 v[6:7], off, s33 offset:256 ; 8-byte Folded Reload
	v_dual_lshlrev_b32 v0, 9, v60 :: v_dual_sub_nc_u32 v24, v24, v60
	s_delay_alu instid0(VALU_DEP_1)
	v_sub_nc_u32_e32 v2, v2, v0
	s_wait_loadcnt 0x0
	v_add_nc_u64_e32 v[4:5], v[4:5], v[6:7]
	v_add_nc_u64_e32 v[12:13], v[12:13], v[6:7]
	;; [unrolled: 1-line block ×4, first 2 shown]
	s_branch .LBB12_3860
.LBB12_4002:                            ;   in Loop: Header=BB12_2999 Depth=2
	s_or_b32 exec_lo, exec_lo, s79
	s_delay_alu instid0(SALU_CYCLE_1)
	s_and_b32 s14, s88, exec_lo
.LBB12_4003:                            ;   in Loop: Header=BB12_2999 Depth=2
	s_or_b32 exec_lo, exec_lo, s78
	s_and_saveexec_b32 s78, s14
	s_cbranch_execz .LBB12_4070
; %bb.4004:                             ;   in Loop: Header=BB12_2999 Depth=2
	s_trap 2
	scratch_load_b128 v[8:11], off, s33 offset:224
	ds_load_b32 v0, v0
	s_wait_dscnt 0x0
	v_lshlrev_b32_e32 v0, 16, v0
	s_wait_loadcnt 0x0
	v_lshlrev_b32_e32 v1, 16, v8
	s_delay_alu instid0(VALU_DEP_1) | instskip(NEXT) | instid1(VALU_DEP_1)
	v_mul_f32_e32 v2, v0, v1
	v_and_b32_e32 v1, 0x7f800000, v2
	s_delay_alu instid0(VALU_DEP_1) | instskip(SKIP_2) | instid1(SALU_CYCLE_1)
	v_cmp_ne_u32_e32 vcc_lo, 0x7f800000, v1
                                        ; implicit-def: $vgpr1
	s_wait_xcnt 0x0
	s_and_saveexec_b32 s14, vcc_lo
	s_xor_b32 s14, exec_lo, s14
; %bb.4005:                             ;   in Loop: Header=BB12_2999 Depth=2
	v_bfe_u32 v1, v2, 16, 1
	s_delay_alu instid0(VALU_DEP_1)
	v_add3_u32 v1, v2, v1, 0x7fff
                                        ; implicit-def: $vgpr2
; %bb.4006:                             ;   in Loop: Header=BB12_2999 Depth=2
	s_and_not1_saveexec_b32 s14, s14
; %bb.4007:                             ;   in Loop: Header=BB12_2999 Depth=2
	v_and_b32_e32 v1, 0xffff, v2
	v_or_b32_e32 v6, 0x10000, v2
	s_delay_alu instid0(VALU_DEP_2) | instskip(NEXT) | instid1(VALU_DEP_2)
	v_cmp_eq_u32_e32 vcc_lo, 0, v1
	v_cndmask_b32_e32 v1, v6, v2, vcc_lo
; %bb.4008:                             ;   in Loop: Header=BB12_2999 Depth=2
	s_or_b32 exec_lo, exec_lo, s14
	v_and_b32_e32 v2, 0xffff0000, v8
	s_mov_b32 s14, exec_lo
                                        ; implicit-def: $vgpr14
	s_delay_alu instid0(VALU_DEP_1) | instskip(NEXT) | instid1(VALU_DEP_1)
	v_mul_f32_e32 v2, v0, v2
	v_and_b32_e32 v6, 0x7f800000, v2
	s_delay_alu instid0(VALU_DEP_1)
	v_cmpx_ne_u32_e32 0x7f800000, v6
	s_xor_b32 s14, exec_lo, s14
; %bb.4009:                             ;   in Loop: Header=BB12_2999 Depth=2
	v_bfe_u32 v6, v2, 16, 1
	s_delay_alu instid0(VALU_DEP_1)
	v_add3_u32 v14, v2, v6, 0x7fff
                                        ; implicit-def: $vgpr2
; %bb.4010:                             ;   in Loop: Header=BB12_2999 Depth=2
	s_and_not1_saveexec_b32 s14, s14
; %bb.4011:                             ;   in Loop: Header=BB12_2999 Depth=2
	v_and_b32_e32 v6, 0xffff, v2
	v_or_b32_e32 v7, 0x10000, v2
	s_delay_alu instid0(VALU_DEP_2) | instskip(NEXT) | instid1(VALU_DEP_2)
	v_cmp_eq_u32_e32 vcc_lo, 0, v6
	v_cndmask_b32_e32 v14, v7, v2, vcc_lo
; %bb.4012:                             ;   in Loop: Header=BB12_2999 Depth=2
	s_or_b32 exec_lo, exec_lo, s14
	v_lshlrev_b32_e32 v2, 16, v9
	s_mov_b32 s14, exec_lo
                                        ; implicit-def: $vgpr17
	s_delay_alu instid0(VALU_DEP_1) | instskip(NEXT) | instid1(VALU_DEP_1)
	v_mul_f32_e32 v2, v0, v2
	v_and_b32_e32 v6, 0x7f800000, v2
	s_delay_alu instid0(VALU_DEP_1)
	v_cmpx_ne_u32_e32 0x7f800000, v6
	s_xor_b32 s14, exec_lo, s14
; %bb.4013:                             ;   in Loop: Header=BB12_2999 Depth=2
	v_bfe_u32 v6, v2, 16, 1
	s_delay_alu instid0(VALU_DEP_1)
	v_add3_u32 v17, v2, v6, 0x7fff
                                        ; implicit-def: $vgpr2
; %bb.4014:                             ;   in Loop: Header=BB12_2999 Depth=2
	s_and_not1_saveexec_b32 s14, s14
; %bb.4015:                             ;   in Loop: Header=BB12_2999 Depth=2
	v_and_b32_e32 v6, 0xffff, v2
	v_or_b32_e32 v7, 0x10000, v2
	s_delay_alu instid0(VALU_DEP_2) | instskip(NEXT) | instid1(VALU_DEP_2)
	v_cmp_eq_u32_e32 vcc_lo, 0, v6
	v_cndmask_b32_e32 v17, v7, v2, vcc_lo
; %bb.4016:                             ;   in Loop: Header=BB12_2999 Depth=2
	s_or_b32 exec_lo, exec_lo, s14
	v_and_b32_e32 v2, 0xffff0000, v9
	s_mov_b32 s14, exec_lo
                                        ; implicit-def: $vgpr7
	s_delay_alu instid0(VALU_DEP_1) | instskip(NEXT) | instid1(VALU_DEP_1)
	v_mul_f32_e32 v2, v0, v2
	v_and_b32_e32 v6, 0x7f800000, v2
	s_delay_alu instid0(VALU_DEP_1)
	v_cmpx_ne_u32_e32 0x7f800000, v6
	s_xor_b32 s14, exec_lo, s14
; %bb.4017:                             ;   in Loop: Header=BB12_2999 Depth=2
	v_bfe_u32 v6, v2, 16, 1
	s_delay_alu instid0(VALU_DEP_1)
	v_add3_u32 v7, v2, v6, 0x7fff
                                        ; implicit-def: $vgpr2
; %bb.4018:                             ;   in Loop: Header=BB12_2999 Depth=2
	s_and_not1_saveexec_b32 s14, s14
; %bb.4019:                             ;   in Loop: Header=BB12_2999 Depth=2
	v_and_b32_e32 v6, 0xffff, v2
	v_or_b32_e32 v7, 0x10000, v2
	s_delay_alu instid0(VALU_DEP_2) | instskip(NEXT) | instid1(VALU_DEP_2)
	v_cmp_eq_u32_e32 vcc_lo, 0, v6
	v_cndmask_b32_e32 v7, v7, v2, vcc_lo
; %bb.4020:                             ;   in Loop: Header=BB12_2999 Depth=2
	s_or_b32 exec_lo, exec_lo, s14
	v_lshlrev_b32_e32 v2, 16, v10
	s_mov_b32 s14, exec_lo
                                        ; implicit-def: $vgpr16
	s_delay_alu instid0(VALU_DEP_1) | instskip(NEXT) | instid1(VALU_DEP_1)
	v_mul_f32_e32 v2, v0, v2
	v_and_b32_e32 v6, 0x7f800000, v2
	s_delay_alu instid0(VALU_DEP_1)
	v_cmpx_ne_u32_e32 0x7f800000, v6
	s_xor_b32 s14, exec_lo, s14
; %bb.4021:                             ;   in Loop: Header=BB12_2999 Depth=2
	v_bfe_u32 v6, v2, 16, 1
	s_delay_alu instid0(VALU_DEP_1)
	v_add3_u32 v16, v2, v6, 0x7fff
                                        ; implicit-def: $vgpr2
; %bb.4022:                             ;   in Loop: Header=BB12_2999 Depth=2
	s_and_not1_saveexec_b32 s14, s14
; %bb.4023:                             ;   in Loop: Header=BB12_2999 Depth=2
	v_and_b32_e32 v6, 0xffff, v2
	v_or_b32_e32 v8, 0x10000, v2
	s_delay_alu instid0(VALU_DEP_2) | instskip(NEXT) | instid1(VALU_DEP_2)
	v_cmp_eq_u32_e32 vcc_lo, 0, v6
	v_cndmask_b32_e32 v16, v8, v2, vcc_lo
; %bb.4024:                             ;   in Loop: Header=BB12_2999 Depth=2
	s_or_b32 exec_lo, exec_lo, s14
	v_and_b32_e32 v2, 0xffff0000, v10
	s_delay_alu instid0(VALU_DEP_1) | instskip(NEXT) | instid1(VALU_DEP_1)
	v_mul_f32_e32 v6, v0, v2
	v_and_b32_e32 v2, 0x7f800000, v6
	s_delay_alu instid0(VALU_DEP_1) | instskip(SKIP_1) | instid1(SALU_CYCLE_1)
	v_cmp_ne_u32_e32 vcc_lo, 0x7f800000, v2
                                        ; implicit-def: $vgpr2
	s_and_saveexec_b32 s14, vcc_lo
	s_xor_b32 s14, exec_lo, s14
; %bb.4025:                             ;   in Loop: Header=BB12_2999 Depth=2
	v_bfe_u32 v2, v6, 16, 1
	s_delay_alu instid0(VALU_DEP_1)
	v_add3_u32 v2, v6, v2, 0x7fff
                                        ; implicit-def: $vgpr6
; %bb.4026:                             ;   in Loop: Header=BB12_2999 Depth=2
	s_and_not1_saveexec_b32 s14, s14
; %bb.4027:                             ;   in Loop: Header=BB12_2999 Depth=2
	v_and_b32_e32 v2, 0xffff, v6
	v_or_b32_e32 v8, 0x10000, v6
	s_delay_alu instid0(VALU_DEP_2) | instskip(NEXT) | instid1(VALU_DEP_2)
	v_cmp_eq_u32_e32 vcc_lo, 0, v2
	v_cndmask_b32_e32 v2, v8, v6, vcc_lo
; %bb.4028:                             ;   in Loop: Header=BB12_2999 Depth=2
	s_or_b32 exec_lo, exec_lo, s14
	v_lshlrev_b32_e32 v6, 16, v11
	s_delay_alu instid0(VALU_DEP_1) | instskip(NEXT) | instid1(VALU_DEP_1)
	v_mul_f32_e32 v8, v0, v6
	v_and_b32_e32 v6, 0x7f800000, v8
	s_delay_alu instid0(VALU_DEP_1) | instskip(SKIP_1) | instid1(SALU_CYCLE_1)
	v_cmp_ne_u32_e32 vcc_lo, 0x7f800000, v6
                                        ; implicit-def: $vgpr6
	s_and_saveexec_b32 s14, vcc_lo
	s_xor_b32 s14, exec_lo, s14
; %bb.4029:                             ;   in Loop: Header=BB12_2999 Depth=2
	v_bfe_u32 v6, v8, 16, 1
	s_delay_alu instid0(VALU_DEP_1)
	v_add3_u32 v6, v8, v6, 0x7fff
                                        ; implicit-def: $vgpr8
; %bb.4030:                             ;   in Loop: Header=BB12_2999 Depth=2
	s_and_not1_saveexec_b32 s14, s14
; %bb.4031:                             ;   in Loop: Header=BB12_2999 Depth=2
	v_and_b32_e32 v6, 0xffff, v8
	v_or_b32_e32 v9, 0x10000, v8
	s_delay_alu instid0(VALU_DEP_2) | instskip(NEXT) | instid1(VALU_DEP_2)
	v_cmp_eq_u32_e32 vcc_lo, 0, v6
	v_cndmask_b32_e32 v6, v9, v8, vcc_lo
; %bb.4032:                             ;   in Loop: Header=BB12_2999 Depth=2
	s_or_b32 exec_lo, exec_lo, s14
	v_and_b32_e32 v8, 0xffff0000, v11
	s_delay_alu instid0(VALU_DEP_1) | instskip(NEXT) | instid1(VALU_DEP_1)
	v_mul_f32_e32 v8, v0, v8
	v_and_b32_e32 v0, 0x7f800000, v8
	s_delay_alu instid0(VALU_DEP_1) | instskip(SKIP_1) | instid1(SALU_CYCLE_1)
	v_cmp_ne_u32_e32 vcc_lo, 0x7f800000, v0
                                        ; implicit-def: $vgpr0
	s_and_saveexec_b32 s14, vcc_lo
	s_xor_b32 s14, exec_lo, s14
; %bb.4033:                             ;   in Loop: Header=BB12_2999 Depth=2
	v_bfe_u32 v0, v8, 16, 1
	s_delay_alu instid0(VALU_DEP_1)
	v_add3_u32 v0, v8, v0, 0x7fff
                                        ; implicit-def: $vgpr8
; %bb.4034:                             ;   in Loop: Header=BB12_2999 Depth=2
	s_and_not1_saveexec_b32 s14, s14
; %bb.4035:                             ;   in Loop: Header=BB12_2999 Depth=2
	v_and_b32_e32 v0, 0xffff, v8
	v_or_b32_e32 v9, 0x10000, v8
	s_delay_alu instid0(VALU_DEP_2) | instskip(NEXT) | instid1(VALU_DEP_2)
	v_cmp_eq_u32_e32 vcc_lo, 0, v0
	v_cndmask_b32_e32 v0, v9, v8, vcc_lo
; %bb.4036:                             ;   in Loop: Header=BB12_2999 Depth=2
	s_or_b32 exec_lo, exec_lo, s14
	scratch_load_b128 v[8:11], off, s33 offset:240
	v_and_b32_e32 v1, 0xffff0000, v1
	s_wait_loadcnt 0x0
	v_lshlrev_b32_e32 v15, 16, v8
	s_delay_alu instid0(VALU_DEP_1) | instskip(NEXT) | instid1(VALU_DEP_1)
	v_add_f32_e32 v15, v1, v15
	v_and_b32_e32 v1, 0x7f800000, v15
	s_delay_alu instid0(VALU_DEP_1) | instskip(SKIP_2) | instid1(SALU_CYCLE_1)
	v_cmp_ne_u32_e32 vcc_lo, 0x7f800000, v1
                                        ; implicit-def: $vgpr1
	s_wait_xcnt 0x0
	s_and_saveexec_b32 s14, vcc_lo
	s_xor_b32 s14, exec_lo, s14
; %bb.4037:                             ;   in Loop: Header=BB12_2999 Depth=2
	v_bfe_u32 v1, v15, 16, 1
	s_delay_alu instid0(VALU_DEP_1)
	v_add3_u32 v1, v15, v1, 0x7fff
                                        ; implicit-def: $vgpr15
; %bb.4038:                             ;   in Loop: Header=BB12_2999 Depth=2
	s_and_not1_saveexec_b32 s14, s14
; %bb.4039:                             ;   in Loop: Header=BB12_2999 Depth=2
	v_and_b32_e32 v1, 0xffff, v15
	v_or_b32_e32 v18, 0x10000, v15
	s_delay_alu instid0(VALU_DEP_2) | instskip(NEXT) | instid1(VALU_DEP_2)
	v_cmp_eq_u32_e32 vcc_lo, 0, v1
	v_cndmask_b32_e32 v1, v18, v15, vcc_lo
; %bb.4040:                             ;   in Loop: Header=BB12_2999 Depth=2
	s_or_b32 exec_lo, exec_lo, s14
	v_and_b32_e32 v15, 0xffff0000, v8
	v_and_b32_e32 v14, 0xffff0000, v14
	s_delay_alu instid0(VALU_DEP_2) | instskip(NEXT) | instid1(VALU_DEP_1)
	v_mov_b32_e32 v8, v15
	v_pk_add_f32 v[14:15], v[8:9], v[14:15]
	s_delay_alu instid0(VALU_DEP_1) | instskip(NEXT) | instid1(VALU_DEP_1)
	v_and_b32_e32 v8, 0x7f800000, v14
	v_cmp_ne_u32_e32 vcc_lo, 0x7f800000, v8
                                        ; implicit-def: $vgpr8
	s_and_saveexec_b32 s14, vcc_lo
	s_delay_alu instid0(SALU_CYCLE_1)
	s_xor_b32 s14, exec_lo, s14
; %bb.4041:                             ;   in Loop: Header=BB12_2999 Depth=2
	v_bfe_u32 v8, v14, 16, 1
	s_delay_alu instid0(VALU_DEP_1)
	v_add3_u32 v8, v14, v8, 0x7fff
                                        ; implicit-def: $vgpr14_vgpr15
; %bb.4042:                             ;   in Loop: Header=BB12_2999 Depth=2
	s_and_not1_saveexec_b32 s14, s14
; %bb.4043:                             ;   in Loop: Header=BB12_2999 Depth=2
	v_and_b32_e32 v8, 0xffff, v14
	v_or_b32_e32 v15, 0x10000, v14
	s_delay_alu instid0(VALU_DEP_2) | instskip(NEXT) | instid1(VALU_DEP_2)
	v_cmp_eq_u32_e32 vcc_lo, 0, v8
	v_cndmask_b32_e32 v8, v15, v14, vcc_lo
; %bb.4044:                             ;   in Loop: Header=BB12_2999 Depth=2
	s_or_b32 exec_lo, exec_lo, s14
	v_and_b32_e32 v14, 0xffff0000, v17
	v_lshlrev_b32_e32 v15, 16, v9
	s_delay_alu instid0(VALU_DEP_1) | instskip(NEXT) | instid1(VALU_DEP_1)
	v_add_f32_e32 v15, v14, v15
	v_and_b32_e32 v14, 0x7f800000, v15
	s_delay_alu instid0(VALU_DEP_1) | instskip(SKIP_1) | instid1(SALU_CYCLE_1)
	v_cmp_ne_u32_e32 vcc_lo, 0x7f800000, v14
                                        ; implicit-def: $vgpr14
	s_and_saveexec_b32 s14, vcc_lo
	s_xor_b32 s14, exec_lo, s14
; %bb.4045:                             ;   in Loop: Header=BB12_2999 Depth=2
	v_bfe_u32 v14, v15, 16, 1
	s_delay_alu instid0(VALU_DEP_1)
	v_add3_u32 v14, v15, v14, 0x7fff
                                        ; implicit-def: $vgpr15
; %bb.4046:                             ;   in Loop: Header=BB12_2999 Depth=2
	s_and_not1_saveexec_b32 s14, s14
; %bb.4047:                             ;   in Loop: Header=BB12_2999 Depth=2
	v_and_b32_e32 v14, 0xffff, v15
	v_or_b32_e32 v17, 0x10000, v15
	s_delay_alu instid0(VALU_DEP_2) | instskip(NEXT) | instid1(VALU_DEP_2)
	v_cmp_eq_u32_e32 vcc_lo, 0, v14
	v_cndmask_b32_e32 v14, v17, v15, vcc_lo
; %bb.4048:                             ;   in Loop: Header=BB12_2999 Depth=2
	s_or_b32 exec_lo, exec_lo, s14
	v_and_b32_e32 v9, 0xffff0000, v9
	v_and_b32_e32 v7, 0xffff0000, v7
	s_delay_alu instid0(VALU_DEP_1) | instskip(NEXT) | instid1(VALU_DEP_1)
	v_add_f32_e32 v9, v7, v9
	v_and_b32_e32 v7, 0x7f800000, v9
	s_delay_alu instid0(VALU_DEP_1) | instskip(SKIP_1) | instid1(SALU_CYCLE_1)
	v_cmp_ne_u32_e32 vcc_lo, 0x7f800000, v7
                                        ; implicit-def: $vgpr7
	s_and_saveexec_b32 s14, vcc_lo
	s_xor_b32 s14, exec_lo, s14
; %bb.4049:                             ;   in Loop: Header=BB12_2999 Depth=2
	v_bfe_u32 v7, v9, 16, 1
	s_delay_alu instid0(VALU_DEP_1)
	v_add3_u32 v7, v9, v7, 0x7fff
                                        ; implicit-def: $vgpr9
; %bb.4050:                             ;   in Loop: Header=BB12_2999 Depth=2
	s_and_not1_saveexec_b32 s14, s14
; %bb.4051:                             ;   in Loop: Header=BB12_2999 Depth=2
	v_and_b32_e32 v7, 0xffff, v9
	v_or_b32_e32 v15, 0x10000, v9
	s_delay_alu instid0(VALU_DEP_2) | instskip(NEXT) | instid1(VALU_DEP_2)
	v_cmp_eq_u32_e32 vcc_lo, 0, v7
	v_cndmask_b32_e32 v7, v15, v9, vcc_lo
; %bb.4052:                             ;   in Loop: Header=BB12_2999 Depth=2
	s_or_b32 exec_lo, exec_lo, s14
	v_and_b32_e32 v9, 0xffff0000, v16
	v_lshlrev_b32_e32 v15, 16, v10
	s_delay_alu instid0(VALU_DEP_1) | instskip(NEXT) | instid1(VALU_DEP_1)
	v_add_f32_e32 v15, v9, v15
	v_and_b32_e32 v9, 0x7f800000, v15
	s_delay_alu instid0(VALU_DEP_1) | instskip(SKIP_1) | instid1(SALU_CYCLE_1)
	v_cmp_ne_u32_e32 vcc_lo, 0x7f800000, v9
                                        ; implicit-def: $vgpr9
	s_and_saveexec_b32 s14, vcc_lo
	s_xor_b32 s14, exec_lo, s14
; %bb.4053:                             ;   in Loop: Header=BB12_2999 Depth=2
	v_bfe_u32 v9, v15, 16, 1
	s_delay_alu instid0(VALU_DEP_1)
	v_add3_u32 v9, v15, v9, 0x7fff
                                        ; implicit-def: $vgpr15
; %bb.4054:                             ;   in Loop: Header=BB12_2999 Depth=2
	s_and_not1_saveexec_b32 s14, s14
; %bb.4055:                             ;   in Loop: Header=BB12_2999 Depth=2
	v_and_b32_e32 v9, 0xffff, v15
	v_or_b32_e32 v16, 0x10000, v15
	s_delay_alu instid0(VALU_DEP_2) | instskip(NEXT) | instid1(VALU_DEP_2)
	v_cmp_eq_u32_e32 vcc_lo, 0, v9
	v_cndmask_b32_e32 v9, v16, v15, vcc_lo
; %bb.4056:                             ;   in Loop: Header=BB12_2999 Depth=2
	s_or_b32 exec_lo, exec_lo, s14
	v_and_b32_e32 v10, 0xffff0000, v10
	v_and_b32_e32 v2, 0xffff0000, v2
	s_delay_alu instid0(VALU_DEP_1) | instskip(NEXT) | instid1(VALU_DEP_1)
	v_add_f32_e32 v10, v2, v10
	v_and_b32_e32 v2, 0x7f800000, v10
	s_delay_alu instid0(VALU_DEP_1) | instskip(SKIP_1) | instid1(SALU_CYCLE_1)
	v_cmp_ne_u32_e32 vcc_lo, 0x7f800000, v2
                                        ; implicit-def: $vgpr2
	s_and_saveexec_b32 s14, vcc_lo
	s_xor_b32 s14, exec_lo, s14
; %bb.4057:                             ;   in Loop: Header=BB12_2999 Depth=2
	v_bfe_u32 v2, v10, 16, 1
	s_delay_alu instid0(VALU_DEP_1)
	v_add3_u32 v2, v10, v2, 0x7fff
                                        ; implicit-def: $vgpr10
; %bb.4058:                             ;   in Loop: Header=BB12_2999 Depth=2
	s_and_not1_saveexec_b32 s14, s14
; %bb.4059:                             ;   in Loop: Header=BB12_2999 Depth=2
	v_and_b32_e32 v2, 0xffff, v10
	v_or_b32_e32 v15, 0x10000, v10
	s_delay_alu instid0(VALU_DEP_2) | instskip(NEXT) | instid1(VALU_DEP_2)
	v_cmp_eq_u32_e32 vcc_lo, 0, v2
	v_cndmask_b32_e32 v2, v15, v10, vcc_lo
; %bb.4060:                             ;   in Loop: Header=BB12_2999 Depth=2
	s_or_b32 exec_lo, exec_lo, s14
	v_and_b32_e32 v6, 0xffff0000, v6
	v_lshlrev_b32_e32 v10, 16, v11
	s_delay_alu instid0(VALU_DEP_1) | instskip(NEXT) | instid1(VALU_DEP_1)
	v_add_f32_e32 v10, v6, v10
	v_and_b32_e32 v6, 0x7f800000, v10
	s_delay_alu instid0(VALU_DEP_1) | instskip(SKIP_1) | instid1(SALU_CYCLE_1)
	v_cmp_ne_u32_e32 vcc_lo, 0x7f800000, v6
                                        ; implicit-def: $vgpr6
	s_and_saveexec_b32 s14, vcc_lo
	s_xor_b32 s14, exec_lo, s14
; %bb.4061:                             ;   in Loop: Header=BB12_2999 Depth=2
	v_bfe_u32 v6, v10, 16, 1
	s_delay_alu instid0(VALU_DEP_1)
	v_add3_u32 v6, v10, v6, 0x7fff
                                        ; implicit-def: $vgpr10
; %bb.4062:                             ;   in Loop: Header=BB12_2999 Depth=2
	s_and_not1_saveexec_b32 s14, s14
; %bb.4063:                             ;   in Loop: Header=BB12_2999 Depth=2
	v_and_b32_e32 v6, 0xffff, v10
	v_or_b32_e32 v15, 0x10000, v10
	s_delay_alu instid0(VALU_DEP_2) | instskip(NEXT) | instid1(VALU_DEP_2)
	v_cmp_eq_u32_e32 vcc_lo, 0, v6
	v_cndmask_b32_e32 v6, v15, v10, vcc_lo
; %bb.4064:                             ;   in Loop: Header=BB12_2999 Depth=2
	s_or_b32 exec_lo, exec_lo, s14
	v_and_b32_e32 v10, 0xffff0000, v11
	v_and_b32_e32 v0, 0xffff0000, v0
	s_delay_alu instid0(VALU_DEP_1) | instskip(NEXT) | instid1(VALU_DEP_1)
	v_add_f32_e32 v10, v0, v10
	v_and_b32_e32 v0, 0x7f800000, v10
	s_delay_alu instid0(VALU_DEP_1) | instskip(SKIP_1) | instid1(SALU_CYCLE_1)
	v_cmp_ne_u32_e32 vcc_lo, 0x7f800000, v0
                                        ; implicit-def: $vgpr0
	s_and_saveexec_b32 s14, vcc_lo
	s_xor_b32 s14, exec_lo, s14
; %bb.4065:                             ;   in Loop: Header=BB12_2999 Depth=2
	v_bfe_u32 v0, v10, 16, 1
	s_delay_alu instid0(VALU_DEP_1)
	v_add3_u32 v0, v10, v0, 0x7fff
                                        ; implicit-def: $vgpr10
; %bb.4066:                             ;   in Loop: Header=BB12_2999 Depth=2
	s_and_not1_saveexec_b32 s14, s14
; %bb.4067:                             ;   in Loop: Header=BB12_2999 Depth=2
	v_and_b32_e32 v0, 0xffff, v10
	v_or_b32_e32 v11, 0x10000, v10
	s_delay_alu instid0(VALU_DEP_2) | instskip(NEXT) | instid1(VALU_DEP_2)
	v_cmp_eq_u32_e32 vcc_lo, 0, v0
	v_cndmask_b32_e32 v0, v11, v10, vcc_lo
; %bb.4068:                             ;   in Loop: Header=BB12_2999 Depth=2
	s_or_b32 exec_lo, exec_lo, s14
	v_dual_lshrrev_b32 v10, 16, v14 :: v_dual_lshrrev_b32 v1, 16, v1
	v_dual_lshrrev_b32 v11, 16, v9 :: v_dual_lshrrev_b32 v6, 16, v6
	s_mov_b64 s[40:41], 0
	s_delay_alu instid0(VALU_DEP_2) | instskip(NEXT) | instid1(VALU_DEP_3)
	v_and_or_b32 v9, 0xffff0000, v7, v10
	v_and_or_b32 v8, 0xffff0000, v8, v1
	s_delay_alu instid0(VALU_DEP_3)
	v_and_or_b32 v10, 0xffff0000, v2, v11
	v_and_or_b32 v11, 0xffff0000, v0, v6
	s_mov_b32 s79, -1
.LBB12_4069:                            ;   Parent Loop BB12_47 Depth=1
                                        ;     Parent Loop BB12_2999 Depth=2
                                        ; =>    This Inner Loop Header: Depth=3
	s_cmp_eq_u32 s40, 1
	s_cselect_b32 vcc_lo, -1, 0
	s_cmp_eq_u32 s40, 0
	s_wait_xcnt 0x0
	v_dual_cndmask_b32 v1, v5, v13 :: v_dual_cndmask_b32 v0, v4, v12
	s_cselect_b32 s14, -1, 0
	s_and_b32 s15, exec_lo, s79
	s_mov_b64 s[40:41], 1
	s_mov_b32 s79, 0
	v_add_nc_u64_e32 v[6:7], 0x200, v[0:1]
	global_store_b128 v[0:1], v[8:11], off th:TH_STORE_NT
	v_dual_cndmask_b32 v13, v13, v7 :: v_dual_cndmask_b32 v12, v12, v6
	v_dual_cndmask_b32 v5, v5, v7, s14 :: v_dual_cndmask_b32 v4, v4, v6, s14
	s_mov_b32 vcc_lo, s15
	s_cbranch_vccnz .LBB12_4069
.LBB12_4070:                            ;   in Loop: Header=BB12_2999 Depth=2
	s_wait_xcnt 0x0
	s_or_b32 exec_lo, exec_lo, s78
	v_and_b32_e32 v1, 14, v123
	s_mov_b32 s15, s76
	s_mov_b32 s14, exec_lo
                                        ; implicit-def: $vgpr2
                                        ; implicit-def: $vgpr0
                                        ; implicit-def: $vgpr19
	s_delay_alu instid0(VALU_DEP_1) | instskip(NEXT) | instid1(VALU_DEP_1)
	v_cndmask_b32_e64 v18, v23, v1, s13
	v_cmpx_ne_u32_e32 0, v18
	s_cbranch_execz .LBB12_4072
; %bb.4071:                             ;   in Loop: Header=BB12_2999 Depth=2
	v_cmp_lt_i32_e32 vcc_lo, 0, v24
	s_or_b32 s15, s76, exec_lo
	v_dual_cndmask_b32 v0, 0, v60 :: v_dual_sub_nc_u32 v1, v23, v1
	s_delay_alu instid0(VALU_DEP_1) | instskip(NEXT) | instid1(VALU_DEP_1)
	v_dual_cndmask_b32 v1, 0, v1, s13 :: v_dual_sub_nc_u32 v0, v0, v24
	v_lshl_add_u32 v0, v0, 5, v21
	s_delay_alu instid0(VALU_DEP_1) | instskip(NEXT) | instid1(VALU_DEP_1)
	v_ashrrev_i32_e32 v2, 31, v0
	v_lshrrev_b32_e32 v2, 27, v2
	s_delay_alu instid0(VALU_DEP_1) | instskip(NEXT) | instid1(VALU_DEP_1)
	v_add_nc_u32_e32 v2, v0, v2
	v_and_b32_e32 v4, 0xffffffe0, v2
	v_add3_u32 v2, v22, v20, v1
	s_delay_alu instid0(VALU_DEP_2)
	v_sub_nc_u32_e32 v19, v0, v4
.LBB12_4072:                            ;   in Loop: Header=BB12_2999 Depth=2
	s_or_b32 exec_lo, exec_lo, s14
	s_delay_alu instid0(SALU_CYCLE_1) | instskip(SKIP_1) | instid1(SALU_CYCLE_1)
	s_and_not1_b32 s13, s76, exec_lo
	s_and_b32 s14, s15, exec_lo
	s_or_b32 s76, s13, s14
.LBB12_4073:                            ;   in Loop: Header=BB12_2999 Depth=2
	s_or_b32 exec_lo, exec_lo, s77
	s_and_saveexec_b32 s15, s76
	s_cbranch_execz .LBB12_4514
.LBB12_4074:                            ;   in Loop: Header=BB12_2999 Depth=2
	s_wait_loadcnt 0x0
	v_dual_ashrrev_i32 v1, 31, v0 :: v_dual_lshlrev_b32 v4, 1, v19
	v_dual_mov_b32 v96, 0 :: v_dual_ashrrev_i32 v5, 31, v18
	s_delay_alu instid0(VALU_DEP_2) | instskip(SKIP_2) | instid1(VALU_DEP_3)
	v_dual_mov_b32 v67, 0 :: v_dual_lshrrev_b32 v1, 27, v1
	v_dual_mov_b32 v54, 0 :: v_dual_mov_b32 v82, 0
	v_dual_mov_b32 v86, 0 :: v_dual_mov_b32 v84, 0
	v_add_nc_u32_e32 v0, v0, v1
	v_dual_mov_b32 v80, 0 :: v_dual_lshrrev_b32 v1, 22, v5
	v_dual_mov_b32 v70, 0 :: v_dual_mov_b32 v65, 0
	s_delay_alu instid0(VALU_DEP_3) | instskip(NEXT) | instid1(VALU_DEP_3)
	v_dual_mov_b32 v64, 0 :: v_dual_ashrrev_i32 v0, 5, v0
	v_dual_mov_b32 v66, 0 :: v_dual_add_nc_u32 v1, v18, v1
	v_dual_mov_b32 v55, 0 :: v_dual_mov_b32 v53, 0
	s_delay_alu instid0(VALU_DEP_3) | instskip(NEXT) | instid1(VALU_DEP_3)
	v_dual_mov_b32 v52, 0 :: v_dual_lshlrev_b32 v5, 10, v0
	v_dual_ashrrev_i32 v21, 10, v1 :: v_dual_mov_b32 v49, 0
	v_dual_mov_b32 v51, 0 :: v_dual_mov_b32 v50, 0
	s_delay_alu instid0(VALU_DEP_3) | instskip(NEXT) | instid1(VALU_DEP_3)
	v_add3_u32 v12, v2, v4, v5
	v_sub_nc_u32_e32 v20, v21, v0
	scratch_load_b64 v[0:1], off, s33 offset:340 ; 8-byte Folded Reload
	v_dual_mov_b32 v48, 0 :: v_dual_mov_b32 v29, 0
	v_dual_mov_b32 v24, 0 :: v_dual_ashrrev_i32 v13, 31, v12
	v_dual_mov_b32 v23, 0 :: v_dual_mov_b32 v22, 0
	v_dual_mov_b32 v17, 0 :: v_dual_mov_b32 v16, 0
	s_delay_alu instid0(VALU_DEP_3)
	v_add_nc_u64_e32 v[4:5], v[76:77], v[12:13]
	v_dual_mov_b32 v15, 0 :: v_dual_mov_b32 v14, 0
	v_dual_mov_b32 v11, 0 :: v_dual_mov_b32 v7, 0
	;; [unrolled: 1-line block ×3, first 2 shown]
	s_mov_b32 s14, 0
	s_mov_b32 s13, exec_lo
	s_wait_loadcnt 0x0
	v_add_nc_u64_e32 v[8:9], v[0:1], v[12:13]
	v_dual_mov_b32 v0, 0 :: v_dual_mov_b32 v1, 0
	s_wait_xcnt 0x0
	v_cmpx_lt_i32_e32 0, v20
	s_cbranch_execz .LBB12_4340
; %bb.4075:                             ;   in Loop: Header=BB12_2999 Depth=2
	s_trap 2
	ds_load_b64 v[0:1], v0
	v_add_nc_u64_e32 v[10:11], v[12:13], v[72:73]
	s_mov_b32 s41, 0
	s_mov_b32 s40, 0
                                        ; implicit-def: $sgpr14
                                        ; implicit-def: $vgpr124
                                        ; implicit-def: $vgpr63
                                        ; implicit-def: $vgpr119
                                        ; implicit-def: $vgpr115
                                        ; implicit-def: $vgpr113
                                        ; implicit-def: $vgpr103
                                        ; implicit-def: $vgpr101
                                        ; implicit-def: $vgpr99
                                        ; implicit-def: $vgpr97
                                        ; implicit-def: $vgpr87
                                        ; implicit-def: $vgpr85
                                        ; implicit-def: $vgpr83
                                        ; implicit-def: $vgpr81
                                        ; implicit-def: $vgpr71
                                        ; implicit-def: $vgpr69
                                        ; implicit-def: $vgpr68
                                        ; implicit-def: $vgpr22
                                        ; implicit-def: $vgpr23
                                        ; implicit-def: $vgpr24
                                        ; implicit-def: $vgpr25
                                        ; implicit-def: $vgpr26
                                        ; implicit-def: $vgpr27
                                        ; implicit-def: $vgpr30
                                        ; implicit-def: $vgpr31
                                        ; implicit-def: $vgpr32
                                        ; implicit-def: $vgpr33
                                        ; implicit-def: $vgpr34
                                        ; implicit-def: $vgpr35
                                        ; implicit-def: $vgpr36
                                        ; implicit-def: $vgpr37
                                        ; implicit-def: $vgpr38
                                        ; implicit-def: $vgpr39
	s_wait_dscnt 0x0
	v_add_nc_u64_e32 v[12:13], v[0:1], v[12:13]
	s_branch .LBB12_4077
.LBB12_4076:                            ;   in Loop: Header=BB12_4077 Depth=3
	s_or_b32 exec_lo, exec_lo, s76
	s_delay_alu instid0(VALU_DEP_1) | instskip(SKIP_3) | instid1(SALU_CYCLE_1)
	v_cmp_gt_i32_e32 vcc_lo, 1, v20
	s_or_b32 s40, vcc_lo, s40
	s_and_not1_b32 s14, s14, exec_lo
	s_and_b32 s76, s41, exec_lo
	s_or_b32 s14, s14, s76
	s_and_not1_b32 exec_lo, exec_lo, s40
	s_cbranch_execz .LBB12_4339
.LBB12_4077:                            ;   Parent Loop BB12_47 Depth=1
                                        ;     Parent Loop BB12_2999 Depth=2
                                        ; =>    This Inner Loop Header: Depth=3
	s_clause 0xf
	flat_load_u16 v78, v[10:11] th:TH_LOAD_NT
	flat_load_u16 v1, v[10:11] offset:64 th:TH_LOAD_NT
	flat_load_u16 v43, v[10:11] offset:128 th:TH_LOAD_NT
	;; [unrolled: 1-line block ×15, first 2 shown]
	s_clause 0xf
	flat_load_u16 v84, v[12:13] th:TH_LOAD_NT
	flat_load_u16 v82, v[12:13] offset:64 th:TH_LOAD_NT
	flat_load_u16 v80, v[12:13] offset:128 th:TH_LOAD_NT
	;; [unrolled: 1-line block ×15, first 2 shown]
	s_wait_xcnt 0x0
	s_and_saveexec_b32 s76, s41
	s_cbranch_execz .LBB12_4207
; %bb.4078:                             ;   in Loop: Header=BB12_4077 Depth=3
	s_trap 2
	ds_load_b32 v0, v0
	s_wait_dscnt 0x0
	v_lshlrev_b32_e32 v15, 16, v0
	s_delay_alu instid0(VALU_DEP_1) | instskip(SKIP_1) | instid1(VALU_DEP_1)
	v_dual_lshlrev_b32 v14, 16, v124 :: v_dual_mov_b32 v0, v15
	s_wait_loadcnt 0x1e
	v_pk_mul_f32 v[16:17], v[0:1], v[14:15]
	s_delay_alu instid0(VALU_DEP_1) | instskip(NEXT) | instid1(VALU_DEP_1)
	v_and_b32_e32 v0, 0x7f800000, v16
	v_cmp_ne_u32_e32 vcc_lo, 0x7f800000, v0
                                        ; implicit-def: $vgpr0
	s_and_saveexec_b32 s41, vcc_lo
	s_delay_alu instid0(SALU_CYCLE_1)
	s_xor_b32 s41, exec_lo, s41
; %bb.4079:                             ;   in Loop: Header=BB12_4077 Depth=3
	v_bfe_u32 v0, v16, 16, 1
	s_delay_alu instid0(VALU_DEP_1)
	v_add3_u32 v0, v16, v0, 0x7fff
                                        ; implicit-def: $vgpr16_vgpr17
; %bb.4080:                             ;   in Loop: Header=BB12_4077 Depth=3
	s_and_not1_saveexec_b32 s41, s41
; %bb.4081:                             ;   in Loop: Header=BB12_4077 Depth=3
	v_and_b32_e32 v0, 0xffff, v16
	v_or_b32_e32 v6, 0x10000, v16
	s_delay_alu instid0(VALU_DEP_2) | instskip(NEXT) | instid1(VALU_DEP_2)
	v_cmp_eq_u32_e32 vcc_lo, 0, v0
	v_cndmask_b32_e32 v0, v6, v16, vcc_lo
; %bb.4082:                             ;   in Loop: Header=BB12_4077 Depth=3
	s_or_b32 exec_lo, exec_lo, s41
	v_lshlrev_b32_e32 v6, 16, v63
	s_mov_b32 s41, exec_lo
                                        ; implicit-def: $vgpr44
	s_delay_alu instid0(VALU_DEP_1) | instskip(NEXT) | instid1(VALU_DEP_1)
	v_mul_f32_e32 v6, v15, v6
	v_and_b32_e32 v7, 0x7f800000, v6
	s_delay_alu instid0(VALU_DEP_1)
	v_cmpx_ne_u32_e32 0x7f800000, v7
	s_xor_b32 s41, exec_lo, s41
; %bb.4083:                             ;   in Loop: Header=BB12_4077 Depth=3
	v_bfe_u32 v7, v6, 16, 1
	s_delay_alu instid0(VALU_DEP_1)
	v_add3_u32 v44, v6, v7, 0x7fff
                                        ; implicit-def: $vgpr6
; %bb.4084:                             ;   in Loop: Header=BB12_4077 Depth=3
	s_and_not1_saveexec_b32 s41, s41
; %bb.4085:                             ;   in Loop: Header=BB12_4077 Depth=3
	v_and_b32_e32 v7, 0xffff, v6
	v_or_b32_e32 v14, 0x10000, v6
	s_delay_alu instid0(VALU_DEP_2) | instskip(NEXT) | instid1(VALU_DEP_2)
	v_cmp_eq_u32_e32 vcc_lo, 0, v7
	v_cndmask_b32_e32 v44, v14, v6, vcc_lo
; %bb.4086:                             ;   in Loop: Header=BB12_4077 Depth=3
	s_or_b32 exec_lo, exec_lo, s41
	v_lshlrev_b32_e32 v6, 16, v119
	s_mov_b32 s41, exec_lo
                                        ; implicit-def: $vgpr119
	s_delay_alu instid0(VALU_DEP_1) | instskip(NEXT) | instid1(VALU_DEP_1)
	v_mul_f32_e32 v6, v15, v6
	v_and_b32_e32 v7, 0x7f800000, v6
	s_delay_alu instid0(VALU_DEP_1)
	v_cmpx_ne_u32_e32 0x7f800000, v7
	s_xor_b32 s41, exec_lo, s41
; %bb.4087:                             ;   in Loop: Header=BB12_4077 Depth=3
	v_bfe_u32 v7, v6, 16, 1
	s_delay_alu instid0(VALU_DEP_1)
	v_add3_u32 v119, v6, v7, 0x7fff
                                        ; implicit-def: $vgpr6
; %bb.4088:                             ;   in Loop: Header=BB12_4077 Depth=3
	s_and_not1_saveexec_b32 s41, s41
; %bb.4089:                             ;   in Loop: Header=BB12_4077 Depth=3
	v_and_b32_e32 v7, 0xffff, v6
	v_or_b32_e32 v14, 0x10000, v6
	s_delay_alu instid0(VALU_DEP_2) | instskip(NEXT) | instid1(VALU_DEP_2)
	v_cmp_eq_u32_e32 vcc_lo, 0, v7
	v_cndmask_b32_e32 v119, v14, v6, vcc_lo
; %bb.4090:                             ;   in Loop: Header=BB12_4077 Depth=3
	s_or_b32 exec_lo, exec_lo, s41
	v_lshlrev_b32_e32 v6, 16, v115
	s_mov_b32 s41, exec_lo
                                        ; implicit-def: $vgpr115
	s_delay_alu instid0(VALU_DEP_1) | instskip(NEXT) | instid1(VALU_DEP_1)
	v_mul_f32_e32 v6, v15, v6
	v_and_b32_e32 v7, 0x7f800000, v6
	s_delay_alu instid0(VALU_DEP_1)
	v_cmpx_ne_u32_e32 0x7f800000, v7
	s_xor_b32 s41, exec_lo, s41
; %bb.4091:                             ;   in Loop: Header=BB12_4077 Depth=3
	v_bfe_u32 v7, v6, 16, 1
	s_delay_alu instid0(VALU_DEP_1)
	v_add3_u32 v115, v6, v7, 0x7fff
                                        ; implicit-def: $vgpr6
; %bb.4092:                             ;   in Loop: Header=BB12_4077 Depth=3
	s_and_not1_saveexec_b32 s41, s41
; %bb.4093:                             ;   in Loop: Header=BB12_4077 Depth=3
	v_and_b32_e32 v7, 0xffff, v6
	v_or_b32_e32 v14, 0x10000, v6
	s_delay_alu instid0(VALU_DEP_2) | instskip(NEXT) | instid1(VALU_DEP_2)
	v_cmp_eq_u32_e32 vcc_lo, 0, v7
	v_cndmask_b32_e32 v115, v14, v6, vcc_lo
; %bb.4094:                             ;   in Loop: Header=BB12_4077 Depth=3
	s_or_b32 exec_lo, exec_lo, s41
	v_lshlrev_b32_e32 v6, 16, v113
	s_mov_b32 s41, exec_lo
                                        ; implicit-def: $vgpr113
	s_delay_alu instid0(VALU_DEP_1) | instskip(NEXT) | instid1(VALU_DEP_1)
	v_mul_f32_e32 v6, v15, v6
	v_and_b32_e32 v7, 0x7f800000, v6
	s_delay_alu instid0(VALU_DEP_1)
	v_cmpx_ne_u32_e32 0x7f800000, v7
	s_xor_b32 s41, exec_lo, s41
; %bb.4095:                             ;   in Loop: Header=BB12_4077 Depth=3
	v_bfe_u32 v7, v6, 16, 1
	s_delay_alu instid0(VALU_DEP_1)
	v_add3_u32 v113, v6, v7, 0x7fff
                                        ; implicit-def: $vgpr6
; %bb.4096:                             ;   in Loop: Header=BB12_4077 Depth=3
	s_and_not1_saveexec_b32 s41, s41
; %bb.4097:                             ;   in Loop: Header=BB12_4077 Depth=3
	v_and_b32_e32 v7, 0xffff, v6
	v_or_b32_e32 v14, 0x10000, v6
	s_delay_alu instid0(VALU_DEP_2) | instskip(NEXT) | instid1(VALU_DEP_2)
	v_cmp_eq_u32_e32 vcc_lo, 0, v7
	v_cndmask_b32_e32 v113, v14, v6, vcc_lo
; %bb.4098:                             ;   in Loop: Header=BB12_4077 Depth=3
	s_or_b32 exec_lo, exec_lo, s41
	v_lshlrev_b32_e32 v6, 16, v103
	s_mov_b32 s41, exec_lo
                                        ; implicit-def: $vgpr103
	s_delay_alu instid0(VALU_DEP_1) | instskip(NEXT) | instid1(VALU_DEP_1)
	v_mul_f32_e32 v6, v15, v6
	v_and_b32_e32 v7, 0x7f800000, v6
	s_delay_alu instid0(VALU_DEP_1)
	v_cmpx_ne_u32_e32 0x7f800000, v7
	s_xor_b32 s41, exec_lo, s41
; %bb.4099:                             ;   in Loop: Header=BB12_4077 Depth=3
	v_bfe_u32 v7, v6, 16, 1
	s_delay_alu instid0(VALU_DEP_1)
	v_add3_u32 v103, v6, v7, 0x7fff
                                        ; implicit-def: $vgpr6
; %bb.4100:                             ;   in Loop: Header=BB12_4077 Depth=3
	s_and_not1_saveexec_b32 s41, s41
; %bb.4101:                             ;   in Loop: Header=BB12_4077 Depth=3
	v_and_b32_e32 v7, 0xffff, v6
	v_or_b32_e32 v14, 0x10000, v6
	s_delay_alu instid0(VALU_DEP_2) | instskip(NEXT) | instid1(VALU_DEP_2)
	v_cmp_eq_u32_e32 vcc_lo, 0, v7
	v_cndmask_b32_e32 v103, v14, v6, vcc_lo
; %bb.4102:                             ;   in Loop: Header=BB12_4077 Depth=3
	s_or_b32 exec_lo, exec_lo, s41
	v_lshlrev_b32_e32 v6, 16, v101
	s_mov_b32 s41, exec_lo
                                        ; implicit-def: $vgpr101
	s_delay_alu instid0(VALU_DEP_1) | instskip(NEXT) | instid1(VALU_DEP_1)
	v_mul_f32_e32 v6, v15, v6
	v_and_b32_e32 v7, 0x7f800000, v6
	s_delay_alu instid0(VALU_DEP_1)
	v_cmpx_ne_u32_e32 0x7f800000, v7
	s_xor_b32 s41, exec_lo, s41
; %bb.4103:                             ;   in Loop: Header=BB12_4077 Depth=3
	v_bfe_u32 v7, v6, 16, 1
	s_delay_alu instid0(VALU_DEP_1)
	v_add3_u32 v101, v6, v7, 0x7fff
                                        ; implicit-def: $vgpr6
; %bb.4104:                             ;   in Loop: Header=BB12_4077 Depth=3
	s_and_not1_saveexec_b32 s41, s41
; %bb.4105:                             ;   in Loop: Header=BB12_4077 Depth=3
	v_and_b32_e32 v7, 0xffff, v6
	v_or_b32_e32 v14, 0x10000, v6
	s_delay_alu instid0(VALU_DEP_2) | instskip(NEXT) | instid1(VALU_DEP_2)
	v_cmp_eq_u32_e32 vcc_lo, 0, v7
	v_cndmask_b32_e32 v101, v14, v6, vcc_lo
; %bb.4106:                             ;   in Loop: Header=BB12_4077 Depth=3
	s_or_b32 exec_lo, exec_lo, s41
	v_lshlrev_b32_e32 v6, 16, v99
	s_mov_b32 s41, exec_lo
                                        ; implicit-def: $vgpr99
	s_delay_alu instid0(VALU_DEP_1) | instskip(NEXT) | instid1(VALU_DEP_1)
	v_mul_f32_e32 v6, v15, v6
	v_and_b32_e32 v7, 0x7f800000, v6
	s_delay_alu instid0(VALU_DEP_1)
	v_cmpx_ne_u32_e32 0x7f800000, v7
	s_xor_b32 s41, exec_lo, s41
; %bb.4107:                             ;   in Loop: Header=BB12_4077 Depth=3
	v_bfe_u32 v7, v6, 16, 1
	s_delay_alu instid0(VALU_DEP_1)
	v_add3_u32 v99, v6, v7, 0x7fff
                                        ; implicit-def: $vgpr6
; %bb.4108:                             ;   in Loop: Header=BB12_4077 Depth=3
	s_and_not1_saveexec_b32 s41, s41
; %bb.4109:                             ;   in Loop: Header=BB12_4077 Depth=3
	v_and_b32_e32 v7, 0xffff, v6
	v_or_b32_e32 v14, 0x10000, v6
	s_delay_alu instid0(VALU_DEP_2) | instskip(NEXT) | instid1(VALU_DEP_2)
	v_cmp_eq_u32_e32 vcc_lo, 0, v7
	v_cndmask_b32_e32 v99, v14, v6, vcc_lo
; %bb.4110:                             ;   in Loop: Header=BB12_4077 Depth=3
	s_or_b32 exec_lo, exec_lo, s41
	v_lshlrev_b32_e32 v6, 16, v97
	s_mov_b32 s41, exec_lo
                                        ; implicit-def: $vgpr97
	s_delay_alu instid0(VALU_DEP_1) | instskip(NEXT) | instid1(VALU_DEP_1)
	v_mul_f32_e32 v6, v15, v6
	v_and_b32_e32 v7, 0x7f800000, v6
	s_delay_alu instid0(VALU_DEP_1)
	v_cmpx_ne_u32_e32 0x7f800000, v7
	s_xor_b32 s41, exec_lo, s41
; %bb.4111:                             ;   in Loop: Header=BB12_4077 Depth=3
	v_bfe_u32 v7, v6, 16, 1
	s_delay_alu instid0(VALU_DEP_1)
	v_add3_u32 v97, v6, v7, 0x7fff
                                        ; implicit-def: $vgpr6
; %bb.4112:                             ;   in Loop: Header=BB12_4077 Depth=3
	s_and_not1_saveexec_b32 s41, s41
; %bb.4113:                             ;   in Loop: Header=BB12_4077 Depth=3
	v_and_b32_e32 v7, 0xffff, v6
	v_or_b32_e32 v14, 0x10000, v6
	s_delay_alu instid0(VALU_DEP_2) | instskip(NEXT) | instid1(VALU_DEP_2)
	v_cmp_eq_u32_e32 vcc_lo, 0, v7
	v_cndmask_b32_e32 v97, v14, v6, vcc_lo
; %bb.4114:                             ;   in Loop: Header=BB12_4077 Depth=3
	s_or_b32 exec_lo, exec_lo, s41
	v_lshlrev_b32_e32 v6, 16, v87
	s_mov_b32 s41, exec_lo
                                        ; implicit-def: $vgpr87
	s_delay_alu instid0(VALU_DEP_1) | instskip(NEXT) | instid1(VALU_DEP_1)
	v_mul_f32_e32 v6, v15, v6
	v_and_b32_e32 v7, 0x7f800000, v6
	s_delay_alu instid0(VALU_DEP_1)
	v_cmpx_ne_u32_e32 0x7f800000, v7
	s_xor_b32 s41, exec_lo, s41
; %bb.4115:                             ;   in Loop: Header=BB12_4077 Depth=3
	v_bfe_u32 v7, v6, 16, 1
	s_delay_alu instid0(VALU_DEP_1)
	v_add3_u32 v87, v6, v7, 0x7fff
                                        ; implicit-def: $vgpr6
; %bb.4116:                             ;   in Loop: Header=BB12_4077 Depth=3
	s_and_not1_saveexec_b32 s41, s41
; %bb.4117:                             ;   in Loop: Header=BB12_4077 Depth=3
	v_and_b32_e32 v7, 0xffff, v6
	v_or_b32_e32 v14, 0x10000, v6
	s_delay_alu instid0(VALU_DEP_2) | instskip(NEXT) | instid1(VALU_DEP_2)
	v_cmp_eq_u32_e32 vcc_lo, 0, v7
	v_cndmask_b32_e32 v87, v14, v6, vcc_lo
; %bb.4118:                             ;   in Loop: Header=BB12_4077 Depth=3
	s_or_b32 exec_lo, exec_lo, s41
	v_lshlrev_b32_e32 v6, 16, v85
	s_mov_b32 s41, exec_lo
                                        ; implicit-def: $vgpr85
	s_delay_alu instid0(VALU_DEP_1) | instskip(NEXT) | instid1(VALU_DEP_1)
	v_mul_f32_e32 v6, v15, v6
	v_and_b32_e32 v7, 0x7f800000, v6
	s_delay_alu instid0(VALU_DEP_1)
	v_cmpx_ne_u32_e32 0x7f800000, v7
	s_xor_b32 s41, exec_lo, s41
; %bb.4119:                             ;   in Loop: Header=BB12_4077 Depth=3
	v_bfe_u32 v7, v6, 16, 1
	s_delay_alu instid0(VALU_DEP_1)
	v_add3_u32 v85, v6, v7, 0x7fff
                                        ; implicit-def: $vgpr6
; %bb.4120:                             ;   in Loop: Header=BB12_4077 Depth=3
	s_and_not1_saveexec_b32 s41, s41
; %bb.4121:                             ;   in Loop: Header=BB12_4077 Depth=3
	v_and_b32_e32 v7, 0xffff, v6
	v_or_b32_e32 v14, 0x10000, v6
	s_delay_alu instid0(VALU_DEP_2) | instskip(NEXT) | instid1(VALU_DEP_2)
	v_cmp_eq_u32_e32 vcc_lo, 0, v7
	v_cndmask_b32_e32 v85, v14, v6, vcc_lo
; %bb.4122:                             ;   in Loop: Header=BB12_4077 Depth=3
	s_or_b32 exec_lo, exec_lo, s41
	v_lshlrev_b32_e32 v6, 16, v83
	s_mov_b32 s41, exec_lo
                                        ; implicit-def: $vgpr17
	s_delay_alu instid0(VALU_DEP_1) | instskip(NEXT) | instid1(VALU_DEP_1)
	v_mul_f32_e32 v6, v15, v6
	v_and_b32_e32 v7, 0x7f800000, v6
	s_delay_alu instid0(VALU_DEP_1)
	v_cmpx_ne_u32_e32 0x7f800000, v7
	s_xor_b32 s41, exec_lo, s41
; %bb.4123:                             ;   in Loop: Header=BB12_4077 Depth=3
	v_bfe_u32 v7, v6, 16, 1
	s_delay_alu instid0(VALU_DEP_1)
	v_add3_u32 v17, v6, v7, 0x7fff
                                        ; implicit-def: $vgpr6
; %bb.4124:                             ;   in Loop: Header=BB12_4077 Depth=3
	s_and_not1_saveexec_b32 s41, s41
; %bb.4125:                             ;   in Loop: Header=BB12_4077 Depth=3
	v_and_b32_e32 v7, 0xffff, v6
	v_or_b32_e32 v14, 0x10000, v6
	s_delay_alu instid0(VALU_DEP_2) | instskip(NEXT) | instid1(VALU_DEP_2)
	v_cmp_eq_u32_e32 vcc_lo, 0, v7
	v_cndmask_b32_e32 v17, v14, v6, vcc_lo
; %bb.4126:                             ;   in Loop: Header=BB12_4077 Depth=3
	s_or_b32 exec_lo, exec_lo, s41
	v_lshlrev_b32_e32 v6, 16, v81
	s_mov_b32 s41, exec_lo
                                        ; implicit-def: $vgpr16
	s_delay_alu instid0(VALU_DEP_1) | instskip(NEXT) | instid1(VALU_DEP_1)
	v_mul_f32_e32 v6, v15, v6
	v_and_b32_e32 v7, 0x7f800000, v6
	s_delay_alu instid0(VALU_DEP_1)
	v_cmpx_ne_u32_e32 0x7f800000, v7
	s_xor_b32 s41, exec_lo, s41
; %bb.4127:                             ;   in Loop: Header=BB12_4077 Depth=3
	v_bfe_u32 v7, v6, 16, 1
	s_delay_alu instid0(VALU_DEP_1)
	v_add3_u32 v16, v6, v7, 0x7fff
                                        ; implicit-def: $vgpr6
; %bb.4128:                             ;   in Loop: Header=BB12_4077 Depth=3
	s_and_not1_saveexec_b32 s41, s41
; %bb.4129:                             ;   in Loop: Header=BB12_4077 Depth=3
	v_and_b32_e32 v7, 0xffff, v6
	v_or_b32_e32 v14, 0x10000, v6
	s_delay_alu instid0(VALU_DEP_2) | instskip(NEXT) | instid1(VALU_DEP_2)
	v_cmp_eq_u32_e32 vcc_lo, 0, v7
	v_cndmask_b32_e32 v16, v14, v6, vcc_lo
; %bb.4130:                             ;   in Loop: Header=BB12_4077 Depth=3
	s_or_b32 exec_lo, exec_lo, s41
	v_lshlrev_b32_e32 v6, 16, v71
	s_mov_b32 s41, exec_lo
                                        ; implicit-def: $vgpr14
	s_delay_alu instid0(VALU_DEP_1) | instskip(NEXT) | instid1(VALU_DEP_1)
	v_mul_f32_e32 v6, v15, v6
	v_and_b32_e32 v7, 0x7f800000, v6
	s_delay_alu instid0(VALU_DEP_1)
	v_cmpx_ne_u32_e32 0x7f800000, v7
	s_xor_b32 s41, exec_lo, s41
; %bb.4131:                             ;   in Loop: Header=BB12_4077 Depth=3
	v_bfe_u32 v7, v6, 16, 1
	s_delay_alu instid0(VALU_DEP_1)
	v_add3_u32 v14, v6, v7, 0x7fff
                                        ; implicit-def: $vgpr6
; %bb.4132:                             ;   in Loop: Header=BB12_4077 Depth=3
	s_and_not1_saveexec_b32 s41, s41
; %bb.4133:                             ;   in Loop: Header=BB12_4077 Depth=3
	v_and_b32_e32 v7, 0xffff, v6
	v_or_b32_e32 v14, 0x10000, v6
	s_delay_alu instid0(VALU_DEP_2) | instskip(NEXT) | instid1(VALU_DEP_2)
	v_cmp_eq_u32_e32 vcc_lo, 0, v7
	v_cndmask_b32_e32 v14, v14, v6, vcc_lo
; %bb.4134:                             ;   in Loop: Header=BB12_4077 Depth=3
	s_or_b32 exec_lo, exec_lo, s41
	v_lshlrev_b32_e32 v6, 16, v69
	s_delay_alu instid0(VALU_DEP_1) | instskip(NEXT) | instid1(VALU_DEP_1)
	v_mul_f32_e32 v6, v15, v6
	v_and_b32_e32 v7, 0x7f800000, v6
	s_delay_alu instid0(VALU_DEP_1) | instskip(SKIP_1) | instid1(SALU_CYCLE_1)
	v_cmp_ne_u32_e32 vcc_lo, 0x7f800000, v7
                                        ; implicit-def: $vgpr7
	s_and_saveexec_b32 s41, vcc_lo
	s_xor_b32 s41, exec_lo, s41
; %bb.4135:                             ;   in Loop: Header=BB12_4077 Depth=3
	v_bfe_u32 v7, v6, 16, 1
	s_delay_alu instid0(VALU_DEP_1)
	v_add3_u32 v7, v6, v7, 0x7fff
                                        ; implicit-def: $vgpr6
; %bb.4136:                             ;   in Loop: Header=BB12_4077 Depth=3
	s_and_not1_saveexec_b32 s41, s41
; %bb.4137:                             ;   in Loop: Header=BB12_4077 Depth=3
	v_and_b32_e32 v7, 0xffff, v6
	v_or_b32_e32 v69, 0x10000, v6
	s_delay_alu instid0(VALU_DEP_2) | instskip(NEXT) | instid1(VALU_DEP_2)
	v_cmp_eq_u32_e32 vcc_lo, 0, v7
	v_cndmask_b32_e32 v7, v69, v6, vcc_lo
; %bb.4138:                             ;   in Loop: Header=BB12_4077 Depth=3
	s_or_b32 exec_lo, exec_lo, s41
	v_lshlrev_b32_e32 v6, 16, v68
	s_delay_alu instid0(VALU_DEP_1) | instskip(NEXT) | instid1(VALU_DEP_1)
	v_mul_f32_e32 v15, v15, v6
	v_and_b32_e32 v6, 0x7f800000, v15
	s_delay_alu instid0(VALU_DEP_1) | instskip(SKIP_1) | instid1(SALU_CYCLE_1)
	v_cmp_ne_u32_e32 vcc_lo, 0x7f800000, v6
                                        ; implicit-def: $vgpr6
	s_and_saveexec_b32 s41, vcc_lo
	s_xor_b32 s41, exec_lo, s41
; %bb.4139:                             ;   in Loop: Header=BB12_4077 Depth=3
	v_bfe_u32 v6, v15, 16, 1
	s_delay_alu instid0(VALU_DEP_1)
	v_add3_u32 v6, v15, v6, 0x7fff
                                        ; implicit-def: $vgpr15
; %bb.4140:                             ;   in Loop: Header=BB12_4077 Depth=3
	s_and_not1_saveexec_b32 s41, s41
; %bb.4141:                             ;   in Loop: Header=BB12_4077 Depth=3
	v_and_b32_e32 v6, 0xffff, v15
	v_or_b32_e32 v68, 0x10000, v15
	s_delay_alu instid0(VALU_DEP_2) | instskip(NEXT) | instid1(VALU_DEP_2)
	v_cmp_eq_u32_e32 vcc_lo, 0, v6
	v_cndmask_b32_e32 v6, v68, v15, vcc_lo
; %bb.4142:                             ;   in Loop: Header=BB12_4077 Depth=3
	s_or_b32 exec_lo, exec_lo, s41
	v_and_b32_e32 v0, 0xffff0000, v0
	v_lshlrev_b32_e32 v15, 16, v22
	s_delay_alu instid0(VALU_DEP_1) | instskip(NEXT) | instid1(VALU_DEP_1)
	v_add_f32_e32 v15, v15, v0
	v_and_b32_e32 v0, 0x7f800000, v15
	s_delay_alu instid0(VALU_DEP_1) | instskip(SKIP_1) | instid1(SALU_CYCLE_1)
	v_cmp_ne_u32_e32 vcc_lo, 0x7f800000, v0
                                        ; implicit-def: $vgpr0
	s_and_saveexec_b32 s41, vcc_lo
	s_xor_b32 s41, exec_lo, s41
; %bb.4143:                             ;   in Loop: Header=BB12_4077 Depth=3
	v_bfe_u32 v0, v15, 16, 1
	s_delay_alu instid0(VALU_DEP_1)
	v_add3_u32 v0, v15, v0, 0x7fff
                                        ; implicit-def: $vgpr15
; %bb.4144:                             ;   in Loop: Header=BB12_4077 Depth=3
	s_and_not1_saveexec_b32 s41, s41
; %bb.4145:                             ;   in Loop: Header=BB12_4077 Depth=3
	v_and_b32_e32 v0, 0xffff, v15
	v_or_b32_e32 v68, 0x10000, v15
	s_delay_alu instid0(VALU_DEP_2) | instskip(NEXT) | instid1(VALU_DEP_2)
	v_cmp_eq_u32_e32 vcc_lo, 0, v0
	v_cndmask_b32_e32 v0, v68, v15, vcc_lo
; %bb.4146:                             ;   in Loop: Header=BB12_4077 Depth=3
	s_or_b32 exec_lo, exec_lo, s41
	v_and_b32_e32 v15, 0xffff0000, v44
	v_lshlrev_b32_e32 v68, 16, v23
	s_delay_alu instid0(VALU_DEP_1) | instskip(NEXT) | instid1(VALU_DEP_1)
	v_add_f32_e32 v68, v68, v15
	v_and_b32_e32 v15, 0x7f800000, v68
	s_delay_alu instid0(VALU_DEP_1) | instskip(SKIP_1) | instid1(SALU_CYCLE_1)
	v_cmp_ne_u32_e32 vcc_lo, 0x7f800000, v15
                                        ; implicit-def: $vgpr15
	s_and_saveexec_b32 s41, vcc_lo
	s_xor_b32 s41, exec_lo, s41
; %bb.4147:                             ;   in Loop: Header=BB12_4077 Depth=3
	v_bfe_u32 v15, v68, 16, 1
	s_delay_alu instid0(VALU_DEP_1)
	v_add3_u32 v15, v68, v15, 0x7fff
                                        ; implicit-def: $vgpr68
; %bb.4148:                             ;   in Loop: Header=BB12_4077 Depth=3
	s_and_not1_saveexec_b32 s41, s41
; %bb.4149:                             ;   in Loop: Header=BB12_4077 Depth=3
	v_and_b32_e32 v15, 0xffff, v68
	v_or_b32_e32 v69, 0x10000, v68
	s_delay_alu instid0(VALU_DEP_2) | instskip(NEXT) | instid1(VALU_DEP_2)
	v_cmp_eq_u32_e32 vcc_lo, 0, v15
	v_cndmask_b32_e32 v15, v69, v68, vcc_lo
; %bb.4150:                             ;   in Loop: Header=BB12_4077 Depth=3
	s_or_b32 exec_lo, exec_lo, s41
	v_and_b32_e32 v68, 0xffff0000, v119
	v_lshlrev_b32_e32 v69, 16, v24
	s_delay_alu instid0(VALU_DEP_1) | instskip(NEXT) | instid1(VALU_DEP_1)
	v_add_f32_e32 v69, v69, v68
	v_and_b32_e32 v68, 0x7f800000, v69
	s_delay_alu instid0(VALU_DEP_1) | instskip(SKIP_1) | instid1(SALU_CYCLE_1)
	v_cmp_ne_u32_e32 vcc_lo, 0x7f800000, v68
                                        ; implicit-def: $vgpr68
	s_and_saveexec_b32 s41, vcc_lo
	s_xor_b32 s41, exec_lo, s41
; %bb.4151:                             ;   in Loop: Header=BB12_4077 Depth=3
	v_bfe_u32 v68, v69, 16, 1
	s_delay_alu instid0(VALU_DEP_1)
	v_add3_u32 v68, v69, v68, 0x7fff
                                        ; implicit-def: $vgpr69
; %bb.4152:                             ;   in Loop: Header=BB12_4077 Depth=3
	s_and_not1_saveexec_b32 s41, s41
; %bb.4153:                             ;   in Loop: Header=BB12_4077 Depth=3
	v_and_b32_e32 v68, 0xffff, v69
	v_or_b32_e32 v71, 0x10000, v69
	s_delay_alu instid0(VALU_DEP_2) | instskip(NEXT) | instid1(VALU_DEP_2)
	v_cmp_eq_u32_e32 vcc_lo, 0, v68
	v_cndmask_b32_e32 v68, v71, v69, vcc_lo
; %bb.4154:                             ;   in Loop: Header=BB12_4077 Depth=3
	s_or_b32 exec_lo, exec_lo, s41
	v_and_b32_e32 v69, 0xffff0000, v115
	v_lshlrev_b32_e32 v71, 16, v25
	s_mov_b32 s41, exec_lo
                                        ; implicit-def: $vgpr115
	s_delay_alu instid0(VALU_DEP_1) | instskip(NEXT) | instid1(VALU_DEP_1)
	v_add_f32_e32 v69, v71, v69
	v_and_b32_e32 v71, 0x7f800000, v69
	s_delay_alu instid0(VALU_DEP_1)
	v_cmpx_ne_u32_e32 0x7f800000, v71
	s_xor_b32 s41, exec_lo, s41
; %bb.4155:                             ;   in Loop: Header=BB12_4077 Depth=3
	v_bfe_u32 v71, v69, 16, 1
	s_delay_alu instid0(VALU_DEP_1)
	v_add3_u32 v115, v69, v71, 0x7fff
                                        ; implicit-def: $vgpr69
; %bb.4156:                             ;   in Loop: Header=BB12_4077 Depth=3
	s_and_not1_saveexec_b32 s41, s41
; %bb.4157:                             ;   in Loop: Header=BB12_4077 Depth=3
	v_and_b32_e32 v71, 0xffff, v69
	v_or_b32_e32 v81, 0x10000, v69
	s_delay_alu instid0(VALU_DEP_2) | instskip(NEXT) | instid1(VALU_DEP_2)
	v_cmp_eq_u32_e32 vcc_lo, 0, v71
	v_cndmask_b32_e32 v115, v81, v69, vcc_lo
; %bb.4158:                             ;   in Loop: Header=BB12_4077 Depth=3
	s_or_b32 exec_lo, exec_lo, s41
	v_and_b32_e32 v69, 0xffff0000, v113
	v_lshlrev_b32_e32 v71, 16, v26
	s_mov_b32 s41, exec_lo
                                        ; implicit-def: $vgpr113
	s_delay_alu instid0(VALU_DEP_1) | instskip(NEXT) | instid1(VALU_DEP_1)
	v_add_f32_e32 v69, v71, v69
	v_and_b32_e32 v71, 0x7f800000, v69
	s_delay_alu instid0(VALU_DEP_1)
	v_cmpx_ne_u32_e32 0x7f800000, v71
	s_xor_b32 s41, exec_lo, s41
; %bb.4159:                             ;   in Loop: Header=BB12_4077 Depth=3
	v_bfe_u32 v71, v69, 16, 1
	s_delay_alu instid0(VALU_DEP_1)
	v_add3_u32 v113, v69, v71, 0x7fff
                                        ; implicit-def: $vgpr69
; %bb.4160:                             ;   in Loop: Header=BB12_4077 Depth=3
	s_and_not1_saveexec_b32 s41, s41
; %bb.4161:                             ;   in Loop: Header=BB12_4077 Depth=3
	v_and_b32_e32 v71, 0xffff, v69
	v_or_b32_e32 v81, 0x10000, v69
	s_delay_alu instid0(VALU_DEP_2) | instskip(NEXT) | instid1(VALU_DEP_2)
	v_cmp_eq_u32_e32 vcc_lo, 0, v71
	v_cndmask_b32_e32 v113, v81, v69, vcc_lo
; %bb.4162:                             ;   in Loop: Header=BB12_4077 Depth=3
	s_or_b32 exec_lo, exec_lo, s41
	v_and_b32_e32 v69, 0xffff0000, v103
	v_lshlrev_b32_e32 v71, 16, v27
	s_mov_b32 s41, exec_lo
                                        ; implicit-def: $vgpr103
	s_delay_alu instid0(VALU_DEP_1) | instskip(NEXT) | instid1(VALU_DEP_1)
	v_add_f32_e32 v69, v71, v69
	v_and_b32_e32 v71, 0x7f800000, v69
	s_delay_alu instid0(VALU_DEP_1)
	v_cmpx_ne_u32_e32 0x7f800000, v71
	s_xor_b32 s41, exec_lo, s41
; %bb.4163:                             ;   in Loop: Header=BB12_4077 Depth=3
	v_bfe_u32 v71, v69, 16, 1
	s_delay_alu instid0(VALU_DEP_1)
	v_add3_u32 v103, v69, v71, 0x7fff
                                        ; implicit-def: $vgpr69
; %bb.4164:                             ;   in Loop: Header=BB12_4077 Depth=3
	s_and_not1_saveexec_b32 s41, s41
; %bb.4165:                             ;   in Loop: Header=BB12_4077 Depth=3
	v_and_b32_e32 v71, 0xffff, v69
	v_or_b32_e32 v81, 0x10000, v69
	s_delay_alu instid0(VALU_DEP_2) | instskip(NEXT) | instid1(VALU_DEP_2)
	v_cmp_eq_u32_e32 vcc_lo, 0, v71
	v_cndmask_b32_e32 v103, v81, v69, vcc_lo
; %bb.4166:                             ;   in Loop: Header=BB12_4077 Depth=3
	s_or_b32 exec_lo, exec_lo, s41
	v_and_b32_e32 v69, 0xffff0000, v101
	v_lshlrev_b32_e32 v71, 16, v30
	s_mov_b32 s41, exec_lo
                                        ; implicit-def: $vgpr101
	s_delay_alu instid0(VALU_DEP_1) | instskip(NEXT) | instid1(VALU_DEP_1)
	v_add_f32_e32 v69, v71, v69
	v_and_b32_e32 v71, 0x7f800000, v69
	s_delay_alu instid0(VALU_DEP_1)
	v_cmpx_ne_u32_e32 0x7f800000, v71
	s_xor_b32 s41, exec_lo, s41
; %bb.4167:                             ;   in Loop: Header=BB12_4077 Depth=3
	v_bfe_u32 v71, v69, 16, 1
	s_delay_alu instid0(VALU_DEP_1)
	v_add3_u32 v101, v69, v71, 0x7fff
                                        ; implicit-def: $vgpr69
; %bb.4168:                             ;   in Loop: Header=BB12_4077 Depth=3
	s_and_not1_saveexec_b32 s41, s41
; %bb.4169:                             ;   in Loop: Header=BB12_4077 Depth=3
	v_and_b32_e32 v71, 0xffff, v69
	v_or_b32_e32 v81, 0x10000, v69
	s_delay_alu instid0(VALU_DEP_2) | instskip(NEXT) | instid1(VALU_DEP_2)
	v_cmp_eq_u32_e32 vcc_lo, 0, v71
	v_cndmask_b32_e32 v101, v81, v69, vcc_lo
; %bb.4170:                             ;   in Loop: Header=BB12_4077 Depth=3
	s_or_b32 exec_lo, exec_lo, s41
	v_and_b32_e32 v69, 0xffff0000, v99
	v_lshlrev_b32_e32 v71, 16, v31
	s_mov_b32 s41, exec_lo
                                        ; implicit-def: $vgpr99
	s_delay_alu instid0(VALU_DEP_1) | instskip(NEXT) | instid1(VALU_DEP_1)
	v_add_f32_e32 v69, v71, v69
	v_and_b32_e32 v71, 0x7f800000, v69
	s_delay_alu instid0(VALU_DEP_1)
	v_cmpx_ne_u32_e32 0x7f800000, v71
	s_xor_b32 s41, exec_lo, s41
; %bb.4171:                             ;   in Loop: Header=BB12_4077 Depth=3
	v_bfe_u32 v71, v69, 16, 1
	s_delay_alu instid0(VALU_DEP_1)
	v_add3_u32 v99, v69, v71, 0x7fff
                                        ; implicit-def: $vgpr69
; %bb.4172:                             ;   in Loop: Header=BB12_4077 Depth=3
	s_and_not1_saveexec_b32 s41, s41
; %bb.4173:                             ;   in Loop: Header=BB12_4077 Depth=3
	v_and_b32_e32 v71, 0xffff, v69
	v_or_b32_e32 v81, 0x10000, v69
	s_delay_alu instid0(VALU_DEP_2) | instskip(NEXT) | instid1(VALU_DEP_2)
	v_cmp_eq_u32_e32 vcc_lo, 0, v71
	v_cndmask_b32_e32 v99, v81, v69, vcc_lo
; %bb.4174:                             ;   in Loop: Header=BB12_4077 Depth=3
	s_or_b32 exec_lo, exec_lo, s41
	v_and_b32_e32 v69, 0xffff0000, v97
	v_lshlrev_b32_e32 v71, 16, v32
	s_mov_b32 s41, exec_lo
                                        ; implicit-def: $vgpr97
	s_delay_alu instid0(VALU_DEP_1) | instskip(NEXT) | instid1(VALU_DEP_1)
	v_add_f32_e32 v69, v71, v69
	v_and_b32_e32 v71, 0x7f800000, v69
	s_delay_alu instid0(VALU_DEP_1)
	v_cmpx_ne_u32_e32 0x7f800000, v71
	s_xor_b32 s41, exec_lo, s41
; %bb.4175:                             ;   in Loop: Header=BB12_4077 Depth=3
	v_bfe_u32 v71, v69, 16, 1
	s_delay_alu instid0(VALU_DEP_1)
	v_add3_u32 v97, v69, v71, 0x7fff
                                        ; implicit-def: $vgpr69
; %bb.4176:                             ;   in Loop: Header=BB12_4077 Depth=3
	s_and_not1_saveexec_b32 s41, s41
; %bb.4177:                             ;   in Loop: Header=BB12_4077 Depth=3
	v_and_b32_e32 v71, 0xffff, v69
	v_or_b32_e32 v81, 0x10000, v69
	s_delay_alu instid0(VALU_DEP_2) | instskip(NEXT) | instid1(VALU_DEP_2)
	v_cmp_eq_u32_e32 vcc_lo, 0, v71
	v_cndmask_b32_e32 v97, v81, v69, vcc_lo
; %bb.4178:                             ;   in Loop: Header=BB12_4077 Depth=3
	s_or_b32 exec_lo, exec_lo, s41
	v_and_b32_e32 v69, 0xffff0000, v87
	v_lshlrev_b32_e32 v71, 16, v33
	s_mov_b32 s41, exec_lo
                                        ; implicit-def: $vgpr87
	s_delay_alu instid0(VALU_DEP_1) | instskip(NEXT) | instid1(VALU_DEP_1)
	v_add_f32_e32 v69, v71, v69
	v_and_b32_e32 v71, 0x7f800000, v69
	s_delay_alu instid0(VALU_DEP_1)
	v_cmpx_ne_u32_e32 0x7f800000, v71
	s_xor_b32 s41, exec_lo, s41
; %bb.4179:                             ;   in Loop: Header=BB12_4077 Depth=3
	v_bfe_u32 v71, v69, 16, 1
	s_delay_alu instid0(VALU_DEP_1)
	v_add3_u32 v87, v69, v71, 0x7fff
                                        ; implicit-def: $vgpr69
; %bb.4180:                             ;   in Loop: Header=BB12_4077 Depth=3
	s_and_not1_saveexec_b32 s41, s41
; %bb.4181:                             ;   in Loop: Header=BB12_4077 Depth=3
	v_and_b32_e32 v71, 0xffff, v69
	v_or_b32_e32 v81, 0x10000, v69
	s_delay_alu instid0(VALU_DEP_2) | instskip(NEXT) | instid1(VALU_DEP_2)
	v_cmp_eq_u32_e32 vcc_lo, 0, v71
	v_cndmask_b32_e32 v87, v81, v69, vcc_lo
; %bb.4182:                             ;   in Loop: Header=BB12_4077 Depth=3
	s_or_b32 exec_lo, exec_lo, s41
	v_and_b32_e32 v69, 0xffff0000, v85
	v_lshlrev_b32_e32 v71, 16, v34
	s_mov_b32 s41, exec_lo
                                        ; implicit-def: $vgpr85
	s_delay_alu instid0(VALU_DEP_1) | instskip(NEXT) | instid1(VALU_DEP_1)
	v_add_f32_e32 v69, v71, v69
	v_and_b32_e32 v71, 0x7f800000, v69
	s_delay_alu instid0(VALU_DEP_1)
	v_cmpx_ne_u32_e32 0x7f800000, v71
	s_xor_b32 s41, exec_lo, s41
; %bb.4183:                             ;   in Loop: Header=BB12_4077 Depth=3
	v_bfe_u32 v71, v69, 16, 1
	s_delay_alu instid0(VALU_DEP_1)
	v_add3_u32 v85, v69, v71, 0x7fff
                                        ; implicit-def: $vgpr69
; %bb.4184:                             ;   in Loop: Header=BB12_4077 Depth=3
	s_and_not1_saveexec_b32 s41, s41
; %bb.4185:                             ;   in Loop: Header=BB12_4077 Depth=3
	v_and_b32_e32 v71, 0xffff, v69
	v_or_b32_e32 v81, 0x10000, v69
	s_delay_alu instid0(VALU_DEP_2) | instskip(NEXT) | instid1(VALU_DEP_2)
	v_cmp_eq_u32_e32 vcc_lo, 0, v71
	v_cndmask_b32_e32 v85, v81, v69, vcc_lo
; %bb.4186:                             ;   in Loop: Header=BB12_4077 Depth=3
	s_or_b32 exec_lo, exec_lo, s41
	v_and_b32_e32 v17, 0xffff0000, v17
	v_lshlrev_b32_e32 v69, 16, v35
	s_delay_alu instid0(VALU_DEP_1) | instskip(NEXT) | instid1(VALU_DEP_1)
	v_add_f32_e32 v69, v69, v17
	v_and_b32_e32 v17, 0x7f800000, v69
	s_delay_alu instid0(VALU_DEP_1) | instskip(SKIP_1) | instid1(SALU_CYCLE_1)
	v_cmp_ne_u32_e32 vcc_lo, 0x7f800000, v17
                                        ; implicit-def: $vgpr17
	s_and_saveexec_b32 s41, vcc_lo
	s_xor_b32 s41, exec_lo, s41
; %bb.4187:                             ;   in Loop: Header=BB12_4077 Depth=3
	v_bfe_u32 v17, v69, 16, 1
	s_delay_alu instid0(VALU_DEP_1)
	v_add3_u32 v17, v69, v17, 0x7fff
                                        ; implicit-def: $vgpr69
; %bb.4188:                             ;   in Loop: Header=BB12_4077 Depth=3
	s_and_not1_saveexec_b32 s41, s41
; %bb.4189:                             ;   in Loop: Header=BB12_4077 Depth=3
	v_and_b32_e32 v17, 0xffff, v69
	v_or_b32_e32 v71, 0x10000, v69
	s_delay_alu instid0(VALU_DEP_2) | instskip(NEXT) | instid1(VALU_DEP_2)
	v_cmp_eq_u32_e32 vcc_lo, 0, v17
	v_cndmask_b32_e32 v17, v71, v69, vcc_lo
; %bb.4190:                             ;   in Loop: Header=BB12_4077 Depth=3
	s_or_b32 exec_lo, exec_lo, s41
	v_and_b32_e32 v16, 0xffff0000, v16
	v_lshlrev_b32_e32 v69, 16, v36
	s_delay_alu instid0(VALU_DEP_1) | instskip(NEXT) | instid1(VALU_DEP_1)
	v_add_f32_e32 v69, v69, v16
	v_and_b32_e32 v16, 0x7f800000, v69
	s_delay_alu instid0(VALU_DEP_1) | instskip(SKIP_1) | instid1(SALU_CYCLE_1)
	v_cmp_ne_u32_e32 vcc_lo, 0x7f800000, v16
                                        ; implicit-def: $vgpr16
	s_and_saveexec_b32 s41, vcc_lo
	s_xor_b32 s41, exec_lo, s41
; %bb.4191:                             ;   in Loop: Header=BB12_4077 Depth=3
	v_bfe_u32 v16, v69, 16, 1
	s_delay_alu instid0(VALU_DEP_1)
	v_add3_u32 v16, v69, v16, 0x7fff
                                        ; implicit-def: $vgpr69
; %bb.4192:                             ;   in Loop: Header=BB12_4077 Depth=3
	s_and_not1_saveexec_b32 s41, s41
; %bb.4193:                             ;   in Loop: Header=BB12_4077 Depth=3
	v_and_b32_e32 v16, 0xffff, v69
	v_or_b32_e32 v71, 0x10000, v69
	s_delay_alu instid0(VALU_DEP_2) | instskip(NEXT) | instid1(VALU_DEP_2)
	v_cmp_eq_u32_e32 vcc_lo, 0, v16
	v_cndmask_b32_e32 v16, v71, v69, vcc_lo
; %bb.4194:                             ;   in Loop: Header=BB12_4077 Depth=3
	s_or_b32 exec_lo, exec_lo, s41
	v_and_b32_e32 v14, 0xffff0000, v14
	v_lshlrev_b32_e32 v69, 16, v37
	s_delay_alu instid0(VALU_DEP_1) | instskip(NEXT) | instid1(VALU_DEP_1)
	v_add_f32_e32 v69, v69, v14
	v_and_b32_e32 v14, 0x7f800000, v69
	s_delay_alu instid0(VALU_DEP_1) | instskip(SKIP_1) | instid1(SALU_CYCLE_1)
	v_cmp_ne_u32_e32 vcc_lo, 0x7f800000, v14
                                        ; implicit-def: $vgpr14
	s_and_saveexec_b32 s41, vcc_lo
	s_xor_b32 s41, exec_lo, s41
; %bb.4195:                             ;   in Loop: Header=BB12_4077 Depth=3
	v_bfe_u32 v14, v69, 16, 1
	s_delay_alu instid0(VALU_DEP_1)
	v_add3_u32 v14, v69, v14, 0x7fff
                                        ; implicit-def: $vgpr69
; %bb.4196:                             ;   in Loop: Header=BB12_4077 Depth=3
	s_and_not1_saveexec_b32 s41, s41
; %bb.4197:                             ;   in Loop: Header=BB12_4077 Depth=3
	v_and_b32_e32 v14, 0xffff, v69
	v_or_b32_e32 v71, 0x10000, v69
	s_delay_alu instid0(VALU_DEP_2) | instskip(NEXT) | instid1(VALU_DEP_2)
	v_cmp_eq_u32_e32 vcc_lo, 0, v14
	v_cndmask_b32_e32 v14, v71, v69, vcc_lo
; %bb.4198:                             ;   in Loop: Header=BB12_4077 Depth=3
	s_or_b32 exec_lo, exec_lo, s41
	v_and_b32_e32 v7, 0xffff0000, v7
	v_lshlrev_b32_e32 v69, 16, v38
	s_delay_alu instid0(VALU_DEP_1) | instskip(NEXT) | instid1(VALU_DEP_1)
	v_add_f32_e32 v69, v69, v7
	v_and_b32_e32 v7, 0x7f800000, v69
	s_delay_alu instid0(VALU_DEP_1) | instskip(SKIP_1) | instid1(SALU_CYCLE_1)
	v_cmp_ne_u32_e32 vcc_lo, 0x7f800000, v7
                                        ; implicit-def: $vgpr7
	s_and_saveexec_b32 s41, vcc_lo
	s_xor_b32 s41, exec_lo, s41
; %bb.4199:                             ;   in Loop: Header=BB12_4077 Depth=3
	v_bfe_u32 v7, v69, 16, 1
	s_delay_alu instid0(VALU_DEP_1)
	v_add3_u32 v7, v69, v7, 0x7fff
                                        ; implicit-def: $vgpr69
; %bb.4200:                             ;   in Loop: Header=BB12_4077 Depth=3
	s_and_not1_saveexec_b32 s41, s41
; %bb.4201:                             ;   in Loop: Header=BB12_4077 Depth=3
	v_and_b32_e32 v7, 0xffff, v69
	v_or_b32_e32 v71, 0x10000, v69
	s_delay_alu instid0(VALU_DEP_2) | instskip(NEXT) | instid1(VALU_DEP_2)
	v_cmp_eq_u32_e32 vcc_lo, 0, v7
	v_cndmask_b32_e32 v7, v71, v69, vcc_lo
; %bb.4202:                             ;   in Loop: Header=BB12_4077 Depth=3
	s_or_b32 exec_lo, exec_lo, s41
	v_and_b32_e32 v6, 0xffff0000, v6
	v_lshlrev_b32_e32 v69, 16, v39
	s_delay_alu instid0(VALU_DEP_1) | instskip(NEXT) | instid1(VALU_DEP_1)
	v_add_f32_e32 v69, v69, v6
	v_and_b32_e32 v6, 0x7f800000, v69
	s_delay_alu instid0(VALU_DEP_1) | instskip(SKIP_1) | instid1(SALU_CYCLE_1)
	v_cmp_ne_u32_e32 vcc_lo, 0x7f800000, v6
                                        ; implicit-def: $vgpr6
	s_and_saveexec_b32 s41, vcc_lo
	s_xor_b32 s41, exec_lo, s41
; %bb.4203:                             ;   in Loop: Header=BB12_4077 Depth=3
	v_bfe_u32 v6, v69, 16, 1
	s_delay_alu instid0(VALU_DEP_1)
	v_add3_u32 v6, v69, v6, 0x7fff
                                        ; implicit-def: $vgpr69
; %bb.4204:                             ;   in Loop: Header=BB12_4077 Depth=3
	s_and_not1_saveexec_b32 s41, s41
; %bb.4205:                             ;   in Loop: Header=BB12_4077 Depth=3
	v_and_b32_e32 v6, 0xffff, v69
	v_or_b32_e32 v71, 0x10000, v69
	s_delay_alu instid0(VALU_DEP_2) | instskip(NEXT) | instid1(VALU_DEP_2)
	v_cmp_eq_u32_e32 vcc_lo, 0, v6
	v_cndmask_b32_e32 v6, v71, v69, vcc_lo
; %bb.4206:                             ;   in Loop: Header=BB12_4077 Depth=3
	s_or_b32 exec_lo, exec_lo, s41
	v_dual_lshrrev_b32 v113, 16, v113 :: v_dual_lshrrev_b32 v124, 16, v0
	v_dual_lshrrev_b32 v63, 16, v15 :: v_dual_lshrrev_b32 v119, 16, v68
	s_delay_alu instid0(VALU_DEP_3)
	v_dual_lshrrev_b32 v115, 16, v115 :: v_dual_lshrrev_b32 v68, 16, v6
	v_dual_lshrrev_b32 v69, 16, v7 :: v_dual_lshrrev_b32 v71, 16, v14
	;; [unrolled: 1-line block ×6, first 2 shown]
	s_clause 0xf
	flat_store_b16 v[8:9], v124 th:TH_STORE_NT
	flat_store_b16 v[8:9], v63 offset:64 th:TH_STORE_NT
	flat_store_b16 v[8:9], v119 offset:128 th:TH_STORE_NT
	;; [unrolled: 1-line block ×15, first 2 shown]
	s_clause 0xf
	flat_store_b16 v[4:5], v124 th:TH_STORE_NT
	flat_store_b16 v[4:5], v63 offset:64 th:TH_STORE_NT
	flat_store_b16 v[4:5], v119 offset:128 th:TH_STORE_NT
	;; [unrolled: 1-line block ×15, first 2 shown]
	s_wait_xcnt 0x10
	v_add_nc_u64_e32 v[8:9], v[8:9], v[108:109]
	s_wait_xcnt 0x0
	v_add_nc_u64_e32 v[4:5], v[4:5], v[108:109]
.LBB12_4207:                            ;   in Loop: Header=BB12_4077 Depth=3
	s_or_b32 exec_lo, exec_lo, s76
	v_sub_nc_u32_e32 v20, v20, v60
	v_add_nc_u64_e32 v[10:11], v[10:11], v[108:109]
	v_add_nc_u64_e32 v[12:13], v[12:13], v[108:109]
	s_delay_alu instid0(VALU_DEP_3)
	v_cmp_lt_i32_e64 s41, 0, v20
	s_and_saveexec_b32 s76, s41
	s_cbranch_execz .LBB12_4209
; %bb.4208:                             ;   in Loop: Header=BB12_4077 Depth=3
	s_clause 0xf
	flat_load_u16 v124, v[10:11] th:TH_LOAD_NT
	flat_load_u16 v63, v[10:11] offset:64 th:TH_LOAD_NT
	flat_load_u16 v119, v[10:11] offset:128 th:TH_LOAD_NT
	;; [unrolled: 1-line block ×15, first 2 shown]
	s_clause 0xf
	flat_load_u16 v22, v[12:13] th:TH_LOAD_NT
	flat_load_u16 v23, v[12:13] offset:64 th:TH_LOAD_NT
	flat_load_u16 v24, v[12:13] offset:128 th:TH_LOAD_NT
	;; [unrolled: 1-line block ×15, first 2 shown]
	s_wait_xcnt 0x10
	v_add_nc_u64_e32 v[10:11], 0x400, v[10:11]
	s_wait_xcnt 0x0
	v_add_nc_u64_e32 v[12:13], 0x400, v[12:13]
.LBB12_4209:                            ;   in Loop: Header=BB12_4077 Depth=3
	s_or_b32 exec_lo, exec_lo, s76
	s_trap 2
	ds_load_b32 v0, v0
	s_wait_loadcnt_dscnt 0x1f00
	v_dual_lshlrev_b32 v14, 16, v78 :: v_dual_lshlrev_b32 v15, 16, v0
	s_delay_alu instid0(VALU_DEP_1) | instskip(SKIP_1) | instid1(VALU_DEP_1)
	v_mov_b32_e32 v0, v15
	s_wait_loadcnt 0x1e
	v_pk_mul_f32 v[16:17], v[0:1], v[14:15]
	s_delay_alu instid0(VALU_DEP_1) | instskip(NEXT) | instid1(VALU_DEP_1)
	v_and_b32_e32 v0, 0x7f800000, v16
	v_cmp_ne_u32_e32 vcc_lo, 0x7f800000, v0
                                        ; implicit-def: $vgpr0
	s_and_saveexec_b32 s76, vcc_lo
	s_delay_alu instid0(SALU_CYCLE_1)
	s_xor_b32 s76, exec_lo, s76
; %bb.4210:                             ;   in Loop: Header=BB12_4077 Depth=3
	v_bfe_u32 v0, v16, 16, 1
	s_delay_alu instid0(VALU_DEP_1)
	v_add3_u32 v0, v16, v0, 0x7fff
                                        ; implicit-def: $vgpr16_vgpr17
; %bb.4211:                             ;   in Loop: Header=BB12_4077 Depth=3
	s_and_not1_saveexec_b32 s76, s76
; %bb.4212:                             ;   in Loop: Header=BB12_4077 Depth=3
	v_and_b32_e32 v0, 0xffff, v16
	v_or_b32_e32 v6, 0x10000, v16
	s_delay_alu instid0(VALU_DEP_2) | instskip(NEXT) | instid1(VALU_DEP_2)
	v_cmp_eq_u32_e32 vcc_lo, 0, v0
	v_cndmask_b32_e32 v0, v6, v16, vcc_lo
; %bb.4213:                             ;   in Loop: Header=BB12_4077 Depth=3
	s_or_b32 exec_lo, exec_lo, s76
	v_lshlrev_b32_e32 v1, 16, v1
	s_mov_b32 s76, exec_lo
                                        ; implicit-def: $vgpr78
	s_delay_alu instid0(VALU_DEP_1) | instskip(NEXT) | instid1(VALU_DEP_1)
	v_mul_f32_e32 v1, v15, v1
	v_and_b32_e32 v6, 0x7f800000, v1
	s_delay_alu instid0(VALU_DEP_1)
	v_cmpx_ne_u32_e32 0x7f800000, v6
	s_xor_b32 s76, exec_lo, s76
; %bb.4214:                             ;   in Loop: Header=BB12_4077 Depth=3
	v_bfe_u32 v6, v1, 16, 1
	s_delay_alu instid0(VALU_DEP_1)
	v_add3_u32 v78, v1, v6, 0x7fff
                                        ; implicit-def: $vgpr1
; %bb.4215:                             ;   in Loop: Header=BB12_4077 Depth=3
	s_and_not1_saveexec_b32 s76, s76
; %bb.4216:                             ;   in Loop: Header=BB12_4077 Depth=3
	v_and_b32_e32 v6, 0xffff, v1
	v_or_b32_e32 v7, 0x10000, v1
	s_delay_alu instid0(VALU_DEP_2) | instskip(NEXT) | instid1(VALU_DEP_2)
	v_cmp_eq_u32_e32 vcc_lo, 0, v6
	v_cndmask_b32_e32 v78, v7, v1, vcc_lo
; %bb.4217:                             ;   in Loop: Header=BB12_4077 Depth=3
	s_or_b32 exec_lo, exec_lo, s76
	s_wait_loadcnt 0x1d
	v_lshlrev_b32_e32 v1, 16, v43
	s_mov_b32 s76, exec_lo
                                        ; implicit-def: $vgpr47
	s_delay_alu instid0(VALU_DEP_1) | instskip(NEXT) | instid1(VALU_DEP_1)
	v_mul_f32_e32 v1, v15, v1
	v_and_b32_e32 v6, 0x7f800000, v1
	s_delay_alu instid0(VALU_DEP_1)
	v_cmpx_ne_u32_e32 0x7f800000, v6
	s_xor_b32 s76, exec_lo, s76
; %bb.4218:                             ;   in Loop: Header=BB12_4077 Depth=3
	v_bfe_u32 v6, v1, 16, 1
	s_delay_alu instid0(VALU_DEP_1)
	v_add3_u32 v47, v1, v6, 0x7fff
                                        ; implicit-def: $vgpr1
; %bb.4219:                             ;   in Loop: Header=BB12_4077 Depth=3
	s_and_not1_saveexec_b32 s76, s76
; %bb.4220:                             ;   in Loop: Header=BB12_4077 Depth=3
	v_and_b32_e32 v6, 0xffff, v1
	v_or_b32_e32 v7, 0x10000, v1
	s_delay_alu instid0(VALU_DEP_2) | instskip(NEXT) | instid1(VALU_DEP_2)
	v_cmp_eq_u32_e32 vcc_lo, 0, v6
	v_cndmask_b32_e32 v47, v7, v1, vcc_lo
; %bb.4221:                             ;   in Loop: Header=BB12_4077 Depth=3
	s_or_b32 exec_lo, exec_lo, s76
	s_wait_loadcnt 0x1c
	v_lshlrev_b32_e32 v1, 16, v42
	s_mov_b32 s76, exec_lo
                                        ; implicit-def: $vgpr46
	s_delay_alu instid0(VALU_DEP_1) | instskip(NEXT) | instid1(VALU_DEP_1)
	v_mul_f32_e32 v1, v15, v1
	v_and_b32_e32 v6, 0x7f800000, v1
	s_delay_alu instid0(VALU_DEP_1)
	v_cmpx_ne_u32_e32 0x7f800000, v6
	s_xor_b32 s76, exec_lo, s76
; %bb.4222:                             ;   in Loop: Header=BB12_4077 Depth=3
	v_bfe_u32 v6, v1, 16, 1
	s_delay_alu instid0(VALU_DEP_1)
	v_add3_u32 v46, v1, v6, 0x7fff
                                        ; implicit-def: $vgpr1
; %bb.4223:                             ;   in Loop: Header=BB12_4077 Depth=3
	s_and_not1_saveexec_b32 s76, s76
; %bb.4224:                             ;   in Loop: Header=BB12_4077 Depth=3
	v_and_b32_e32 v6, 0xffff, v1
	v_or_b32_e32 v7, 0x10000, v1
	s_delay_alu instid0(VALU_DEP_2) | instskip(NEXT) | instid1(VALU_DEP_2)
	v_cmp_eq_u32_e32 vcc_lo, 0, v6
	v_cndmask_b32_e32 v46, v7, v1, vcc_lo
; %bb.4225:                             ;   in Loop: Header=BB12_4077 Depth=3
	s_or_b32 exec_lo, exec_lo, s76
	s_wait_loadcnt 0x1b
	v_lshlrev_b32_e32 v1, 16, v29
	s_mov_b32 s76, exec_lo
                                        ; implicit-def: $vgpr45
	s_delay_alu instid0(VALU_DEP_1) | instskip(NEXT) | instid1(VALU_DEP_1)
	v_mul_f32_e32 v1, v15, v1
	v_and_b32_e32 v6, 0x7f800000, v1
	s_delay_alu instid0(VALU_DEP_1)
	v_cmpx_ne_u32_e32 0x7f800000, v6
	s_xor_b32 s76, exec_lo, s76
; %bb.4226:                             ;   in Loop: Header=BB12_4077 Depth=3
	v_bfe_u32 v6, v1, 16, 1
	s_delay_alu instid0(VALU_DEP_1)
	v_add3_u32 v45, v1, v6, 0x7fff
                                        ; implicit-def: $vgpr1
; %bb.4227:                             ;   in Loop: Header=BB12_4077 Depth=3
	s_and_not1_saveexec_b32 s76, s76
; %bb.4228:                             ;   in Loop: Header=BB12_4077 Depth=3
	v_and_b32_e32 v6, 0xffff, v1
	v_or_b32_e32 v7, 0x10000, v1
	s_delay_alu instid0(VALU_DEP_2) | instskip(NEXT) | instid1(VALU_DEP_2)
	v_cmp_eq_u32_e32 vcc_lo, 0, v6
	v_cndmask_b32_e32 v45, v7, v1, vcc_lo
; %bb.4229:                             ;   in Loop: Header=BB12_4077 Depth=3
	s_or_b32 exec_lo, exec_lo, s76
	s_wait_loadcnt 0x1a
	v_lshlrev_b32_e32 v1, 16, v125
	s_mov_b32 s76, exec_lo
                                        ; implicit-def: $vgpr44
	s_delay_alu instid0(VALU_DEP_1) | instskip(NEXT) | instid1(VALU_DEP_1)
	v_mul_f32_e32 v1, v15, v1
	v_and_b32_e32 v6, 0x7f800000, v1
	s_delay_alu instid0(VALU_DEP_1)
	v_cmpx_ne_u32_e32 0x7f800000, v6
	s_xor_b32 s76, exec_lo, s76
; %bb.4230:                             ;   in Loop: Header=BB12_4077 Depth=3
	v_bfe_u32 v6, v1, 16, 1
	s_delay_alu instid0(VALU_DEP_1)
	v_add3_u32 v44, v1, v6, 0x7fff
                                        ; implicit-def: $vgpr1
; %bb.4231:                             ;   in Loop: Header=BB12_4077 Depth=3
	s_and_not1_saveexec_b32 s76, s76
; %bb.4232:                             ;   in Loop: Header=BB12_4077 Depth=3
	v_and_b32_e32 v6, 0xffff, v1
	v_or_b32_e32 v7, 0x10000, v1
	s_delay_alu instid0(VALU_DEP_2) | instskip(NEXT) | instid1(VALU_DEP_2)
	v_cmp_eq_u32_e32 vcc_lo, 0, v6
	v_cndmask_b32_e32 v44, v7, v1, vcc_lo
; %bb.4233:                             ;   in Loop: Header=BB12_4077 Depth=3
	s_or_b32 exec_lo, exec_lo, s76
	s_wait_loadcnt 0x19
	v_lshlrev_b32_e32 v1, 16, v75
	s_mov_b32 s76, exec_lo
                                        ; implicit-def: $vgpr43
	s_delay_alu instid0(VALU_DEP_1) | instskip(NEXT) | instid1(VALU_DEP_1)
	v_mul_f32_e32 v1, v15, v1
	v_and_b32_e32 v6, 0x7f800000, v1
	s_delay_alu instid0(VALU_DEP_1)
	v_cmpx_ne_u32_e32 0x7f800000, v6
	s_xor_b32 s76, exec_lo, s76
; %bb.4234:                             ;   in Loop: Header=BB12_4077 Depth=3
	v_bfe_u32 v6, v1, 16, 1
	s_delay_alu instid0(VALU_DEP_1)
	v_add3_u32 v43, v1, v6, 0x7fff
                                        ; implicit-def: $vgpr1
; %bb.4235:                             ;   in Loop: Header=BB12_4077 Depth=3
	s_and_not1_saveexec_b32 s76, s76
; %bb.4236:                             ;   in Loop: Header=BB12_4077 Depth=3
	v_and_b32_e32 v6, 0xffff, v1
	v_or_b32_e32 v7, 0x10000, v1
	s_delay_alu instid0(VALU_DEP_2) | instskip(NEXT) | instid1(VALU_DEP_2)
	v_cmp_eq_u32_e32 vcc_lo, 0, v6
	v_cndmask_b32_e32 v43, v7, v1, vcc_lo
; %bb.4237:                             ;   in Loop: Header=BB12_4077 Depth=3
	s_or_b32 exec_lo, exec_lo, s76
	s_wait_loadcnt 0x18
	v_lshlrev_b32_e32 v1, 16, v62
	s_mov_b32 s76, exec_lo
                                        ; implicit-def: $vgpr42
	s_delay_alu instid0(VALU_DEP_1) | instskip(NEXT) | instid1(VALU_DEP_1)
	v_mul_f32_e32 v1, v15, v1
	v_and_b32_e32 v6, 0x7f800000, v1
	s_delay_alu instid0(VALU_DEP_1)
	v_cmpx_ne_u32_e32 0x7f800000, v6
	s_xor_b32 s76, exec_lo, s76
; %bb.4238:                             ;   in Loop: Header=BB12_4077 Depth=3
	v_bfe_u32 v6, v1, 16, 1
	s_delay_alu instid0(VALU_DEP_1)
	v_add3_u32 v42, v1, v6, 0x7fff
                                        ; implicit-def: $vgpr1
; %bb.4239:                             ;   in Loop: Header=BB12_4077 Depth=3
	s_and_not1_saveexec_b32 s76, s76
; %bb.4240:                             ;   in Loop: Header=BB12_4077 Depth=3
	v_and_b32_e32 v6, 0xffff, v1
	v_or_b32_e32 v7, 0x10000, v1
	s_delay_alu instid0(VALU_DEP_2) | instskip(NEXT) | instid1(VALU_DEP_2)
	v_cmp_eq_u32_e32 vcc_lo, 0, v6
	v_cndmask_b32_e32 v42, v7, v1, vcc_lo
; %bb.4241:                             ;   in Loop: Header=BB12_4077 Depth=3
	s_or_b32 exec_lo, exec_lo, s76
	s_wait_loadcnt 0x17
	v_lshlrev_b32_e32 v1, 16, v118
	s_mov_b32 s76, exec_lo
                                        ; implicit-def: $vgpr118
	s_delay_alu instid0(VALU_DEP_1) | instskip(NEXT) | instid1(VALU_DEP_1)
	v_mul_f32_e32 v1, v15, v1
	v_and_b32_e32 v6, 0x7f800000, v1
	s_delay_alu instid0(VALU_DEP_1)
	v_cmpx_ne_u32_e32 0x7f800000, v6
	s_xor_b32 s76, exec_lo, s76
; %bb.4242:                             ;   in Loop: Header=BB12_4077 Depth=3
	v_bfe_u32 v6, v1, 16, 1
	s_delay_alu instid0(VALU_DEP_1)
	v_add3_u32 v118, v1, v6, 0x7fff
                                        ; implicit-def: $vgpr1
; %bb.4243:                             ;   in Loop: Header=BB12_4077 Depth=3
	s_and_not1_saveexec_b32 s76, s76
; %bb.4244:                             ;   in Loop: Header=BB12_4077 Depth=3
	v_and_b32_e32 v6, 0xffff, v1
	v_or_b32_e32 v7, 0x10000, v1
	s_delay_alu instid0(VALU_DEP_2) | instskip(NEXT) | instid1(VALU_DEP_2)
	v_cmp_eq_u32_e32 vcc_lo, 0, v6
	v_cndmask_b32_e32 v118, v7, v1, vcc_lo
; %bb.4245:                             ;   in Loop: Header=BB12_4077 Depth=3
	s_or_b32 exec_lo, exec_lo, s76
	s_wait_loadcnt 0x16
	v_lshlrev_b32_e32 v1, 16, v114
	s_mov_b32 s76, exec_lo
                                        ; implicit-def: $vgpr29
	s_delay_alu instid0(VALU_DEP_1) | instskip(NEXT) | instid1(VALU_DEP_1)
	v_mul_f32_e32 v1, v15, v1
	v_and_b32_e32 v6, 0x7f800000, v1
	s_delay_alu instid0(VALU_DEP_1)
	v_cmpx_ne_u32_e32 0x7f800000, v6
	s_xor_b32 s76, exec_lo, s76
; %bb.4246:                             ;   in Loop: Header=BB12_4077 Depth=3
	v_bfe_u32 v6, v1, 16, 1
	s_delay_alu instid0(VALU_DEP_1)
	v_add3_u32 v29, v1, v6, 0x7fff
                                        ; implicit-def: $vgpr1
; %bb.4247:                             ;   in Loop: Header=BB12_4077 Depth=3
	s_and_not1_saveexec_b32 s76, s76
; %bb.4248:                             ;   in Loop: Header=BB12_4077 Depth=3
	v_and_b32_e32 v6, 0xffff, v1
	v_or_b32_e32 v7, 0x10000, v1
	s_delay_alu instid0(VALU_DEP_2) | instskip(NEXT) | instid1(VALU_DEP_2)
	v_cmp_eq_u32_e32 vcc_lo, 0, v6
	v_cndmask_b32_e32 v29, v7, v1, vcc_lo
; %bb.4249:                             ;   in Loop: Header=BB12_4077 Depth=3
	s_or_b32 exec_lo, exec_lo, s76
	s_wait_loadcnt 0x15
	v_lshlrev_b32_e32 v1, 16, v112
	s_mov_b32 s76, exec_lo
                                        ; implicit-def: $vgpr17
	s_delay_alu instid0(VALU_DEP_1) | instskip(NEXT) | instid1(VALU_DEP_1)
	v_mul_f32_e32 v1, v15, v1
	v_and_b32_e32 v6, 0x7f800000, v1
	s_delay_alu instid0(VALU_DEP_1)
	v_cmpx_ne_u32_e32 0x7f800000, v6
	s_xor_b32 s76, exec_lo, s76
; %bb.4250:                             ;   in Loop: Header=BB12_4077 Depth=3
	v_bfe_u32 v6, v1, 16, 1
	s_delay_alu instid0(VALU_DEP_1)
	v_add3_u32 v17, v1, v6, 0x7fff
                                        ; implicit-def: $vgpr1
; %bb.4251:                             ;   in Loop: Header=BB12_4077 Depth=3
	s_and_not1_saveexec_b32 s76, s76
; %bb.4252:                             ;   in Loop: Header=BB12_4077 Depth=3
	v_and_b32_e32 v6, 0xffff, v1
	v_or_b32_e32 v7, 0x10000, v1
	s_delay_alu instid0(VALU_DEP_2) | instskip(NEXT) | instid1(VALU_DEP_2)
	v_cmp_eq_u32_e32 vcc_lo, 0, v6
	v_cndmask_b32_e32 v17, v7, v1, vcc_lo
; %bb.4253:                             ;   in Loop: Header=BB12_4077 Depth=3
	s_or_b32 exec_lo, exec_lo, s76
	s_wait_loadcnt 0x14
	v_lshlrev_b32_e32 v1, 16, v102
	s_mov_b32 s76, exec_lo
                                        ; implicit-def: $vgpr16
	s_delay_alu instid0(VALU_DEP_1) | instskip(NEXT) | instid1(VALU_DEP_1)
	v_mul_f32_e32 v1, v15, v1
	v_and_b32_e32 v6, 0x7f800000, v1
	s_delay_alu instid0(VALU_DEP_1)
	v_cmpx_ne_u32_e32 0x7f800000, v6
	s_xor_b32 s76, exec_lo, s76
; %bb.4254:                             ;   in Loop: Header=BB12_4077 Depth=3
	v_bfe_u32 v6, v1, 16, 1
	s_delay_alu instid0(VALU_DEP_1)
	v_add3_u32 v16, v1, v6, 0x7fff
                                        ; implicit-def: $vgpr1
; %bb.4255:                             ;   in Loop: Header=BB12_4077 Depth=3
	s_and_not1_saveexec_b32 s76, s76
; %bb.4256:                             ;   in Loop: Header=BB12_4077 Depth=3
	v_and_b32_e32 v6, 0xffff, v1
	v_or_b32_e32 v7, 0x10000, v1
	s_delay_alu instid0(VALU_DEP_2) | instskip(NEXT) | instid1(VALU_DEP_2)
	v_cmp_eq_u32_e32 vcc_lo, 0, v6
	v_cndmask_b32_e32 v16, v7, v1, vcc_lo
; %bb.4257:                             ;   in Loop: Header=BB12_4077 Depth=3
	s_or_b32 exec_lo, exec_lo, s76
	s_wait_loadcnt 0x13
	v_lshlrev_b32_e32 v1, 16, v100
	s_mov_b32 s76, exec_lo
                                        ; implicit-def: $vgpr14
	s_delay_alu instid0(VALU_DEP_1) | instskip(NEXT) | instid1(VALU_DEP_1)
	v_mul_f32_e32 v1, v15, v1
	v_and_b32_e32 v6, 0x7f800000, v1
	s_delay_alu instid0(VALU_DEP_1)
	v_cmpx_ne_u32_e32 0x7f800000, v6
	s_xor_b32 s76, exec_lo, s76
; %bb.4258:                             ;   in Loop: Header=BB12_4077 Depth=3
	v_bfe_u32 v6, v1, 16, 1
	s_delay_alu instid0(VALU_DEP_1)
	v_add3_u32 v14, v1, v6, 0x7fff
                                        ; implicit-def: $vgpr1
; %bb.4259:                             ;   in Loop: Header=BB12_4077 Depth=3
	s_and_not1_saveexec_b32 s76, s76
; %bb.4260:                             ;   in Loop: Header=BB12_4077 Depth=3
	v_and_b32_e32 v6, 0xffff, v1
	v_or_b32_e32 v7, 0x10000, v1
	s_delay_alu instid0(VALU_DEP_2) | instskip(NEXT) | instid1(VALU_DEP_2)
	v_cmp_eq_u32_e32 vcc_lo, 0, v6
	v_cndmask_b32_e32 v14, v7, v1, vcc_lo
; %bb.4261:                             ;   in Loop: Header=BB12_4077 Depth=3
	s_or_b32 exec_lo, exec_lo, s76
	s_wait_loadcnt 0x12
	v_lshlrev_b32_e32 v1, 16, v98
	s_mov_b32 s76, exec_lo
                                        ; implicit-def: $vgpr7
	s_delay_alu instid0(VALU_DEP_1) | instskip(NEXT) | instid1(VALU_DEP_1)
	v_mul_f32_e32 v1, v15, v1
	v_and_b32_e32 v6, 0x7f800000, v1
	s_delay_alu instid0(VALU_DEP_1)
	v_cmpx_ne_u32_e32 0x7f800000, v6
	s_xor_b32 s76, exec_lo, s76
; %bb.4262:                             ;   in Loop: Header=BB12_4077 Depth=3
	v_bfe_u32 v6, v1, 16, 1
	s_delay_alu instid0(VALU_DEP_1)
	v_add3_u32 v7, v1, v6, 0x7fff
                                        ; implicit-def: $vgpr1
; %bb.4263:                             ;   in Loop: Header=BB12_4077 Depth=3
	s_and_not1_saveexec_b32 s76, s76
; %bb.4264:                             ;   in Loop: Header=BB12_4077 Depth=3
	v_and_b32_e32 v6, 0xffff, v1
	v_or_b32_e32 v7, 0x10000, v1
	s_delay_alu instid0(VALU_DEP_2) | instskip(NEXT) | instid1(VALU_DEP_2)
	v_cmp_eq_u32_e32 vcc_lo, 0, v6
	v_cndmask_b32_e32 v7, v7, v1, vcc_lo
; %bb.4265:                             ;   in Loop: Header=BB12_4077 Depth=3
	s_or_b32 exec_lo, exec_lo, s76
	s_wait_loadcnt 0x11
	v_lshlrev_b32_e32 v1, 16, v96
	s_delay_alu instid0(VALU_DEP_1) | instskip(NEXT) | instid1(VALU_DEP_1)
	v_mul_f32_e32 v1, v15, v1
	v_and_b32_e32 v6, 0x7f800000, v1
	s_delay_alu instid0(VALU_DEP_1) | instskip(SKIP_1) | instid1(SALU_CYCLE_1)
	v_cmp_ne_u32_e32 vcc_lo, 0x7f800000, v6
                                        ; implicit-def: $vgpr6
	s_and_saveexec_b32 s76, vcc_lo
	s_xor_b32 s76, exec_lo, s76
; %bb.4266:                             ;   in Loop: Header=BB12_4077 Depth=3
	v_bfe_u32 v6, v1, 16, 1
	s_delay_alu instid0(VALU_DEP_1)
	v_add3_u32 v6, v1, v6, 0x7fff
                                        ; implicit-def: $vgpr1
; %bb.4267:                             ;   in Loop: Header=BB12_4077 Depth=3
	s_and_not1_saveexec_b32 s76, s76
; %bb.4268:                             ;   in Loop: Header=BB12_4077 Depth=3
	v_and_b32_e32 v6, 0xffff, v1
	v_or_b32_e32 v96, 0x10000, v1
	s_delay_alu instid0(VALU_DEP_2) | instskip(NEXT) | instid1(VALU_DEP_2)
	v_cmp_eq_u32_e32 vcc_lo, 0, v6
	v_cndmask_b32_e32 v6, v96, v1, vcc_lo
; %bb.4269:                             ;   in Loop: Header=BB12_4077 Depth=3
	s_or_b32 exec_lo, exec_lo, s76
	s_wait_loadcnt 0x10
	v_lshlrev_b32_e32 v1, 16, v86
	s_delay_alu instid0(VALU_DEP_1) | instskip(NEXT) | instid1(VALU_DEP_1)
	v_mul_f32_e32 v15, v15, v1
	v_and_b32_e32 v1, 0x7f800000, v15
	s_delay_alu instid0(VALU_DEP_1) | instskip(SKIP_1) | instid1(SALU_CYCLE_1)
	v_cmp_ne_u32_e32 vcc_lo, 0x7f800000, v1
                                        ; implicit-def: $vgpr1
	s_and_saveexec_b32 s76, vcc_lo
	s_xor_b32 s76, exec_lo, s76
; %bb.4270:                             ;   in Loop: Header=BB12_4077 Depth=3
	v_bfe_u32 v1, v15, 16, 1
	s_delay_alu instid0(VALU_DEP_1)
	v_add3_u32 v1, v15, v1, 0x7fff
                                        ; implicit-def: $vgpr15
; %bb.4271:                             ;   in Loop: Header=BB12_4077 Depth=3
	s_and_not1_saveexec_b32 s76, s76
; %bb.4272:                             ;   in Loop: Header=BB12_4077 Depth=3
	v_and_b32_e32 v1, 0xffff, v15
	v_or_b32_e32 v86, 0x10000, v15
	s_delay_alu instid0(VALU_DEP_2) | instskip(NEXT) | instid1(VALU_DEP_2)
	v_cmp_eq_u32_e32 vcc_lo, 0, v1
	v_cndmask_b32_e32 v1, v86, v15, vcc_lo
; %bb.4273:                             ;   in Loop: Header=BB12_4077 Depth=3
	s_or_b32 exec_lo, exec_lo, s76
	v_and_b32_e32 v0, 0xffff0000, v0
	s_wait_loadcnt 0xf
	v_lshlrev_b32_e32 v15, 16, v84
	s_delay_alu instid0(VALU_DEP_1) | instskip(NEXT) | instid1(VALU_DEP_1)
	v_add_f32_e32 v15, v15, v0
	v_and_b32_e32 v0, 0x7f800000, v15
	s_delay_alu instid0(VALU_DEP_1) | instskip(SKIP_1) | instid1(SALU_CYCLE_1)
	v_cmp_ne_u32_e32 vcc_lo, 0x7f800000, v0
                                        ; implicit-def: $vgpr0
	s_and_saveexec_b32 s76, vcc_lo
	s_xor_b32 s76, exec_lo, s76
; %bb.4274:                             ;   in Loop: Header=BB12_4077 Depth=3
	v_bfe_u32 v0, v15, 16, 1
	s_delay_alu instid0(VALU_DEP_1)
	v_add3_u32 v0, v15, v0, 0x7fff
                                        ; implicit-def: $vgpr15
; %bb.4275:                             ;   in Loop: Header=BB12_4077 Depth=3
	s_and_not1_saveexec_b32 s76, s76
; %bb.4276:                             ;   in Loop: Header=BB12_4077 Depth=3
	v_and_b32_e32 v0, 0xffff, v15
	v_or_b32_e32 v84, 0x10000, v15
	s_delay_alu instid0(VALU_DEP_2) | instskip(NEXT) | instid1(VALU_DEP_2)
	v_cmp_eq_u32_e32 vcc_lo, 0, v0
	v_cndmask_b32_e32 v0, v84, v15, vcc_lo
; %bb.4277:                             ;   in Loop: Header=BB12_4077 Depth=3
	s_or_b32 exec_lo, exec_lo, s76
	v_and_b32_e32 v15, 0xffff0000, v78
	s_wait_loadcnt 0xe
	v_lshlrev_b32_e32 v82, 16, v82
	s_delay_alu instid0(VALU_DEP_1) | instskip(NEXT) | instid1(VALU_DEP_1)
	v_add_f32_e32 v82, v82, v15
	v_and_b32_e32 v15, 0x7f800000, v82
	s_delay_alu instid0(VALU_DEP_1) | instskip(SKIP_1) | instid1(SALU_CYCLE_1)
	v_cmp_ne_u32_e32 vcc_lo, 0x7f800000, v15
                                        ; implicit-def: $vgpr15
	s_and_saveexec_b32 s76, vcc_lo
	s_xor_b32 s76, exec_lo, s76
; %bb.4278:                             ;   in Loop: Header=BB12_4077 Depth=3
	v_bfe_u32 v15, v82, 16, 1
	s_delay_alu instid0(VALU_DEP_1)
	v_add3_u32 v15, v82, v15, 0x7fff
                                        ; implicit-def: $vgpr82
; %bb.4279:                             ;   in Loop: Header=BB12_4077 Depth=3
	s_and_not1_saveexec_b32 s76, s76
; %bb.4280:                             ;   in Loop: Header=BB12_4077 Depth=3
	v_and_b32_e32 v15, 0xffff, v82
	v_or_b32_e32 v84, 0x10000, v82
	s_delay_alu instid0(VALU_DEP_2) | instskip(NEXT) | instid1(VALU_DEP_2)
	v_cmp_eq_u32_e32 vcc_lo, 0, v15
	v_cndmask_b32_e32 v15, v84, v82, vcc_lo
; %bb.4281:                             ;   in Loop: Header=BB12_4077 Depth=3
	s_or_b32 exec_lo, exec_lo, s76
	v_and_b32_e32 v82, 0xffff0000, v47
	s_wait_loadcnt 0xd
	v_lshlrev_b32_e32 v80, 16, v80
	s_delay_alu instid0(VALU_DEP_1) | instskip(NEXT) | instid1(VALU_DEP_1)
	v_add_f32_e32 v82, v80, v82
	v_and_b32_e32 v80, 0x7f800000, v82
	s_delay_alu instid0(VALU_DEP_1) | instskip(SKIP_1) | instid1(SALU_CYCLE_1)
	v_cmp_ne_u32_e32 vcc_lo, 0x7f800000, v80
                                        ; implicit-def: $vgpr80
	s_and_saveexec_b32 s76, vcc_lo
	s_xor_b32 s76, exec_lo, s76
; %bb.4282:                             ;   in Loop: Header=BB12_4077 Depth=3
	v_bfe_u32 v80, v82, 16, 1
	s_delay_alu instid0(VALU_DEP_1)
	v_add3_u32 v80, v82, v80, 0x7fff
                                        ; implicit-def: $vgpr82
; %bb.4283:                             ;   in Loop: Header=BB12_4077 Depth=3
	s_and_not1_saveexec_b32 s76, s76
; %bb.4284:                             ;   in Loop: Header=BB12_4077 Depth=3
	v_and_b32_e32 v80, 0xffff, v82
	v_or_b32_e32 v84, 0x10000, v82
	s_delay_alu instid0(VALU_DEP_2) | instskip(NEXT) | instid1(VALU_DEP_2)
	v_cmp_eq_u32_e32 vcc_lo, 0, v80
	v_cndmask_b32_e32 v80, v84, v82, vcc_lo
; %bb.4285:                             ;   in Loop: Header=BB12_4077 Depth=3
	s_or_b32 exec_lo, exec_lo, s76
	v_and_b32_e32 v82, 0xffff0000, v46
	s_wait_loadcnt 0xc
	v_lshlrev_b32_e32 v70, 16, v70
	s_delay_alu instid0(VALU_DEP_1) | instskip(NEXT) | instid1(VALU_DEP_1)
	v_add_f32_e32 v82, v70, v82
	v_and_b32_e32 v70, 0x7f800000, v82
	s_delay_alu instid0(VALU_DEP_1) | instskip(SKIP_1) | instid1(SALU_CYCLE_1)
	v_cmp_ne_u32_e32 vcc_lo, 0x7f800000, v70
                                        ; implicit-def: $vgpr70
	s_and_saveexec_b32 s76, vcc_lo
	s_xor_b32 s76, exec_lo, s76
; %bb.4286:                             ;   in Loop: Header=BB12_4077 Depth=3
	v_bfe_u32 v70, v82, 16, 1
	s_delay_alu instid0(VALU_DEP_1)
	v_add3_u32 v70, v82, v70, 0x7fff
                                        ; implicit-def: $vgpr82
; %bb.4287:                             ;   in Loop: Header=BB12_4077 Depth=3
	s_and_not1_saveexec_b32 s76, s76
; %bb.4288:                             ;   in Loop: Header=BB12_4077 Depth=3
	v_and_b32_e32 v70, 0xffff, v82
	v_or_b32_e32 v84, 0x10000, v82
	s_delay_alu instid0(VALU_DEP_2) | instskip(NEXT) | instid1(VALU_DEP_2)
	v_cmp_eq_u32_e32 vcc_lo, 0, v70
	v_cndmask_b32_e32 v70, v84, v82, vcc_lo
; %bb.4289:                             ;   in Loop: Header=BB12_4077 Depth=3
	s_or_b32 exec_lo, exec_lo, s76
	v_and_b32_e32 v82, 0xffff0000, v45
	s_wait_loadcnt 0xb
	v_lshlrev_b32_e32 v67, 16, v67
	s_delay_alu instid0(VALU_DEP_1) | instskip(NEXT) | instid1(VALU_DEP_1)
	v_add_f32_e32 v82, v67, v82
	v_and_b32_e32 v67, 0x7f800000, v82
	s_delay_alu instid0(VALU_DEP_1) | instskip(SKIP_1) | instid1(SALU_CYCLE_1)
	v_cmp_ne_u32_e32 vcc_lo, 0x7f800000, v67
                                        ; implicit-def: $vgpr67
	s_and_saveexec_b32 s76, vcc_lo
	s_xor_b32 s76, exec_lo, s76
; %bb.4290:                             ;   in Loop: Header=BB12_4077 Depth=3
	v_bfe_u32 v67, v82, 16, 1
	s_delay_alu instid0(VALU_DEP_1)
	v_add3_u32 v67, v82, v67, 0x7fff
                                        ; implicit-def: $vgpr82
; %bb.4291:                             ;   in Loop: Header=BB12_4077 Depth=3
	s_and_not1_saveexec_b32 s76, s76
; %bb.4292:                             ;   in Loop: Header=BB12_4077 Depth=3
	v_and_b32_e32 v67, 0xffff, v82
	v_or_b32_e32 v84, 0x10000, v82
	s_delay_alu instid0(VALU_DEP_2) | instskip(NEXT) | instid1(VALU_DEP_2)
	v_cmp_eq_u32_e32 vcc_lo, 0, v67
	v_cndmask_b32_e32 v67, v84, v82, vcc_lo
; %bb.4293:                             ;   in Loop: Header=BB12_4077 Depth=3
	s_or_b32 exec_lo, exec_lo, s76
	v_and_b32_e32 v82, 0xffff0000, v44
	s_wait_loadcnt 0xa
	v_lshlrev_b32_e32 v66, 16, v66
	s_delay_alu instid0(VALU_DEP_1) | instskip(NEXT) | instid1(VALU_DEP_1)
	v_add_f32_e32 v82, v66, v82
	v_and_b32_e32 v66, 0x7f800000, v82
	s_delay_alu instid0(VALU_DEP_1) | instskip(SKIP_1) | instid1(SALU_CYCLE_1)
	v_cmp_ne_u32_e32 vcc_lo, 0x7f800000, v66
                                        ; implicit-def: $vgpr66
	s_and_saveexec_b32 s76, vcc_lo
	s_xor_b32 s76, exec_lo, s76
; %bb.4294:                             ;   in Loop: Header=BB12_4077 Depth=3
	v_bfe_u32 v66, v82, 16, 1
	s_delay_alu instid0(VALU_DEP_1)
	v_add3_u32 v66, v82, v66, 0x7fff
                                        ; implicit-def: $vgpr82
; %bb.4295:                             ;   in Loop: Header=BB12_4077 Depth=3
	s_and_not1_saveexec_b32 s76, s76
; %bb.4296:                             ;   in Loop: Header=BB12_4077 Depth=3
	v_and_b32_e32 v66, 0xffff, v82
	v_or_b32_e32 v84, 0x10000, v82
	s_delay_alu instid0(VALU_DEP_2) | instskip(NEXT) | instid1(VALU_DEP_2)
	v_cmp_eq_u32_e32 vcc_lo, 0, v66
	v_cndmask_b32_e32 v66, v84, v82, vcc_lo
; %bb.4297:                             ;   in Loop: Header=BB12_4077 Depth=3
	s_or_b32 exec_lo, exec_lo, s76
	v_and_b32_e32 v82, 0xffff0000, v43
	s_wait_loadcnt 0x9
	v_lshlrev_b32_e32 v65, 16, v65
	s_delay_alu instid0(VALU_DEP_1) | instskip(NEXT) | instid1(VALU_DEP_1)
	v_add_f32_e32 v82, v65, v82
	v_and_b32_e32 v65, 0x7f800000, v82
	s_delay_alu instid0(VALU_DEP_1) | instskip(SKIP_1) | instid1(SALU_CYCLE_1)
	v_cmp_ne_u32_e32 vcc_lo, 0x7f800000, v65
                                        ; implicit-def: $vgpr65
	s_and_saveexec_b32 s76, vcc_lo
	s_xor_b32 s76, exec_lo, s76
; %bb.4298:                             ;   in Loop: Header=BB12_4077 Depth=3
	v_bfe_u32 v65, v82, 16, 1
	s_delay_alu instid0(VALU_DEP_1)
	v_add3_u32 v65, v82, v65, 0x7fff
                                        ; implicit-def: $vgpr82
; %bb.4299:                             ;   in Loop: Header=BB12_4077 Depth=3
	s_and_not1_saveexec_b32 s76, s76
; %bb.4300:                             ;   in Loop: Header=BB12_4077 Depth=3
	v_and_b32_e32 v65, 0xffff, v82
	v_or_b32_e32 v84, 0x10000, v82
	s_delay_alu instid0(VALU_DEP_2) | instskip(NEXT) | instid1(VALU_DEP_2)
	v_cmp_eq_u32_e32 vcc_lo, 0, v65
	v_cndmask_b32_e32 v65, v84, v82, vcc_lo
; %bb.4301:                             ;   in Loop: Header=BB12_4077 Depth=3
	s_or_b32 exec_lo, exec_lo, s76
	v_and_b32_e32 v82, 0xffff0000, v42
	s_wait_loadcnt 0x8
	v_lshlrev_b32_e32 v64, 16, v64
	s_delay_alu instid0(VALU_DEP_1) | instskip(NEXT) | instid1(VALU_DEP_1)
	v_add_f32_e32 v82, v64, v82
	v_and_b32_e32 v64, 0x7f800000, v82
	s_delay_alu instid0(VALU_DEP_1) | instskip(SKIP_1) | instid1(SALU_CYCLE_1)
	v_cmp_ne_u32_e32 vcc_lo, 0x7f800000, v64
                                        ; implicit-def: $vgpr64
	s_and_saveexec_b32 s76, vcc_lo
	s_xor_b32 s76, exec_lo, s76
; %bb.4302:                             ;   in Loop: Header=BB12_4077 Depth=3
	v_bfe_u32 v64, v82, 16, 1
	s_delay_alu instid0(VALU_DEP_1)
	v_add3_u32 v64, v82, v64, 0x7fff
                                        ; implicit-def: $vgpr82
; %bb.4303:                             ;   in Loop: Header=BB12_4077 Depth=3
	s_and_not1_saveexec_b32 s76, s76
; %bb.4304:                             ;   in Loop: Header=BB12_4077 Depth=3
	v_and_b32_e32 v64, 0xffff, v82
	v_or_b32_e32 v84, 0x10000, v82
	s_delay_alu instid0(VALU_DEP_2) | instskip(NEXT) | instid1(VALU_DEP_2)
	v_cmp_eq_u32_e32 vcc_lo, 0, v64
	v_cndmask_b32_e32 v64, v84, v82, vcc_lo
; %bb.4305:                             ;   in Loop: Header=BB12_4077 Depth=3
	s_or_b32 exec_lo, exec_lo, s76
	v_and_b32_e32 v82, 0xffff0000, v118
	s_wait_loadcnt 0x7
	v_lshlrev_b32_e32 v55, 16, v55
	s_delay_alu instid0(VALU_DEP_1) | instskip(NEXT) | instid1(VALU_DEP_1)
	v_add_f32_e32 v82, v55, v82
	v_and_b32_e32 v55, 0x7f800000, v82
	s_delay_alu instid0(VALU_DEP_1) | instskip(SKIP_1) | instid1(SALU_CYCLE_1)
	v_cmp_ne_u32_e32 vcc_lo, 0x7f800000, v55
                                        ; implicit-def: $vgpr55
	s_and_saveexec_b32 s76, vcc_lo
	s_xor_b32 s76, exec_lo, s76
; %bb.4306:                             ;   in Loop: Header=BB12_4077 Depth=3
	v_bfe_u32 v55, v82, 16, 1
	s_delay_alu instid0(VALU_DEP_1)
	v_add3_u32 v55, v82, v55, 0x7fff
                                        ; implicit-def: $vgpr82
; %bb.4307:                             ;   in Loop: Header=BB12_4077 Depth=3
	s_and_not1_saveexec_b32 s76, s76
; %bb.4308:                             ;   in Loop: Header=BB12_4077 Depth=3
	v_and_b32_e32 v55, 0xffff, v82
	v_or_b32_e32 v84, 0x10000, v82
	s_delay_alu instid0(VALU_DEP_2) | instskip(NEXT) | instid1(VALU_DEP_2)
	v_cmp_eq_u32_e32 vcc_lo, 0, v55
	v_cndmask_b32_e32 v55, v84, v82, vcc_lo
; %bb.4309:                             ;   in Loop: Header=BB12_4077 Depth=3
	s_or_b32 exec_lo, exec_lo, s76
	v_and_b32_e32 v29, 0xffff0000, v29
	s_wait_loadcnt 0x6
	v_lshlrev_b32_e32 v54, 16, v54
	s_delay_alu instid0(VALU_DEP_1) | instskip(NEXT) | instid1(VALU_DEP_1)
	v_add_f32_e32 v54, v54, v29
	v_and_b32_e32 v29, 0x7f800000, v54
	s_delay_alu instid0(VALU_DEP_1) | instskip(SKIP_1) | instid1(SALU_CYCLE_1)
	v_cmp_ne_u32_e32 vcc_lo, 0x7f800000, v29
                                        ; implicit-def: $vgpr29
	s_and_saveexec_b32 s76, vcc_lo
	s_xor_b32 s76, exec_lo, s76
; %bb.4310:                             ;   in Loop: Header=BB12_4077 Depth=3
	v_bfe_u32 v29, v54, 16, 1
	s_delay_alu instid0(VALU_DEP_1)
	v_add3_u32 v29, v54, v29, 0x7fff
                                        ; implicit-def: $vgpr54
; %bb.4311:                             ;   in Loop: Header=BB12_4077 Depth=3
	s_and_not1_saveexec_b32 s76, s76
; %bb.4312:                             ;   in Loop: Header=BB12_4077 Depth=3
	v_and_b32_e32 v29, 0xffff, v54
	v_or_b32_e32 v82, 0x10000, v54
	s_delay_alu instid0(VALU_DEP_2) | instskip(NEXT) | instid1(VALU_DEP_2)
	v_cmp_eq_u32_e32 vcc_lo, 0, v29
	v_cndmask_b32_e32 v29, v82, v54, vcc_lo
; %bb.4313:                             ;   in Loop: Header=BB12_4077 Depth=3
	s_or_b32 exec_lo, exec_lo, s76
	v_and_b32_e32 v17, 0xffff0000, v17
	s_wait_loadcnt 0x5
	v_lshlrev_b32_e32 v53, 16, v53
	s_delay_alu instid0(VALU_DEP_1) | instskip(NEXT) | instid1(VALU_DEP_1)
	v_add_f32_e32 v53, v53, v17
	v_and_b32_e32 v17, 0x7f800000, v53
	s_delay_alu instid0(VALU_DEP_1) | instskip(SKIP_1) | instid1(SALU_CYCLE_1)
	v_cmp_ne_u32_e32 vcc_lo, 0x7f800000, v17
                                        ; implicit-def: $vgpr17
	s_and_saveexec_b32 s76, vcc_lo
	s_xor_b32 s76, exec_lo, s76
; %bb.4314:                             ;   in Loop: Header=BB12_4077 Depth=3
	v_bfe_u32 v17, v53, 16, 1
	s_delay_alu instid0(VALU_DEP_1)
	v_add3_u32 v17, v53, v17, 0x7fff
                                        ; implicit-def: $vgpr53
; %bb.4315:                             ;   in Loop: Header=BB12_4077 Depth=3
	s_and_not1_saveexec_b32 s76, s76
; %bb.4316:                             ;   in Loop: Header=BB12_4077 Depth=3
	v_and_b32_e32 v17, 0xffff, v53
	v_or_b32_e32 v54, 0x10000, v53
	s_delay_alu instid0(VALU_DEP_2) | instskip(NEXT) | instid1(VALU_DEP_2)
	v_cmp_eq_u32_e32 vcc_lo, 0, v17
	v_cndmask_b32_e32 v17, v54, v53, vcc_lo
; %bb.4317:                             ;   in Loop: Header=BB12_4077 Depth=3
	s_or_b32 exec_lo, exec_lo, s76
	v_and_b32_e32 v16, 0xffff0000, v16
	s_wait_loadcnt 0x4
	v_lshlrev_b32_e32 v52, 16, v52
	s_delay_alu instid0(VALU_DEP_1) | instskip(NEXT) | instid1(VALU_DEP_1)
	v_add_f32_e32 v52, v52, v16
	v_and_b32_e32 v16, 0x7f800000, v52
	s_delay_alu instid0(VALU_DEP_1) | instskip(SKIP_1) | instid1(SALU_CYCLE_1)
	v_cmp_ne_u32_e32 vcc_lo, 0x7f800000, v16
                                        ; implicit-def: $vgpr16
	s_and_saveexec_b32 s76, vcc_lo
	s_xor_b32 s76, exec_lo, s76
; %bb.4318:                             ;   in Loop: Header=BB12_4077 Depth=3
	v_bfe_u32 v16, v52, 16, 1
	s_delay_alu instid0(VALU_DEP_1)
	v_add3_u32 v16, v52, v16, 0x7fff
                                        ; implicit-def: $vgpr52
; %bb.4319:                             ;   in Loop: Header=BB12_4077 Depth=3
	s_and_not1_saveexec_b32 s76, s76
; %bb.4320:                             ;   in Loop: Header=BB12_4077 Depth=3
	v_and_b32_e32 v16, 0xffff, v52
	v_or_b32_e32 v53, 0x10000, v52
	s_delay_alu instid0(VALU_DEP_2) | instskip(NEXT) | instid1(VALU_DEP_2)
	v_cmp_eq_u32_e32 vcc_lo, 0, v16
	v_cndmask_b32_e32 v16, v53, v52, vcc_lo
; %bb.4321:                             ;   in Loop: Header=BB12_4077 Depth=3
	s_or_b32 exec_lo, exec_lo, s76
	v_and_b32_e32 v14, 0xffff0000, v14
	s_wait_loadcnt 0x3
	v_lshlrev_b32_e32 v51, 16, v51
	s_delay_alu instid0(VALU_DEP_1) | instskip(NEXT) | instid1(VALU_DEP_1)
	v_add_f32_e32 v51, v51, v14
	v_and_b32_e32 v14, 0x7f800000, v51
	s_delay_alu instid0(VALU_DEP_1) | instskip(SKIP_1) | instid1(SALU_CYCLE_1)
	v_cmp_ne_u32_e32 vcc_lo, 0x7f800000, v14
                                        ; implicit-def: $vgpr14
	s_and_saveexec_b32 s76, vcc_lo
	s_xor_b32 s76, exec_lo, s76
; %bb.4322:                             ;   in Loop: Header=BB12_4077 Depth=3
	v_bfe_u32 v14, v51, 16, 1
	s_delay_alu instid0(VALU_DEP_1)
	v_add3_u32 v14, v51, v14, 0x7fff
                                        ; implicit-def: $vgpr51
; %bb.4323:                             ;   in Loop: Header=BB12_4077 Depth=3
	s_and_not1_saveexec_b32 s76, s76
; %bb.4324:                             ;   in Loop: Header=BB12_4077 Depth=3
	v_and_b32_e32 v14, 0xffff, v51
	v_or_b32_e32 v52, 0x10000, v51
	s_delay_alu instid0(VALU_DEP_2) | instskip(NEXT) | instid1(VALU_DEP_2)
	v_cmp_eq_u32_e32 vcc_lo, 0, v14
	v_cndmask_b32_e32 v14, v52, v51, vcc_lo
; %bb.4325:                             ;   in Loop: Header=BB12_4077 Depth=3
	s_or_b32 exec_lo, exec_lo, s76
	v_and_b32_e32 v7, 0xffff0000, v7
	s_wait_loadcnt 0x2
	v_lshlrev_b32_e32 v50, 16, v50
	s_delay_alu instid0(VALU_DEP_1) | instskip(NEXT) | instid1(VALU_DEP_1)
	v_add_f32_e32 v50, v50, v7
	v_and_b32_e32 v7, 0x7f800000, v50
	s_delay_alu instid0(VALU_DEP_1) | instskip(SKIP_1) | instid1(SALU_CYCLE_1)
	v_cmp_ne_u32_e32 vcc_lo, 0x7f800000, v7
                                        ; implicit-def: $vgpr7
	s_and_saveexec_b32 s76, vcc_lo
	s_xor_b32 s76, exec_lo, s76
; %bb.4326:                             ;   in Loop: Header=BB12_4077 Depth=3
	v_bfe_u32 v7, v50, 16, 1
	s_delay_alu instid0(VALU_DEP_1)
	v_add3_u32 v7, v50, v7, 0x7fff
                                        ; implicit-def: $vgpr50
; %bb.4327:                             ;   in Loop: Header=BB12_4077 Depth=3
	s_and_not1_saveexec_b32 s76, s76
; %bb.4328:                             ;   in Loop: Header=BB12_4077 Depth=3
	v_and_b32_e32 v7, 0xffff, v50
	v_or_b32_e32 v51, 0x10000, v50
	s_delay_alu instid0(VALU_DEP_2) | instskip(NEXT) | instid1(VALU_DEP_2)
	v_cmp_eq_u32_e32 vcc_lo, 0, v7
	v_cndmask_b32_e32 v7, v51, v50, vcc_lo
; %bb.4329:                             ;   in Loop: Header=BB12_4077 Depth=3
	s_or_b32 exec_lo, exec_lo, s76
	v_and_b32_e32 v6, 0xffff0000, v6
	s_wait_loadcnt 0x1
	v_lshlrev_b32_e32 v49, 16, v49
	s_delay_alu instid0(VALU_DEP_1) | instskip(NEXT) | instid1(VALU_DEP_1)
	v_add_f32_e32 v49, v49, v6
	v_and_b32_e32 v6, 0x7f800000, v49
	s_delay_alu instid0(VALU_DEP_1) | instskip(SKIP_1) | instid1(SALU_CYCLE_1)
	v_cmp_ne_u32_e32 vcc_lo, 0x7f800000, v6
                                        ; implicit-def: $vgpr6
	s_and_saveexec_b32 s76, vcc_lo
	s_xor_b32 s76, exec_lo, s76
; %bb.4330:                             ;   in Loop: Header=BB12_4077 Depth=3
	v_bfe_u32 v6, v49, 16, 1
	s_delay_alu instid0(VALU_DEP_1)
	v_add3_u32 v6, v49, v6, 0x7fff
                                        ; implicit-def: $vgpr49
; %bb.4331:                             ;   in Loop: Header=BB12_4077 Depth=3
	s_and_not1_saveexec_b32 s76, s76
; %bb.4332:                             ;   in Loop: Header=BB12_4077 Depth=3
	v_and_b32_e32 v6, 0xffff, v49
	v_or_b32_e32 v50, 0x10000, v49
	s_delay_alu instid0(VALU_DEP_2) | instskip(NEXT) | instid1(VALU_DEP_2)
	v_cmp_eq_u32_e32 vcc_lo, 0, v6
	v_cndmask_b32_e32 v6, v50, v49, vcc_lo
; %bb.4333:                             ;   in Loop: Header=BB12_4077 Depth=3
	s_or_b32 exec_lo, exec_lo, s76
	v_and_b32_e32 v1, 0xffff0000, v1
	s_wait_loadcnt 0x0
	v_lshlrev_b32_e32 v48, 16, v48
	s_delay_alu instid0(VALU_DEP_1) | instskip(NEXT) | instid1(VALU_DEP_1)
	v_add_f32_e32 v48, v48, v1
	v_and_b32_e32 v1, 0x7f800000, v48
	s_delay_alu instid0(VALU_DEP_1) | instskip(SKIP_1) | instid1(SALU_CYCLE_1)
	v_cmp_ne_u32_e32 vcc_lo, 0x7f800000, v1
                                        ; implicit-def: $vgpr1
	s_and_saveexec_b32 s76, vcc_lo
	s_xor_b32 s76, exec_lo, s76
; %bb.4334:                             ;   in Loop: Header=BB12_4077 Depth=3
	v_bfe_u32 v1, v48, 16, 1
	s_delay_alu instid0(VALU_DEP_1)
	v_add3_u32 v1, v48, v1, 0x7fff
                                        ; implicit-def: $vgpr48
; %bb.4335:                             ;   in Loop: Header=BB12_4077 Depth=3
	s_and_not1_saveexec_b32 s76, s76
; %bb.4336:                             ;   in Loop: Header=BB12_4077 Depth=3
	v_and_b32_e32 v1, 0xffff, v48
	v_or_b32_e32 v49, 0x10000, v48
	s_delay_alu instid0(VALU_DEP_2) | instskip(NEXT) | instid1(VALU_DEP_2)
	v_cmp_eq_u32_e32 vcc_lo, 0, v1
	v_cndmask_b32_e32 v1, v49, v48, vcc_lo
; %bb.4337:                             ;   in Loop: Header=BB12_4077 Depth=3
	s_or_b32 exec_lo, exec_lo, s76
	v_dual_lshrrev_b32 v52, 16, v67 :: v_dual_lshrrev_b32 v0, 16, v0
	v_dual_lshrrev_b32 v15, 16, v15 :: v_dual_lshrrev_b32 v53, 16, v80
	s_delay_alu instid0(VALU_DEP_3)
	v_dual_lshrrev_b32 v54, 16, v70 :: v_dual_lshrrev_b32 v1, 16, v1
	v_dual_lshrrev_b32 v6, 16, v6 :: v_dual_lshrrev_b32 v7, 16, v7
	;; [unrolled: 1-line block ×6, first 2 shown]
	s_clause 0xf
	flat_store_b16 v[8:9], v0 th:TH_STORE_NT
	flat_store_b16 v[8:9], v15 offset:64 th:TH_STORE_NT
	flat_store_b16 v[8:9], v53 offset:128 th:TH_STORE_NT
	;; [unrolled: 1-line block ×15, first 2 shown]
	s_wait_xcnt 0x0
	v_add_nc_u64_e32 v[8:9], 0x400, v[8:9]
	s_clause 0xf
	flat_store_b16 v[4:5], v0 th:TH_STORE_NT
	flat_store_b16 v[4:5], v15 offset:64 th:TH_STORE_NT
	flat_store_b16 v[4:5], v53 offset:128 th:TH_STORE_NT
	;; [unrolled: 1-line block ×15, first 2 shown]
	s_wait_xcnt 0x0
	v_add_nc_u64_e32 v[4:5], 0x400, v[4:5]
	s_and_saveexec_b32 s76, s41
	s_cbranch_execz .LBB12_4076
; %bb.4338:                             ;   in Loop: Header=BB12_4077 Depth=3
	v_add_nc_u64_e32 v[8:9], v[8:9], v[88:89]
	s_delay_alu instid0(VALU_DEP_2)
	v_add_nc_u64_e32 v[4:5], v[4:5], v[88:89]
	v_add_nc_u64_e32 v[10:11], v[10:11], v[88:89]
	;; [unrolled: 1-line block ×3, first 2 shown]
	v_sub_nc_u32_e32 v20, v20, v60
	s_branch .LBB12_4076
.LBB12_4339:                            ;   in Loop: Header=BB12_2999 Depth=2
	s_or_b32 exec_lo, exec_lo, s40
	v_dual_lshlrev_b32 v96, 16, v124 :: v_dual_lshlrev_b32 v54, 16, v63
	v_dual_lshlrev_b32 v86, 16, v119 :: v_dual_lshlrev_b32 v82, 16, v113
	;; [unrolled: 1-line block ×16, first 2 shown]
	s_and_b32 s14, s14, exec_lo
.LBB12_4340:                            ;   in Loop: Header=BB12_2999 Depth=2
	s_or_b32 exec_lo, exec_lo, s13
	s_and_saveexec_b32 s13, s14
	s_cbranch_execz .LBB12_4470
; %bb.4341:                             ;   in Loop: Header=BB12_2999 Depth=2
	s_trap 2
	ds_load_b32 v12, v0
	s_wait_dscnt 0x0
	v_lshlrev_b32_e32 v13, 16, v12
	s_delay_alu instid0(VALU_DEP_1) | instskip(NEXT) | instid1(VALU_DEP_1)
	v_mul_f32_e32 v25, v96, v13
	v_and_b32_e32 v12, 0x7f800000, v25
	s_delay_alu instid0(VALU_DEP_1) | instskip(SKIP_1) | instid1(SALU_CYCLE_1)
	v_cmp_ne_u32_e32 vcc_lo, 0x7f800000, v12
                                        ; implicit-def: $vgpr12
	s_and_saveexec_b32 s14, vcc_lo
	s_xor_b32 s14, exec_lo, s14
; %bb.4342:                             ;   in Loop: Header=BB12_2999 Depth=2
	v_bfe_u32 v12, v25, 16, 1
	s_delay_alu instid0(VALU_DEP_1)
	v_add3_u32 v12, v25, v12, 0x7fff
                                        ; implicit-def: $vgpr25
; %bb.4343:                             ;   in Loop: Header=BB12_2999 Depth=2
	s_and_not1_saveexec_b32 s14, s14
; %bb.4344:                             ;   in Loop: Header=BB12_2999 Depth=2
	v_and_b32_e32 v12, 0xffff, v25
	v_or_b32_e32 v26, 0x10000, v25
	s_delay_alu instid0(VALU_DEP_2) | instskip(NEXT) | instid1(VALU_DEP_2)
	v_cmp_eq_u32_e32 vcc_lo, 0, v12
	v_cndmask_b32_e32 v12, v26, v25, vcc_lo
; %bb.4345:                             ;   in Loop: Header=BB12_2999 Depth=2
	s_or_b32 exec_lo, exec_lo, s14
	v_mul_f32_e32 v25, v54, v13
	s_mov_b32 s14, exec_lo
                                        ; implicit-def: $vgpr54
	s_delay_alu instid0(VALU_DEP_1) | instskip(NEXT) | instid1(VALU_DEP_1)
	v_and_b32_e32 v26, 0x7f800000, v25
	v_cmpx_ne_u32_e32 0x7f800000, v26
	s_xor_b32 s14, exec_lo, s14
; %bb.4346:                             ;   in Loop: Header=BB12_2999 Depth=2
	v_bfe_u32 v26, v25, 16, 1
	s_delay_alu instid0(VALU_DEP_1)
	v_add3_u32 v54, v25, v26, 0x7fff
                                        ; implicit-def: $vgpr25
; %bb.4347:                             ;   in Loop: Header=BB12_2999 Depth=2
	s_and_not1_saveexec_b32 s14, s14
; %bb.4348:                             ;   in Loop: Header=BB12_2999 Depth=2
	v_and_b32_e32 v26, 0xffff, v25
	v_or_b32_e32 v27, 0x10000, v25
	s_delay_alu instid0(VALU_DEP_2) | instskip(NEXT) | instid1(VALU_DEP_2)
	v_cmp_eq_u32_e32 vcc_lo, 0, v26
	v_cndmask_b32_e32 v54, v27, v25, vcc_lo
; %bb.4349:                             ;   in Loop: Header=BB12_2999 Depth=2
	s_or_b32 exec_lo, exec_lo, s14
	v_mul_f32_e32 v25, v86, v13
	s_mov_b32 s14, exec_lo
                                        ; implicit-def: $vgpr39
	s_delay_alu instid0(VALU_DEP_1) | instskip(NEXT) | instid1(VALU_DEP_1)
	v_and_b32_e32 v26, 0x7f800000, v25
	v_cmpx_ne_u32_e32 0x7f800000, v26
	s_xor_b32 s14, exec_lo, s14
; %bb.4350:                             ;   in Loop: Header=BB12_2999 Depth=2
	v_bfe_u32 v26, v25, 16, 1
	s_delay_alu instid0(VALU_DEP_1)
	v_add3_u32 v39, v25, v26, 0x7fff
                                        ; implicit-def: $vgpr25
; %bb.4351:                             ;   in Loop: Header=BB12_2999 Depth=2
	s_and_not1_saveexec_b32 s14, s14
; %bb.4352:                             ;   in Loop: Header=BB12_2999 Depth=2
	v_and_b32_e32 v26, 0xffff, v25
	v_or_b32_e32 v27, 0x10000, v25
	s_delay_alu instid0(VALU_DEP_2) | instskip(NEXT) | instid1(VALU_DEP_2)
	v_cmp_eq_u32_e32 vcc_lo, 0, v26
	v_cndmask_b32_e32 v39, v27, v25, vcc_lo
; %bb.4353:                             ;   in Loop: Header=BB12_2999 Depth=2
	s_or_b32 exec_lo, exec_lo, s14
	v_mul_f32_e32 v25, v84, v13
	s_mov_b32 s14, exec_lo
                                        ; implicit-def: $vgpr38
	s_delay_alu instid0(VALU_DEP_1) | instskip(NEXT) | instid1(VALU_DEP_1)
	v_and_b32_e32 v26, 0x7f800000, v25
	v_cmpx_ne_u32_e32 0x7f800000, v26
	s_xor_b32 s14, exec_lo, s14
; %bb.4354:                             ;   in Loop: Header=BB12_2999 Depth=2
	v_bfe_u32 v26, v25, 16, 1
	s_delay_alu instid0(VALU_DEP_1)
	v_add3_u32 v38, v25, v26, 0x7fff
                                        ; implicit-def: $vgpr25
; %bb.4355:                             ;   in Loop: Header=BB12_2999 Depth=2
	s_and_not1_saveexec_b32 s14, s14
; %bb.4356:                             ;   in Loop: Header=BB12_2999 Depth=2
	v_and_b32_e32 v26, 0xffff, v25
	v_or_b32_e32 v27, 0x10000, v25
	s_delay_alu instid0(VALU_DEP_2) | instskip(NEXT) | instid1(VALU_DEP_2)
	v_cmp_eq_u32_e32 vcc_lo, 0, v26
	v_cndmask_b32_e32 v38, v27, v25, vcc_lo
; %bb.4357:                             ;   in Loop: Header=BB12_2999 Depth=2
	s_or_b32 exec_lo, exec_lo, s14
	v_mul_f32_e32 v25, v82, v13
	s_mov_b32 s14, exec_lo
                                        ; implicit-def: $vgpr37
	s_delay_alu instid0(VALU_DEP_1) | instskip(NEXT) | instid1(VALU_DEP_1)
	v_and_b32_e32 v26, 0x7f800000, v25
	v_cmpx_ne_u32_e32 0x7f800000, v26
	s_xor_b32 s14, exec_lo, s14
; %bb.4358:                             ;   in Loop: Header=BB12_2999 Depth=2
	v_bfe_u32 v26, v25, 16, 1
	s_delay_alu instid0(VALU_DEP_1)
	v_add3_u32 v37, v25, v26, 0x7fff
                                        ; implicit-def: $vgpr25
; %bb.4359:                             ;   in Loop: Header=BB12_2999 Depth=2
	s_and_not1_saveexec_b32 s14, s14
; %bb.4360:                             ;   in Loop: Header=BB12_2999 Depth=2
	v_and_b32_e32 v26, 0xffff, v25
	v_or_b32_e32 v27, 0x10000, v25
	s_delay_alu instid0(VALU_DEP_2) | instskip(NEXT) | instid1(VALU_DEP_2)
	v_cmp_eq_u32_e32 vcc_lo, 0, v26
	v_cndmask_b32_e32 v37, v27, v25, vcc_lo
; %bb.4361:                             ;   in Loop: Header=BB12_2999 Depth=2
	s_or_b32 exec_lo, exec_lo, s14
	v_mul_f32_e32 v25, v80, v13
	s_mov_b32 s14, exec_lo
                                        ; implicit-def: $vgpr36
	s_delay_alu instid0(VALU_DEP_1) | instskip(NEXT) | instid1(VALU_DEP_1)
	v_and_b32_e32 v26, 0x7f800000, v25
	v_cmpx_ne_u32_e32 0x7f800000, v26
	s_xor_b32 s14, exec_lo, s14
; %bb.4362:                             ;   in Loop: Header=BB12_2999 Depth=2
	v_bfe_u32 v26, v25, 16, 1
	s_delay_alu instid0(VALU_DEP_1)
	v_add3_u32 v36, v25, v26, 0x7fff
                                        ; implicit-def: $vgpr25
; %bb.4363:                             ;   in Loop: Header=BB12_2999 Depth=2
	s_and_not1_saveexec_b32 s14, s14
; %bb.4364:                             ;   in Loop: Header=BB12_2999 Depth=2
	v_and_b32_e32 v26, 0xffff, v25
	v_or_b32_e32 v27, 0x10000, v25
	s_delay_alu instid0(VALU_DEP_2) | instskip(NEXT) | instid1(VALU_DEP_2)
	v_cmp_eq_u32_e32 vcc_lo, 0, v26
	v_cndmask_b32_e32 v36, v27, v25, vcc_lo
; %bb.4365:                             ;   in Loop: Header=BB12_2999 Depth=2
	s_or_b32 exec_lo, exec_lo, s14
	v_mul_f32_e32 v25, v70, v13
	s_mov_b32 s14, exec_lo
                                        ; implicit-def: $vgpr35
	s_delay_alu instid0(VALU_DEP_1) | instskip(NEXT) | instid1(VALU_DEP_1)
	v_and_b32_e32 v26, 0x7f800000, v25
	v_cmpx_ne_u32_e32 0x7f800000, v26
	s_xor_b32 s14, exec_lo, s14
; %bb.4366:                             ;   in Loop: Header=BB12_2999 Depth=2
	v_bfe_u32 v26, v25, 16, 1
	s_delay_alu instid0(VALU_DEP_1)
	v_add3_u32 v35, v25, v26, 0x7fff
                                        ; implicit-def: $vgpr25
; %bb.4367:                             ;   in Loop: Header=BB12_2999 Depth=2
	s_and_not1_saveexec_b32 s14, s14
; %bb.4368:                             ;   in Loop: Header=BB12_2999 Depth=2
	v_and_b32_e32 v26, 0xffff, v25
	v_or_b32_e32 v27, 0x10000, v25
	s_delay_alu instid0(VALU_DEP_2) | instskip(NEXT) | instid1(VALU_DEP_2)
	v_cmp_eq_u32_e32 vcc_lo, 0, v26
	v_cndmask_b32_e32 v35, v27, v25, vcc_lo
; %bb.4369:                             ;   in Loop: Header=BB12_2999 Depth=2
	s_or_b32 exec_lo, exec_lo, s14
	v_mul_f32_e32 v25, v67, v13
	s_mov_b32 s14, exec_lo
                                        ; implicit-def: $vgpr34
	s_delay_alu instid0(VALU_DEP_1) | instskip(NEXT) | instid1(VALU_DEP_1)
	v_and_b32_e32 v26, 0x7f800000, v25
	v_cmpx_ne_u32_e32 0x7f800000, v26
	s_xor_b32 s14, exec_lo, s14
; %bb.4370:                             ;   in Loop: Header=BB12_2999 Depth=2
	v_bfe_u32 v26, v25, 16, 1
	s_delay_alu instid0(VALU_DEP_1)
	v_add3_u32 v34, v25, v26, 0x7fff
                                        ; implicit-def: $vgpr25
; %bb.4371:                             ;   in Loop: Header=BB12_2999 Depth=2
	s_and_not1_saveexec_b32 s14, s14
; %bb.4372:                             ;   in Loop: Header=BB12_2999 Depth=2
	v_and_b32_e32 v26, 0xffff, v25
	v_or_b32_e32 v27, 0x10000, v25
	s_delay_alu instid0(VALU_DEP_2) | instskip(NEXT) | instid1(VALU_DEP_2)
	v_cmp_eq_u32_e32 vcc_lo, 0, v26
	v_cndmask_b32_e32 v34, v27, v25, vcc_lo
; %bb.4373:                             ;   in Loop: Header=BB12_2999 Depth=2
	s_or_b32 exec_lo, exec_lo, s14
	v_mul_f32_e32 v25, v66, v13
	s_mov_b32 s14, exec_lo
                                        ; implicit-def: $vgpr33
	s_delay_alu instid0(VALU_DEP_1) | instskip(NEXT) | instid1(VALU_DEP_1)
	v_and_b32_e32 v26, 0x7f800000, v25
	v_cmpx_ne_u32_e32 0x7f800000, v26
	s_xor_b32 s14, exec_lo, s14
; %bb.4374:                             ;   in Loop: Header=BB12_2999 Depth=2
	v_bfe_u32 v26, v25, 16, 1
	s_delay_alu instid0(VALU_DEP_1)
	v_add3_u32 v33, v25, v26, 0x7fff
                                        ; implicit-def: $vgpr25
; %bb.4375:                             ;   in Loop: Header=BB12_2999 Depth=2
	s_and_not1_saveexec_b32 s14, s14
; %bb.4376:                             ;   in Loop: Header=BB12_2999 Depth=2
	v_and_b32_e32 v26, 0xffff, v25
	v_or_b32_e32 v27, 0x10000, v25
	s_delay_alu instid0(VALU_DEP_2) | instskip(NEXT) | instid1(VALU_DEP_2)
	v_cmp_eq_u32_e32 vcc_lo, 0, v26
	v_cndmask_b32_e32 v33, v27, v25, vcc_lo
; %bb.4377:                             ;   in Loop: Header=BB12_2999 Depth=2
	s_or_b32 exec_lo, exec_lo, s14
	v_mul_f32_e32 v25, v65, v13
	s_mov_b32 s14, exec_lo
                                        ; implicit-def: $vgpr32
	s_delay_alu instid0(VALU_DEP_1) | instskip(NEXT) | instid1(VALU_DEP_1)
	v_and_b32_e32 v26, 0x7f800000, v25
	v_cmpx_ne_u32_e32 0x7f800000, v26
	s_xor_b32 s14, exec_lo, s14
; %bb.4378:                             ;   in Loop: Header=BB12_2999 Depth=2
	v_bfe_u32 v26, v25, 16, 1
	s_delay_alu instid0(VALU_DEP_1)
	v_add3_u32 v32, v25, v26, 0x7fff
                                        ; implicit-def: $vgpr25
; %bb.4379:                             ;   in Loop: Header=BB12_2999 Depth=2
	s_and_not1_saveexec_b32 s14, s14
; %bb.4380:                             ;   in Loop: Header=BB12_2999 Depth=2
	v_and_b32_e32 v26, 0xffff, v25
	v_or_b32_e32 v27, 0x10000, v25
	s_delay_alu instid0(VALU_DEP_2) | instskip(NEXT) | instid1(VALU_DEP_2)
	v_cmp_eq_u32_e32 vcc_lo, 0, v26
	v_cndmask_b32_e32 v32, v27, v25, vcc_lo
; %bb.4381:                             ;   in Loop: Header=BB12_2999 Depth=2
	s_or_b32 exec_lo, exec_lo, s14
	v_mul_f32_e32 v25, v64, v13
	s_mov_b32 s14, exec_lo
                                        ; implicit-def: $vgpr31
	s_delay_alu instid0(VALU_DEP_1) | instskip(NEXT) | instid1(VALU_DEP_1)
	v_and_b32_e32 v26, 0x7f800000, v25
	v_cmpx_ne_u32_e32 0x7f800000, v26
	s_xor_b32 s14, exec_lo, s14
; %bb.4382:                             ;   in Loop: Header=BB12_2999 Depth=2
	v_bfe_u32 v26, v25, 16, 1
	s_delay_alu instid0(VALU_DEP_1)
	v_add3_u32 v31, v25, v26, 0x7fff
                                        ; implicit-def: $vgpr25
; %bb.4383:                             ;   in Loop: Header=BB12_2999 Depth=2
	s_and_not1_saveexec_b32 s14, s14
; %bb.4384:                             ;   in Loop: Header=BB12_2999 Depth=2
	v_and_b32_e32 v26, 0xffff, v25
	v_or_b32_e32 v27, 0x10000, v25
	s_delay_alu instid0(VALU_DEP_2) | instskip(NEXT) | instid1(VALU_DEP_2)
	v_cmp_eq_u32_e32 vcc_lo, 0, v26
	v_cndmask_b32_e32 v31, v27, v25, vcc_lo
; %bb.4385:                             ;   in Loop: Header=BB12_2999 Depth=2
	s_or_b32 exec_lo, exec_lo, s14
	v_mul_f32_e32 v25, v55, v13
	s_mov_b32 s14, exec_lo
                                        ; implicit-def: $vgpr30
	s_delay_alu instid0(VALU_DEP_1) | instskip(NEXT) | instid1(VALU_DEP_1)
	v_and_b32_e32 v26, 0x7f800000, v25
	v_cmpx_ne_u32_e32 0x7f800000, v26
	s_xor_b32 s14, exec_lo, s14
; %bb.4386:                             ;   in Loop: Header=BB12_2999 Depth=2
	v_bfe_u32 v26, v25, 16, 1
	s_delay_alu instid0(VALU_DEP_1)
	v_add3_u32 v30, v25, v26, 0x7fff
                                        ; implicit-def: $vgpr25
; %bb.4387:                             ;   in Loop: Header=BB12_2999 Depth=2
	s_and_not1_saveexec_b32 s14, s14
; %bb.4388:                             ;   in Loop: Header=BB12_2999 Depth=2
	v_and_b32_e32 v26, 0xffff, v25
	v_or_b32_e32 v27, 0x10000, v25
	s_delay_alu instid0(VALU_DEP_2) | instskip(NEXT) | instid1(VALU_DEP_2)
	v_cmp_eq_u32_e32 vcc_lo, 0, v26
	v_cndmask_b32_e32 v30, v27, v25, vcc_lo
; %bb.4389:                             ;   in Loop: Header=BB12_2999 Depth=2
	s_or_b32 exec_lo, exec_lo, s14
	v_mul_f32_e32 v25, v53, v13
	s_mov_b32 s14, exec_lo
                                        ; implicit-def: $vgpr27
	s_delay_alu instid0(VALU_DEP_1) | instskip(NEXT) | instid1(VALU_DEP_1)
	v_and_b32_e32 v26, 0x7f800000, v25
	v_cmpx_ne_u32_e32 0x7f800000, v26
	s_xor_b32 s14, exec_lo, s14
; %bb.4390:                             ;   in Loop: Header=BB12_2999 Depth=2
	v_bfe_u32 v26, v25, 16, 1
	s_delay_alu instid0(VALU_DEP_1)
	v_add3_u32 v27, v25, v26, 0x7fff
                                        ; implicit-def: $vgpr25
; %bb.4391:                             ;   in Loop: Header=BB12_2999 Depth=2
	s_and_not1_saveexec_b32 s14, s14
; %bb.4392:                             ;   in Loop: Header=BB12_2999 Depth=2
	v_and_b32_e32 v26, 0xffff, v25
	v_or_b32_e32 v27, 0x10000, v25
	s_delay_alu instid0(VALU_DEP_2) | instskip(NEXT) | instid1(VALU_DEP_2)
	v_cmp_eq_u32_e32 vcc_lo, 0, v26
	v_cndmask_b32_e32 v27, v27, v25, vcc_lo
; %bb.4393:                             ;   in Loop: Header=BB12_2999 Depth=2
	s_or_b32 exec_lo, exec_lo, s14
	v_mul_f32_e32 v25, v52, v13
	s_delay_alu instid0(VALU_DEP_1) | instskip(NEXT) | instid1(VALU_DEP_1)
	v_and_b32_e32 v26, 0x7f800000, v25
	v_cmp_ne_u32_e32 vcc_lo, 0x7f800000, v26
                                        ; implicit-def: $vgpr26
	s_and_saveexec_b32 s14, vcc_lo
	s_delay_alu instid0(SALU_CYCLE_1)
	s_xor_b32 s14, exec_lo, s14
; %bb.4394:                             ;   in Loop: Header=BB12_2999 Depth=2
	v_bfe_u32 v26, v25, 16, 1
	s_delay_alu instid0(VALU_DEP_1)
	v_add3_u32 v26, v25, v26, 0x7fff
                                        ; implicit-def: $vgpr25
; %bb.4395:                             ;   in Loop: Header=BB12_2999 Depth=2
	s_and_not1_saveexec_b32 s14, s14
; %bb.4396:                             ;   in Loop: Header=BB12_2999 Depth=2
	v_and_b32_e32 v26, 0xffff, v25
	v_or_b32_e32 v52, 0x10000, v25
	s_delay_alu instid0(VALU_DEP_2) | instskip(NEXT) | instid1(VALU_DEP_2)
	v_cmp_eq_u32_e32 vcc_lo, 0, v26
	v_cndmask_b32_e32 v26, v52, v25, vcc_lo
; %bb.4397:                             ;   in Loop: Header=BB12_2999 Depth=2
	s_or_b32 exec_lo, exec_lo, s14
	v_mul_f32_e32 v51, v51, v13
	s_delay_alu instid0(VALU_DEP_1) | instskip(NEXT) | instid1(VALU_DEP_1)
	v_and_b32_e32 v25, 0x7f800000, v51
	v_cmp_ne_u32_e32 vcc_lo, 0x7f800000, v25
                                        ; implicit-def: $vgpr25
	s_and_saveexec_b32 s14, vcc_lo
	s_delay_alu instid0(SALU_CYCLE_1)
	s_xor_b32 s14, exec_lo, s14
; %bb.4398:                             ;   in Loop: Header=BB12_2999 Depth=2
	v_bfe_u32 v25, v51, 16, 1
	s_delay_alu instid0(VALU_DEP_1)
	v_add3_u32 v25, v51, v25, 0x7fff
                                        ; implicit-def: $vgpr51
; %bb.4399:                             ;   in Loop: Header=BB12_2999 Depth=2
	s_and_not1_saveexec_b32 s14, s14
; %bb.4400:                             ;   in Loop: Header=BB12_2999 Depth=2
	v_and_b32_e32 v25, 0xffff, v51
	v_or_b32_e32 v52, 0x10000, v51
	s_delay_alu instid0(VALU_DEP_2) | instskip(NEXT) | instid1(VALU_DEP_2)
	v_cmp_eq_u32_e32 vcc_lo, 0, v25
	v_cndmask_b32_e32 v25, v52, v51, vcc_lo
; %bb.4401:                             ;   in Loop: Header=BB12_2999 Depth=2
	s_or_b32 exec_lo, exec_lo, s14
	v_mul_f32_e32 v50, v50, v13
	s_delay_alu instid0(VALU_DEP_1) | instskip(NEXT) | instid1(VALU_DEP_1)
	v_and_b32_e32 v13, 0x7f800000, v50
	v_cmp_ne_u32_e32 vcc_lo, 0x7f800000, v13
                                        ; implicit-def: $vgpr13
	s_and_saveexec_b32 s14, vcc_lo
	s_delay_alu instid0(SALU_CYCLE_1)
	s_xor_b32 s14, exec_lo, s14
; %bb.4402:                             ;   in Loop: Header=BB12_2999 Depth=2
	v_bfe_u32 v13, v50, 16, 1
	s_delay_alu instid0(VALU_DEP_1)
	v_add3_u32 v13, v50, v13, 0x7fff
                                        ; implicit-def: $vgpr50
; %bb.4403:                             ;   in Loop: Header=BB12_2999 Depth=2
	s_and_not1_saveexec_b32 s14, s14
; %bb.4404:                             ;   in Loop: Header=BB12_2999 Depth=2
	v_and_b32_e32 v13, 0xffff, v50
	v_or_b32_e32 v51, 0x10000, v50
	s_delay_alu instid0(VALU_DEP_2) | instskip(NEXT) | instid1(VALU_DEP_2)
	v_cmp_eq_u32_e32 vcc_lo, 0, v13
	v_cndmask_b32_e32 v13, v51, v50, vcc_lo
; %bb.4405:                             ;   in Loop: Header=BB12_2999 Depth=2
	s_or_b32 exec_lo, exec_lo, s14
	v_and_b32_e32 v12, 0xffff0000, v12
	s_delay_alu instid0(VALU_DEP_1) | instskip(NEXT) | instid1(VALU_DEP_1)
	v_add_f32_e32 v49, v49, v12
	v_and_b32_e32 v12, 0x7f800000, v49
	s_delay_alu instid0(VALU_DEP_1) | instskip(SKIP_1) | instid1(SALU_CYCLE_1)
	v_cmp_ne_u32_e32 vcc_lo, 0x7f800000, v12
                                        ; implicit-def: $vgpr12
	s_and_saveexec_b32 s14, vcc_lo
	s_xor_b32 s14, exec_lo, s14
; %bb.4406:                             ;   in Loop: Header=BB12_2999 Depth=2
	v_bfe_u32 v12, v49, 16, 1
	s_delay_alu instid0(VALU_DEP_1)
	v_add3_u32 v12, v49, v12, 0x7fff
                                        ; implicit-def: $vgpr49
; %bb.4407:                             ;   in Loop: Header=BB12_2999 Depth=2
	s_and_not1_saveexec_b32 s14, s14
; %bb.4408:                             ;   in Loop: Header=BB12_2999 Depth=2
	v_and_b32_e32 v12, 0xffff, v49
	v_or_b32_e32 v50, 0x10000, v49
	s_delay_alu instid0(VALU_DEP_2) | instskip(NEXT) | instid1(VALU_DEP_2)
	v_cmp_eq_u32_e32 vcc_lo, 0, v12
	v_cndmask_b32_e32 v12, v50, v49, vcc_lo
; %bb.4409:                             ;   in Loop: Header=BB12_2999 Depth=2
	s_or_b32 exec_lo, exec_lo, s14
	v_and_b32_e32 v49, 0xffff0000, v54
	s_delay_alu instid0(VALU_DEP_1) | instskip(NEXT) | instid1(VALU_DEP_1)
	v_add_f32_e32 v49, v48, v49
	v_and_b32_e32 v48, 0x7f800000, v49
	s_delay_alu instid0(VALU_DEP_1) | instskip(SKIP_1) | instid1(SALU_CYCLE_1)
	v_cmp_ne_u32_e32 vcc_lo, 0x7f800000, v48
                                        ; implicit-def: $vgpr48
	s_and_saveexec_b32 s14, vcc_lo
	s_xor_b32 s14, exec_lo, s14
; %bb.4410:                             ;   in Loop: Header=BB12_2999 Depth=2
	v_bfe_u32 v48, v49, 16, 1
	s_delay_alu instid0(VALU_DEP_1)
	v_add3_u32 v48, v49, v48, 0x7fff
                                        ; implicit-def: $vgpr49
; %bb.4411:                             ;   in Loop: Header=BB12_2999 Depth=2
	s_and_not1_saveexec_b32 s14, s14
; %bb.4412:                             ;   in Loop: Header=BB12_2999 Depth=2
	v_and_b32_e32 v48, 0xffff, v49
	v_or_b32_e32 v50, 0x10000, v49
	s_delay_alu instid0(VALU_DEP_2) | instskip(NEXT) | instid1(VALU_DEP_2)
	v_cmp_eq_u32_e32 vcc_lo, 0, v48
	v_cndmask_b32_e32 v48, v50, v49, vcc_lo
; %bb.4413:                             ;   in Loop: Header=BB12_2999 Depth=2
	s_or_b32 exec_lo, exec_lo, s14
	v_and_b32_e32 v39, 0xffff0000, v39
	s_delay_alu instid0(VALU_DEP_1) | instskip(NEXT) | instid1(VALU_DEP_1)
	v_add_f32_e32 v39, v29, v39
	v_and_b32_e32 v29, 0x7f800000, v39
	s_delay_alu instid0(VALU_DEP_1) | instskip(SKIP_1) | instid1(SALU_CYCLE_1)
	v_cmp_ne_u32_e32 vcc_lo, 0x7f800000, v29
                                        ; implicit-def: $vgpr29
	s_and_saveexec_b32 s14, vcc_lo
	s_xor_b32 s14, exec_lo, s14
; %bb.4414:                             ;   in Loop: Header=BB12_2999 Depth=2
	v_bfe_u32 v29, v39, 16, 1
	s_delay_alu instid0(VALU_DEP_1)
	v_add3_u32 v29, v39, v29, 0x7fff
                                        ; implicit-def: $vgpr39
; %bb.4415:                             ;   in Loop: Header=BB12_2999 Depth=2
	s_and_not1_saveexec_b32 s14, s14
; %bb.4416:                             ;   in Loop: Header=BB12_2999 Depth=2
	v_and_b32_e32 v29, 0xffff, v39
	v_or_b32_e32 v49, 0x10000, v39
	s_delay_alu instid0(VALU_DEP_2) | instskip(NEXT) | instid1(VALU_DEP_2)
	v_cmp_eq_u32_e32 vcc_lo, 0, v29
	v_cndmask_b32_e32 v29, v49, v39, vcc_lo
; %bb.4417:                             ;   in Loop: Header=BB12_2999 Depth=2
	s_or_b32 exec_lo, exec_lo, s14
	v_and_b32_e32 v38, 0xffff0000, v38
	s_delay_alu instid0(VALU_DEP_1) | instskip(NEXT) | instid1(VALU_DEP_1)
	v_add_f32_e32 v38, v24, v38
	v_and_b32_e32 v24, 0x7f800000, v38
	s_delay_alu instid0(VALU_DEP_1) | instskip(SKIP_1) | instid1(SALU_CYCLE_1)
	v_cmp_ne_u32_e32 vcc_lo, 0x7f800000, v24
                                        ; implicit-def: $vgpr24
	s_and_saveexec_b32 s14, vcc_lo
	s_xor_b32 s14, exec_lo, s14
; %bb.4418:                             ;   in Loop: Header=BB12_2999 Depth=2
	v_bfe_u32 v24, v38, 16, 1
	s_delay_alu instid0(VALU_DEP_1)
	v_add3_u32 v24, v38, v24, 0x7fff
                                        ; implicit-def: $vgpr38
; %bb.4419:                             ;   in Loop: Header=BB12_2999 Depth=2
	s_and_not1_saveexec_b32 s14, s14
; %bb.4420:                             ;   in Loop: Header=BB12_2999 Depth=2
	v_and_b32_e32 v24, 0xffff, v38
	v_or_b32_e32 v39, 0x10000, v38
	s_delay_alu instid0(VALU_DEP_2) | instskip(NEXT) | instid1(VALU_DEP_2)
	v_cmp_eq_u32_e32 vcc_lo, 0, v24
	v_cndmask_b32_e32 v24, v39, v38, vcc_lo
; %bb.4421:                             ;   in Loop: Header=BB12_2999 Depth=2
	s_or_b32 exec_lo, exec_lo, s14
	v_and_b32_e32 v37, 0xffff0000, v37
	s_delay_alu instid0(VALU_DEP_1) | instskip(NEXT) | instid1(VALU_DEP_1)
	v_add_f32_e32 v37, v23, v37
	v_and_b32_e32 v23, 0x7f800000, v37
	s_delay_alu instid0(VALU_DEP_1) | instskip(SKIP_1) | instid1(SALU_CYCLE_1)
	v_cmp_ne_u32_e32 vcc_lo, 0x7f800000, v23
                                        ; implicit-def: $vgpr23
	s_and_saveexec_b32 s14, vcc_lo
	s_xor_b32 s14, exec_lo, s14
; %bb.4422:                             ;   in Loop: Header=BB12_2999 Depth=2
	v_bfe_u32 v23, v37, 16, 1
	s_delay_alu instid0(VALU_DEP_1)
	v_add3_u32 v23, v37, v23, 0x7fff
                                        ; implicit-def: $vgpr37
; %bb.4423:                             ;   in Loop: Header=BB12_2999 Depth=2
	s_and_not1_saveexec_b32 s14, s14
; %bb.4424:                             ;   in Loop: Header=BB12_2999 Depth=2
	v_and_b32_e32 v23, 0xffff, v37
	v_or_b32_e32 v38, 0x10000, v37
	s_delay_alu instid0(VALU_DEP_2) | instskip(NEXT) | instid1(VALU_DEP_2)
	v_cmp_eq_u32_e32 vcc_lo, 0, v23
	v_cndmask_b32_e32 v23, v38, v37, vcc_lo
; %bb.4425:                             ;   in Loop: Header=BB12_2999 Depth=2
	s_or_b32 exec_lo, exec_lo, s14
	v_and_b32_e32 v36, 0xffff0000, v36
	s_delay_alu instid0(VALU_DEP_1) | instskip(NEXT) | instid1(VALU_DEP_1)
	v_add_f32_e32 v36, v22, v36
	v_and_b32_e32 v22, 0x7f800000, v36
	s_delay_alu instid0(VALU_DEP_1) | instskip(SKIP_1) | instid1(SALU_CYCLE_1)
	v_cmp_ne_u32_e32 vcc_lo, 0x7f800000, v22
                                        ; implicit-def: $vgpr22
	s_and_saveexec_b32 s14, vcc_lo
	s_xor_b32 s14, exec_lo, s14
; %bb.4426:                             ;   in Loop: Header=BB12_2999 Depth=2
	v_bfe_u32 v22, v36, 16, 1
	s_delay_alu instid0(VALU_DEP_1)
	v_add3_u32 v22, v36, v22, 0x7fff
                                        ; implicit-def: $vgpr36
; %bb.4427:                             ;   in Loop: Header=BB12_2999 Depth=2
	s_and_not1_saveexec_b32 s14, s14
; %bb.4428:                             ;   in Loop: Header=BB12_2999 Depth=2
	v_and_b32_e32 v22, 0xffff, v36
	v_or_b32_e32 v37, 0x10000, v36
	s_delay_alu instid0(VALU_DEP_2) | instskip(NEXT) | instid1(VALU_DEP_2)
	v_cmp_eq_u32_e32 vcc_lo, 0, v22
	v_cndmask_b32_e32 v22, v37, v36, vcc_lo
; %bb.4429:                             ;   in Loop: Header=BB12_2999 Depth=2
	s_or_b32 exec_lo, exec_lo, s14
	v_and_b32_e32 v35, 0xffff0000, v35
	s_delay_alu instid0(VALU_DEP_1) | instskip(NEXT) | instid1(VALU_DEP_1)
	v_add_f32_e32 v35, v17, v35
	v_and_b32_e32 v17, 0x7f800000, v35
	s_delay_alu instid0(VALU_DEP_1) | instskip(SKIP_1) | instid1(SALU_CYCLE_1)
	v_cmp_ne_u32_e32 vcc_lo, 0x7f800000, v17
                                        ; implicit-def: $vgpr17
	s_and_saveexec_b32 s14, vcc_lo
	s_xor_b32 s14, exec_lo, s14
; %bb.4430:                             ;   in Loop: Header=BB12_2999 Depth=2
	v_bfe_u32 v17, v35, 16, 1
	s_delay_alu instid0(VALU_DEP_1)
	v_add3_u32 v17, v35, v17, 0x7fff
                                        ; implicit-def: $vgpr35
; %bb.4431:                             ;   in Loop: Header=BB12_2999 Depth=2
	s_and_not1_saveexec_b32 s14, s14
; %bb.4432:                             ;   in Loop: Header=BB12_2999 Depth=2
	v_and_b32_e32 v17, 0xffff, v35
	v_or_b32_e32 v36, 0x10000, v35
	s_delay_alu instid0(VALU_DEP_2) | instskip(NEXT) | instid1(VALU_DEP_2)
	v_cmp_eq_u32_e32 vcc_lo, 0, v17
	v_cndmask_b32_e32 v17, v36, v35, vcc_lo
; %bb.4433:                             ;   in Loop: Header=BB12_2999 Depth=2
	s_or_b32 exec_lo, exec_lo, s14
	v_and_b32_e32 v34, 0xffff0000, v34
	s_delay_alu instid0(VALU_DEP_1) | instskip(NEXT) | instid1(VALU_DEP_1)
	v_add_f32_e32 v34, v16, v34
	v_and_b32_e32 v16, 0x7f800000, v34
	s_delay_alu instid0(VALU_DEP_1) | instskip(SKIP_1) | instid1(SALU_CYCLE_1)
	v_cmp_ne_u32_e32 vcc_lo, 0x7f800000, v16
                                        ; implicit-def: $vgpr16
	s_and_saveexec_b32 s14, vcc_lo
	s_xor_b32 s14, exec_lo, s14
; %bb.4434:                             ;   in Loop: Header=BB12_2999 Depth=2
	v_bfe_u32 v16, v34, 16, 1
	s_delay_alu instid0(VALU_DEP_1)
	v_add3_u32 v16, v34, v16, 0x7fff
                                        ; implicit-def: $vgpr34
; %bb.4435:                             ;   in Loop: Header=BB12_2999 Depth=2
	s_and_not1_saveexec_b32 s14, s14
; %bb.4436:                             ;   in Loop: Header=BB12_2999 Depth=2
	v_and_b32_e32 v16, 0xffff, v34
	v_or_b32_e32 v35, 0x10000, v34
	s_delay_alu instid0(VALU_DEP_2) | instskip(NEXT) | instid1(VALU_DEP_2)
	v_cmp_eq_u32_e32 vcc_lo, 0, v16
	v_cndmask_b32_e32 v16, v35, v34, vcc_lo
; %bb.4437:                             ;   in Loop: Header=BB12_2999 Depth=2
	s_or_b32 exec_lo, exec_lo, s14
	v_and_b32_e32 v33, 0xffff0000, v33
	s_delay_alu instid0(VALU_DEP_1) | instskip(NEXT) | instid1(VALU_DEP_1)
	v_add_f32_e32 v33, v15, v33
	v_and_b32_e32 v15, 0x7f800000, v33
	s_delay_alu instid0(VALU_DEP_1) | instskip(SKIP_1) | instid1(SALU_CYCLE_1)
	v_cmp_ne_u32_e32 vcc_lo, 0x7f800000, v15
                                        ; implicit-def: $vgpr15
	s_and_saveexec_b32 s14, vcc_lo
	s_xor_b32 s14, exec_lo, s14
; %bb.4438:                             ;   in Loop: Header=BB12_2999 Depth=2
	v_bfe_u32 v15, v33, 16, 1
	s_delay_alu instid0(VALU_DEP_1)
	v_add3_u32 v15, v33, v15, 0x7fff
                                        ; implicit-def: $vgpr33
; %bb.4439:                             ;   in Loop: Header=BB12_2999 Depth=2
	s_and_not1_saveexec_b32 s14, s14
; %bb.4440:                             ;   in Loop: Header=BB12_2999 Depth=2
	v_and_b32_e32 v15, 0xffff, v33
	v_or_b32_e32 v34, 0x10000, v33
	s_delay_alu instid0(VALU_DEP_2) | instskip(NEXT) | instid1(VALU_DEP_2)
	v_cmp_eq_u32_e32 vcc_lo, 0, v15
	v_cndmask_b32_e32 v15, v34, v33, vcc_lo
; %bb.4441:                             ;   in Loop: Header=BB12_2999 Depth=2
	s_or_b32 exec_lo, exec_lo, s14
	v_and_b32_e32 v32, 0xffff0000, v32
	s_delay_alu instid0(VALU_DEP_1) | instskip(NEXT) | instid1(VALU_DEP_1)
	v_add_f32_e32 v32, v14, v32
	v_and_b32_e32 v14, 0x7f800000, v32
	s_delay_alu instid0(VALU_DEP_1) | instskip(SKIP_1) | instid1(SALU_CYCLE_1)
	v_cmp_ne_u32_e32 vcc_lo, 0x7f800000, v14
                                        ; implicit-def: $vgpr14
	s_and_saveexec_b32 s14, vcc_lo
	s_xor_b32 s14, exec_lo, s14
; %bb.4442:                             ;   in Loop: Header=BB12_2999 Depth=2
	v_bfe_u32 v14, v32, 16, 1
	s_delay_alu instid0(VALU_DEP_1)
	v_add3_u32 v14, v32, v14, 0x7fff
                                        ; implicit-def: $vgpr32
; %bb.4443:                             ;   in Loop: Header=BB12_2999 Depth=2
	s_and_not1_saveexec_b32 s14, s14
; %bb.4444:                             ;   in Loop: Header=BB12_2999 Depth=2
	v_and_b32_e32 v14, 0xffff, v32
	v_or_b32_e32 v33, 0x10000, v32
	s_delay_alu instid0(VALU_DEP_2) | instskip(NEXT) | instid1(VALU_DEP_2)
	v_cmp_eq_u32_e32 vcc_lo, 0, v14
	v_cndmask_b32_e32 v14, v33, v32, vcc_lo
; %bb.4445:                             ;   in Loop: Header=BB12_2999 Depth=2
	s_or_b32 exec_lo, exec_lo, s14
	v_and_b32_e32 v31, 0xffff0000, v31
	s_delay_alu instid0(VALU_DEP_1) | instskip(NEXT) | instid1(VALU_DEP_1)
	v_add_f32_e32 v31, v11, v31
	v_and_b32_e32 v11, 0x7f800000, v31
	s_delay_alu instid0(VALU_DEP_1) | instskip(SKIP_1) | instid1(SALU_CYCLE_1)
	v_cmp_ne_u32_e32 vcc_lo, 0x7f800000, v11
                                        ; implicit-def: $vgpr11
	s_and_saveexec_b32 s14, vcc_lo
	s_xor_b32 s14, exec_lo, s14
; %bb.4446:                             ;   in Loop: Header=BB12_2999 Depth=2
	v_bfe_u32 v11, v31, 16, 1
	s_delay_alu instid0(VALU_DEP_1)
	v_add3_u32 v11, v31, v11, 0x7fff
                                        ; implicit-def: $vgpr31
; %bb.4447:                             ;   in Loop: Header=BB12_2999 Depth=2
	s_and_not1_saveexec_b32 s14, s14
; %bb.4448:                             ;   in Loop: Header=BB12_2999 Depth=2
	v_and_b32_e32 v11, 0xffff, v31
	v_or_b32_e32 v32, 0x10000, v31
	s_delay_alu instid0(VALU_DEP_2) | instskip(NEXT) | instid1(VALU_DEP_2)
	v_cmp_eq_u32_e32 vcc_lo, 0, v11
	v_cndmask_b32_e32 v11, v32, v31, vcc_lo
; %bb.4449:                             ;   in Loop: Header=BB12_2999 Depth=2
	s_or_b32 exec_lo, exec_lo, s14
	v_and_b32_e32 v30, 0xffff0000, v30
	s_delay_alu instid0(VALU_DEP_1) | instskip(NEXT) | instid1(VALU_DEP_1)
	v_add_f32_e32 v30, v7, v30
	v_and_b32_e32 v7, 0x7f800000, v30
	s_delay_alu instid0(VALU_DEP_1) | instskip(SKIP_1) | instid1(SALU_CYCLE_1)
	v_cmp_ne_u32_e32 vcc_lo, 0x7f800000, v7
                                        ; implicit-def: $vgpr7
	s_and_saveexec_b32 s14, vcc_lo
	s_xor_b32 s14, exec_lo, s14
; %bb.4450:                             ;   in Loop: Header=BB12_2999 Depth=2
	v_bfe_u32 v7, v30, 16, 1
	s_delay_alu instid0(VALU_DEP_1)
	v_add3_u32 v7, v30, v7, 0x7fff
                                        ; implicit-def: $vgpr30
; %bb.4451:                             ;   in Loop: Header=BB12_2999 Depth=2
	s_and_not1_saveexec_b32 s14, s14
; %bb.4452:                             ;   in Loop: Header=BB12_2999 Depth=2
	v_and_b32_e32 v7, 0xffff, v30
	v_or_b32_e32 v31, 0x10000, v30
	s_delay_alu instid0(VALU_DEP_2) | instskip(NEXT) | instid1(VALU_DEP_2)
	v_cmp_eq_u32_e32 vcc_lo, 0, v7
	v_cndmask_b32_e32 v7, v31, v30, vcc_lo
; %bb.4453:                             ;   in Loop: Header=BB12_2999 Depth=2
	s_or_b32 exec_lo, exec_lo, s14
	v_and_b32_e32 v27, 0xffff0000, v27
	s_delay_alu instid0(VALU_DEP_1) | instskip(NEXT) | instid1(VALU_DEP_1)
	v_add_f32_e32 v27, v6, v27
	v_and_b32_e32 v6, 0x7f800000, v27
	s_delay_alu instid0(VALU_DEP_1) | instskip(SKIP_1) | instid1(SALU_CYCLE_1)
	v_cmp_ne_u32_e32 vcc_lo, 0x7f800000, v6
                                        ; implicit-def: $vgpr6
	s_and_saveexec_b32 s14, vcc_lo
	s_xor_b32 s14, exec_lo, s14
; %bb.4454:                             ;   in Loop: Header=BB12_2999 Depth=2
	v_bfe_u32 v6, v27, 16, 1
	s_delay_alu instid0(VALU_DEP_1)
	v_add3_u32 v6, v27, v6, 0x7fff
                                        ; implicit-def: $vgpr27
; %bb.4455:                             ;   in Loop: Header=BB12_2999 Depth=2
	s_and_not1_saveexec_b32 s14, s14
; %bb.4456:                             ;   in Loop: Header=BB12_2999 Depth=2
	v_and_b32_e32 v6, 0xffff, v27
	v_or_b32_e32 v30, 0x10000, v27
	s_delay_alu instid0(VALU_DEP_2) | instskip(NEXT) | instid1(VALU_DEP_2)
	v_cmp_eq_u32_e32 vcc_lo, 0, v6
	v_cndmask_b32_e32 v6, v30, v27, vcc_lo
; %bb.4457:                             ;   in Loop: Header=BB12_2999 Depth=2
	s_or_b32 exec_lo, exec_lo, s14
	v_and_b32_e32 v26, 0xffff0000, v26
	s_delay_alu instid0(VALU_DEP_1) | instskip(NEXT) | instid1(VALU_DEP_1)
	v_add_f32_e32 v26, v0, v26
	v_and_b32_e32 v0, 0x7f800000, v26
	s_delay_alu instid0(VALU_DEP_1) | instskip(SKIP_1) | instid1(SALU_CYCLE_1)
	v_cmp_ne_u32_e32 vcc_lo, 0x7f800000, v0
                                        ; implicit-def: $vgpr0
	s_and_saveexec_b32 s14, vcc_lo
	s_xor_b32 s14, exec_lo, s14
; %bb.4458:                             ;   in Loop: Header=BB12_2999 Depth=2
	v_bfe_u32 v0, v26, 16, 1
	s_delay_alu instid0(VALU_DEP_1)
	v_add3_u32 v0, v26, v0, 0x7fff
                                        ; implicit-def: $vgpr26
; %bb.4459:                             ;   in Loop: Header=BB12_2999 Depth=2
	s_and_not1_saveexec_b32 s14, s14
; %bb.4460:                             ;   in Loop: Header=BB12_2999 Depth=2
	v_and_b32_e32 v0, 0xffff, v26
	v_or_b32_e32 v27, 0x10000, v26
	s_delay_alu instid0(VALU_DEP_2) | instskip(NEXT) | instid1(VALU_DEP_2)
	v_cmp_eq_u32_e32 vcc_lo, 0, v0
	v_cndmask_b32_e32 v0, v27, v26, vcc_lo
; %bb.4461:                             ;   in Loop: Header=BB12_2999 Depth=2
	s_or_b32 exec_lo, exec_lo, s14
	v_and_b32_e32 v25, 0xffff0000, v25
	s_delay_alu instid0(VALU_DEP_1) | instskip(NEXT) | instid1(VALU_DEP_1)
	v_add_f32_e32 v25, v10, v25
	v_and_b32_e32 v10, 0x7f800000, v25
	s_delay_alu instid0(VALU_DEP_1) | instskip(SKIP_1) | instid1(SALU_CYCLE_1)
	v_cmp_ne_u32_e32 vcc_lo, 0x7f800000, v10
                                        ; implicit-def: $vgpr10
	s_and_saveexec_b32 s14, vcc_lo
	s_xor_b32 s14, exec_lo, s14
; %bb.4462:                             ;   in Loop: Header=BB12_2999 Depth=2
	v_bfe_u32 v10, v25, 16, 1
	s_delay_alu instid0(VALU_DEP_1)
	v_add3_u32 v10, v25, v10, 0x7fff
                                        ; implicit-def: $vgpr25
; %bb.4463:                             ;   in Loop: Header=BB12_2999 Depth=2
	s_and_not1_saveexec_b32 s14, s14
; %bb.4464:                             ;   in Loop: Header=BB12_2999 Depth=2
	v_and_b32_e32 v10, 0xffff, v25
	v_or_b32_e32 v26, 0x10000, v25
	s_delay_alu instid0(VALU_DEP_2) | instskip(NEXT) | instid1(VALU_DEP_2)
	v_cmp_eq_u32_e32 vcc_lo, 0, v10
	v_cndmask_b32_e32 v10, v26, v25, vcc_lo
; %bb.4465:                             ;   in Loop: Header=BB12_2999 Depth=2
	s_or_b32 exec_lo, exec_lo, s14
	v_and_b32_e32 v13, 0xffff0000, v13
	s_delay_alu instid0(VALU_DEP_1) | instskip(NEXT) | instid1(VALU_DEP_1)
	v_add_f32_e32 v13, v1, v13
	v_and_b32_e32 v1, 0x7f800000, v13
	s_delay_alu instid0(VALU_DEP_1) | instskip(SKIP_1) | instid1(SALU_CYCLE_1)
	v_cmp_ne_u32_e32 vcc_lo, 0x7f800000, v1
                                        ; implicit-def: $vgpr1
	s_and_saveexec_b32 s14, vcc_lo
	s_xor_b32 s14, exec_lo, s14
; %bb.4466:                             ;   in Loop: Header=BB12_2999 Depth=2
	v_bfe_u32 v1, v13, 16, 1
	s_delay_alu instid0(VALU_DEP_1)
	v_add3_u32 v1, v13, v1, 0x7fff
                                        ; implicit-def: $vgpr13
; %bb.4467:                             ;   in Loop: Header=BB12_2999 Depth=2
	s_and_not1_saveexec_b32 s14, s14
; %bb.4468:                             ;   in Loop: Header=BB12_2999 Depth=2
	v_and_b32_e32 v1, 0xffff, v13
	v_or_b32_e32 v25, 0x10000, v13
	s_delay_alu instid0(VALU_DEP_2) | instskip(NEXT) | instid1(VALU_DEP_2)
	v_cmp_eq_u32_e32 vcc_lo, 0, v1
	v_cndmask_b32_e32 v1, v25, v13, vcc_lo
; %bb.4469:                             ;   in Loop: Header=BB12_2999 Depth=2
	s_or_b32 exec_lo, exec_lo, s14
	v_dual_lshrrev_b32 v11, 16, v11 :: v_dual_lshrrev_b32 v13, 16, v14
	v_dual_lshrrev_b32 v14, 16, v15 :: v_dual_lshrrev_b32 v15, 16, v16
	;; [unrolled: 1-line block ×8, first 2 shown]
	s_clause 0xf
	flat_store_b16 v[8:9], v12 th:TH_STORE_NT
	flat_store_b16 v[8:9], v23 offset:64 th:TH_STORE_NT
	flat_store_b16 v[8:9], v25 offset:128 th:TH_STORE_NT
	;; [unrolled: 1-line block ×15, first 2 shown]
	s_clause 0xf
	flat_store_b16 v[4:5], v12 th:TH_STORE_NT
	flat_store_b16 v[4:5], v23 offset:64 th:TH_STORE_NT
	flat_store_b16 v[4:5], v25 offset:128 th:TH_STORE_NT
	;; [unrolled: 1-line block ×15, first 2 shown]
.LBB12_4470:                            ;   in Loop: Header=BB12_2999 Depth=2
	s_wait_xcnt 0x0
	s_or_b32 exec_lo, exec_lo, s13
	v_lshlrev_b32_e32 v0, 10, v21
	s_delay_alu instid0(VALU_DEP_1)
	v_cmp_ne_u32_e32 vcc_lo, v18, v0
	s_and_b32 exec_lo, exec_lo, vcc_lo
	s_cbranch_execz .LBB12_4514
; %bb.4471:                             ;   in Loop: Header=BB12_2999 Depth=2
	v_lshlrev_b32_e32 v1, 5, v20
	s_delay_alu instid0(VALU_DEP_1) | instskip(NEXT) | instid1(VALU_DEP_1)
	v_sub_nc_u32_e32 v1, v19, v1
	v_ashrrev_i32_e32 v4, 31, v1
	s_delay_alu instid0(VALU_DEP_1) | instskip(NEXT) | instid1(VALU_DEP_1)
	v_lshrrev_b32_e32 v4, 27, v4
	v_add_nc_u32_e32 v4, v1, v4
	s_delay_alu instid0(VALU_DEP_1) | instskip(NEXT) | instid1(VALU_DEP_1)
	v_and_b32_e32 v5, 0x7fffffe0, v4
	v_dual_sub_nc_u32 v1, v1, v5 :: v_dual_lshlrev_b32 v4, 1, v4
	s_delay_alu instid0(VALU_DEP_1) | instskip(NEXT) | instid1(VALU_DEP_2)
	v_lshlrev_b32_e32 v1, 1, v1
	v_and_b32_e32 v4, 0xffffffc0, v4
	s_delay_alu instid0(VALU_DEP_1) | instskip(NEXT) | instid1(VALU_DEP_1)
	v_add3_u32 v1, v4, v1, v0
	v_sub_nc_u32_e32 v0, v18, v1
	s_delay_alu instid0(VALU_DEP_1)
	v_cmp_lt_i32_e32 vcc_lo, 1, v0
	s_and_b32 exec_lo, exec_lo, vcc_lo
	s_cbranch_execz .LBB12_4514
; %bb.4472:                             ;   in Loop: Header=BB12_2999 Depth=2
	s_trap 2
	scratch_load_b64 v[4:5], off, s33 offset:340 ; 8-byte Folded Reload
	ds_load_b128 v[10:13], v0
	v_add_nc_u32_e32 v6, v1, v2
	s_mov_b32 s78, 0
	s_mov_b32 s76, 0
                                        ; implicit-def: $sgpr77
	s_delay_alu instid0(VALU_DEP_1) | instskip(NEXT) | instid1(VALU_DEP_1)
	v_ashrrev_i32_e32 v7, 31, v6
	v_add_nc_u64_e32 v[8:9], v[76:77], v[6:7]
	s_wait_dscnt 0x0
	v_add_nc_u64_e32 v[10:11], v[10:11], v[6:7]
	v_add_nc_u64_e32 v[12:13], v[12:13], v[6:7]
	s_wait_loadcnt 0x0
	v_add_nc_u64_e32 v[4:5], v[4:5], v[6:7]
	s_branch .LBB12_4474
.LBB12_4473:                            ;   in Loop: Header=BB12_4474 Depth=3
	s_or_b32 exec_lo, exec_lo, s13
	s_delay_alu instid0(VALU_DEP_1) | instskip(SKIP_3) | instid1(SALU_CYCLE_1)
	v_cmp_gt_i32_e32 vcc_lo, 2, v0
	s_or_b32 s76, vcc_lo, s76
	s_and_not1_b32 s13, s77, exec_lo
	s_and_b32 s14, s78, exec_lo
	s_or_b32 s77, s13, s14
	s_and_not1_b32 exec_lo, exec_lo, s76
	s_cbranch_execz .LBB12_4503
.LBB12_4474:                            ;   Parent Loop BB12_47 Depth=1
                                        ;     Parent Loop BB12_2999 Depth=2
                                        ; =>    This Loop Header: Depth=3
                                        ;         Child Loop BB12_4475 Depth 4
                                        ;         Child Loop BB12_4486 Depth 4
	;; [unrolled: 1-line block ×4, first 2 shown]
	s_add_co_i32 s13, s33, 0xc0
	s_mov_b64 s[40:41], 0
	s_mov_b32 s79, s13
	s_mov_b32 s88, -1
.LBB12_4475:                            ;   Parent Loop BB12_47 Depth=1
                                        ;     Parent Loop BB12_2999 Depth=2
                                        ;       Parent Loop BB12_4474 Depth=3
                                        ; =>      This Inner Loop Header: Depth=4
	s_cmp_eq_u32 s40, 1
	s_cselect_b32 vcc_lo, -1, 0
	s_cmp_eq_u32 s40, 0
	v_dual_cndmask_b32 v7, v11, v13 :: v_dual_cndmask_b32 v6, v10, v12
	s_cselect_b32 s13, -1, 0
	s_and_b32 s14, exec_lo, s88
	s_mov_b64 s[40:41], 1
	s_mov_b32 s88, 0
	flat_load_u16 v1, v[6:7] th:TH_LOAD_NT
	s_wait_xcnt 0x0
	v_add_nc_u64_e32 v[6:7], 64, v[6:7]
	s_delay_alu instid0(VALU_DEP_1)
	v_dual_cndmask_b32 v11, v11, v7, s13 :: v_dual_cndmask_b32 v10, v10, v6, s13
	v_dual_cndmask_b32 v13, v13, v7 :: v_dual_cndmask_b32 v12, v12, v6
	s_add_co_i32 s13, s33, 0xe0
	s_mov_b32 vcc_lo, s14
	s_wait_loadcnt_dscnt 0x0
	scratch_store_b16 off, v1, s79
	s_wait_xcnt 0x0
	s_mov_b32 s79, s13
	s_cbranch_vccnz .LBB12_4475
; %bb.4476:                             ;   in Loop: Header=BB12_4474 Depth=3
	s_and_saveexec_b32 s79, s78
	s_cbranch_execz .LBB12_4488
; %bb.4477:                             ;   in Loop: Header=BB12_4474 Depth=3
	s_trap 2
	scratch_load_u16 v1, off, s33 offset:188
	ds_load_b32 v2, v0
	s_wait_loadcnt_dscnt 0x0
	v_dual_lshlrev_b32 v2, 16, v2 :: v_dual_lshlrev_b32 v1, 16, v1
	s_delay_alu instid0(VALU_DEP_1) | instskip(NEXT) | instid1(VALU_DEP_1)
	v_mul_f32_e32 v1, v2, v1
	v_and_b32_e32 v2, 0x7f800000, v1
	s_delay_alu instid0(VALU_DEP_1) | instskip(SKIP_2) | instid1(SALU_CYCLE_1)
	v_cmp_ne_u32_e32 vcc_lo, 0x7f800000, v2
                                        ; implicit-def: $vgpr2
	s_wait_xcnt 0x0
	s_and_saveexec_b32 s13, vcc_lo
	s_xor_b32 s13, exec_lo, s13
; %bb.4478:                             ;   in Loop: Header=BB12_4474 Depth=3
	v_bfe_u32 v2, v1, 16, 1
	s_delay_alu instid0(VALU_DEP_1)
	v_add3_u32 v2, v1, v2, 0x7fff
                                        ; implicit-def: $vgpr1
; %bb.4479:                             ;   in Loop: Header=BB12_4474 Depth=3
	s_and_not1_saveexec_b32 s13, s13
; %bb.4480:                             ;   in Loop: Header=BB12_4474 Depth=3
	v_and_b32_e32 v2, 0xffff, v1
	v_or_b32_e32 v6, 0x10000, v1
	s_delay_alu instid0(VALU_DEP_2) | instskip(NEXT) | instid1(VALU_DEP_2)
	v_cmp_eq_u32_e32 vcc_lo, 0, v2
	v_cndmask_b32_e32 v2, v6, v1, vcc_lo
; %bb.4481:                             ;   in Loop: Header=BB12_4474 Depth=3
	s_or_b32 exec_lo, exec_lo, s13
	scratch_load_u16 v1, off, s33 offset:190
	v_and_b32_e32 v2, 0xffff0000, v2
	s_wait_loadcnt 0x0
	v_lshlrev_b32_e32 v1, 16, v1
	s_delay_alu instid0(VALU_DEP_1) | instskip(NEXT) | instid1(VALU_DEP_1)
	v_add_f32_e32 v1, v2, v1
	v_and_b32_e32 v2, 0x7f800000, v1
	s_delay_alu instid0(VALU_DEP_1) | instskip(SKIP_2) | instid1(SALU_CYCLE_1)
	v_cmp_ne_u32_e32 vcc_lo, 0x7f800000, v2
                                        ; implicit-def: $vgpr2
	s_wait_xcnt 0x0
	s_and_saveexec_b32 s13, vcc_lo
	s_xor_b32 s13, exec_lo, s13
; %bb.4482:                             ;   in Loop: Header=BB12_4474 Depth=3
	v_bfe_u32 v2, v1, 16, 1
	s_delay_alu instid0(VALU_DEP_1)
	v_add3_u32 v2, v1, v2, 0x7fff
                                        ; implicit-def: $vgpr1
; %bb.4483:                             ;   in Loop: Header=BB12_4474 Depth=3
	s_and_not1_saveexec_b32 s13, s13
; %bb.4484:                             ;   in Loop: Header=BB12_4474 Depth=3
	v_and_b32_e32 v2, 0xffff, v1
	v_or_b32_e32 v6, 0x10000, v1
	s_delay_alu instid0(VALU_DEP_2) | instskip(NEXT) | instid1(VALU_DEP_2)
	v_cmp_eq_u32_e32 vcc_lo, 0, v2
	v_cndmask_b32_e32 v2, v6, v1, vcc_lo
; %bb.4485:                             ;   in Loop: Header=BB12_4474 Depth=3
	s_or_b32 exec_lo, exec_lo, s13
	s_delay_alu instid0(VALU_DEP_1)
	v_lshrrev_b32_e32 v1, 16, v2
	s_mov_b64 s[40:41], 0
	s_mov_b32 s78, -1
	scratch_store_b16 off, v1, s33 offset:188
.LBB12_4486:                            ;   Parent Loop BB12_47 Depth=1
                                        ;     Parent Loop BB12_2999 Depth=2
                                        ;       Parent Loop BB12_4474 Depth=3
                                        ; =>      This Inner Loop Header: Depth=4
	s_cmp_eq_u32 s40, 1
	s_cselect_b32 vcc_lo, -1, 0
	s_cmp_eq_u32 s40, 0
	s_wait_xcnt 0x0
	v_dual_cndmask_b32 v7, v5, v9 :: v_dual_cndmask_b32 v6, v4, v8
	s_cselect_b32 s13, -1, 0
	s_and_b32 s14, exec_lo, s78
	s_mov_b64 s[40:41], 1
	s_mov_b32 s78, 0
	v_add_nc_u64_e32 v[14:15], 64, v[6:7]
	flat_store_b16 v[6:7], v1 th:TH_STORE_NT
	v_dual_cndmask_b32 v9, v9, v15 :: v_dual_cndmask_b32 v8, v8, v14
	v_dual_cndmask_b32 v5, v5, v15, s13 :: v_dual_cndmask_b32 v4, v4, v14, s13
	s_mov_b32 vcc_lo, s14
	s_cbranch_vccnz .LBB12_4486
; %bb.4487:                             ;   in Loop: Header=BB12_4474 Depth=3
	s_delay_alu instid0(VALU_DEP_1)
	v_add_nc_u64_e32 v[4:5], v[4:5], v[104:105]
	v_add_nc_u64_e32 v[8:9], v[8:9], v[104:105]
.LBB12_4488:                            ;   in Loop: Header=BB12_4474 Depth=3
	s_wait_xcnt 0x0
	s_or_b32 exec_lo, exec_lo, s79
	v_sub_nc_u32_e32 v0, v0, v111
	v_add_nc_u64_e32 v[10:11], v[10:11], v[104:105]
	v_add_nc_u64_e32 v[12:13], v[12:13], v[104:105]
	s_delay_alu instid0(VALU_DEP_3)
	v_cmp_lt_i32_e64 s78, 1, v0
	s_and_saveexec_b32 s79, s78
	s_cbranch_execz .LBB12_4491
; %bb.4489:                             ;   in Loop: Header=BB12_4474 Depth=3
	s_add_co_i32 s13, s33, 0xbc
	s_mov_b64 s[40:41], 0
	s_mov_b32 s88, s13
	s_mov_b32 s89, -1
.LBB12_4490:                            ;   Parent Loop BB12_47 Depth=1
                                        ;     Parent Loop BB12_2999 Depth=2
                                        ;       Parent Loop BB12_4474 Depth=3
                                        ; =>      This Inner Loop Header: Depth=4
	s_cmp_eq_u32 s40, 1
	s_cselect_b32 vcc_lo, -1, 0
	s_cmp_eq_u32 s40, 0
	v_dual_cndmask_b32 v7, v11, v13 :: v_dual_cndmask_b32 v6, v10, v12
	s_cselect_b32 s13, -1, 0
	s_and_b32 s14, exec_lo, s89
	s_mov_b64 s[40:41], 1
	s_mov_b32 s89, 0
	flat_load_u16 v1, v[6:7] th:TH_LOAD_NT
	s_wait_xcnt 0x0
	v_add_nc_u64_e32 v[6:7], 64, v[6:7]
	s_delay_alu instid0(VALU_DEP_1)
	v_dual_cndmask_b32 v11, v11, v7, s13 :: v_dual_cndmask_b32 v10, v10, v6, s13
	v_dual_cndmask_b32 v13, v13, v7 :: v_dual_cndmask_b32 v12, v12, v6
	s_add_co_i32 s13, s33, 0xbe
	s_mov_b32 vcc_lo, s14
	s_wait_loadcnt_dscnt 0x0
	scratch_store_b16 off, v1, s88
	s_wait_xcnt 0x0
	s_mov_b32 s88, s13
	s_cbranch_vccnz .LBB12_4490
.LBB12_4491:                            ;   in Loop: Header=BB12_4474 Depth=3
	s_or_b32 exec_lo, exec_lo, s79
	s_trap 2
	scratch_load_u16 v1, off, s33 offset:192
	ds_load_b32 v2, v0
	s_wait_loadcnt_dscnt 0x0
	v_dual_lshlrev_b32 v2, 16, v2 :: v_dual_lshlrev_b32 v1, 16, v1
	s_delay_alu instid0(VALU_DEP_1) | instskip(NEXT) | instid1(VALU_DEP_1)
	v_mul_f32_e32 v1, v2, v1
	v_and_b32_e32 v2, 0x7f800000, v1
	s_delay_alu instid0(VALU_DEP_1) | instskip(SKIP_2) | instid1(SALU_CYCLE_1)
	v_cmp_ne_u32_e32 vcc_lo, 0x7f800000, v2
                                        ; implicit-def: $vgpr2
	s_wait_xcnt 0x0
	s_and_saveexec_b32 s13, vcc_lo
	s_xor_b32 s13, exec_lo, s13
; %bb.4492:                             ;   in Loop: Header=BB12_4474 Depth=3
	v_bfe_u32 v2, v1, 16, 1
	s_delay_alu instid0(VALU_DEP_1)
	v_add3_u32 v2, v1, v2, 0x7fff
                                        ; implicit-def: $vgpr1
; %bb.4493:                             ;   in Loop: Header=BB12_4474 Depth=3
	s_and_not1_saveexec_b32 s13, s13
; %bb.4494:                             ;   in Loop: Header=BB12_4474 Depth=3
	v_and_b32_e32 v2, 0xffff, v1
	v_or_b32_e32 v6, 0x10000, v1
	s_delay_alu instid0(VALU_DEP_2) | instskip(NEXT) | instid1(VALU_DEP_2)
	v_cmp_eq_u32_e32 vcc_lo, 0, v2
	v_cndmask_b32_e32 v2, v6, v1, vcc_lo
; %bb.4495:                             ;   in Loop: Header=BB12_4474 Depth=3
	s_or_b32 exec_lo, exec_lo, s13
	scratch_load_u16 v1, off, s33 offset:224
	v_and_b32_e32 v2, 0xffff0000, v2
	s_wait_loadcnt 0x0
	v_lshlrev_b32_e32 v1, 16, v1
	s_delay_alu instid0(VALU_DEP_1) | instskip(NEXT) | instid1(VALU_DEP_1)
	v_add_f32_e32 v1, v2, v1
	v_and_b32_e32 v2, 0x7f800000, v1
	s_delay_alu instid0(VALU_DEP_1) | instskip(SKIP_2) | instid1(SALU_CYCLE_1)
	v_cmp_ne_u32_e32 vcc_lo, 0x7f800000, v2
                                        ; implicit-def: $vgpr2
	s_wait_xcnt 0x0
	s_and_saveexec_b32 s13, vcc_lo
	s_xor_b32 s13, exec_lo, s13
; %bb.4496:                             ;   in Loop: Header=BB12_4474 Depth=3
	v_bfe_u32 v2, v1, 16, 1
	s_delay_alu instid0(VALU_DEP_1)
	v_add3_u32 v2, v1, v2, 0x7fff
                                        ; implicit-def: $vgpr1
; %bb.4497:                             ;   in Loop: Header=BB12_4474 Depth=3
	s_and_not1_saveexec_b32 s13, s13
; %bb.4498:                             ;   in Loop: Header=BB12_4474 Depth=3
	v_and_b32_e32 v2, 0xffff, v1
	v_or_b32_e32 v6, 0x10000, v1
	s_delay_alu instid0(VALU_DEP_2) | instskip(NEXT) | instid1(VALU_DEP_2)
	v_cmp_eq_u32_e32 vcc_lo, 0, v2
	v_cndmask_b32_e32 v2, v6, v1, vcc_lo
; %bb.4499:                             ;   in Loop: Header=BB12_4474 Depth=3
	s_or_b32 exec_lo, exec_lo, s13
	s_delay_alu instid0(VALU_DEP_1)
	v_lshrrev_b32_e32 v1, 16, v2
	s_mov_b64 s[40:41], 0
	s_mov_b32 s79, -1
	scratch_store_b16 off, v1, s33 offset:192
.LBB12_4500:                            ;   Parent Loop BB12_47 Depth=1
                                        ;     Parent Loop BB12_2999 Depth=2
                                        ;       Parent Loop BB12_4474 Depth=3
                                        ; =>      This Inner Loop Header: Depth=4
	s_cmp_eq_u32 s40, 1
	s_cselect_b32 vcc_lo, -1, 0
	s_cmp_eq_u32 s40, 0
	s_wait_xcnt 0x0
	v_dual_cndmask_b32 v7, v5, v9 :: v_dual_cndmask_b32 v6, v4, v8
	s_cselect_b32 s13, -1, 0
	s_and_b32 s14, exec_lo, s79
	s_mov_b64 s[40:41], 1
	s_mov_b32 s79, 0
	v_add_nc_u64_e32 v[14:15], 64, v[6:7]
	flat_store_b16 v[6:7], v1 th:TH_STORE_NT
	v_dual_cndmask_b32 v9, v9, v15 :: v_dual_cndmask_b32 v8, v8, v14
	v_dual_cndmask_b32 v5, v5, v15, s13 :: v_dual_cndmask_b32 v4, v4, v14, s13
	s_mov_b32 vcc_lo, s14
	s_cbranch_vccnz .LBB12_4500
; %bb.4501:                             ;   in Loop: Header=BB12_4474 Depth=3
	s_wait_xcnt 0x0
	s_and_saveexec_b32 s13, s78
	s_cbranch_execz .LBB12_4473
; %bb.4502:                             ;   in Loop: Header=BB12_4474 Depth=3
	v_add_nc_u64_e32 v[4:5], v[4:5], v[104:105]
	v_add_nc_u64_e32 v[8:9], v[8:9], v[104:105]
	;; [unrolled: 1-line block ×4, first 2 shown]
	v_sub_nc_u32_e32 v0, v0, v111
	s_branch .LBB12_4473
.LBB12_4503:                            ;   in Loop: Header=BB12_2999 Depth=2
	s_or_b32 exec_lo, exec_lo, s76
	s_delay_alu instid0(SALU_CYCLE_1)
	s_and_b32 exec_lo, exec_lo, s77
	s_cbranch_execz .LBB12_4514
; %bb.4504:                             ;   in Loop: Header=BB12_2999 Depth=2
	s_trap 2
	scratch_load_u16 v0, off, s33 offset:188
	s_wait_loadcnt 0x0
	ds_load_b32 v1, v0
	s_wait_dscnt 0x0
	v_dual_lshlrev_b32 v0, 16, v0 :: v_dual_lshlrev_b32 v1, 16, v1
	s_delay_alu instid0(VALU_DEP_1) | instskip(NEXT) | instid1(VALU_DEP_1)
	v_mul_f32_e32 v0, v1, v0
	v_and_b32_e32 v1, 0x7f800000, v0
	s_delay_alu instid0(VALU_DEP_1) | instskip(SKIP_2) | instid1(SALU_CYCLE_1)
	v_cmp_ne_u32_e32 vcc_lo, 0x7f800000, v1
                                        ; implicit-def: $vgpr1
	s_wait_xcnt 0x0
	s_and_saveexec_b32 s13, vcc_lo
	s_xor_b32 s13, exec_lo, s13
; %bb.4505:                             ;   in Loop: Header=BB12_2999 Depth=2
	v_bfe_u32 v1, v0, 16, 1
	s_delay_alu instid0(VALU_DEP_1)
	v_add3_u32 v1, v0, v1, 0x7fff
                                        ; implicit-def: $vgpr0
; %bb.4506:                             ;   in Loop: Header=BB12_2999 Depth=2
	s_and_not1_saveexec_b32 s13, s13
; %bb.4507:                             ;   in Loop: Header=BB12_2999 Depth=2
	v_and_b32_e32 v1, 0xffff, v0
	v_or_b32_e32 v2, 0x10000, v0
	s_delay_alu instid0(VALU_DEP_2) | instskip(NEXT) | instid1(VALU_DEP_2)
	v_cmp_eq_u32_e32 vcc_lo, 0, v1
	v_cndmask_b32_e32 v1, v2, v0, vcc_lo
; %bb.4508:                             ;   in Loop: Header=BB12_2999 Depth=2
	s_or_b32 exec_lo, exec_lo, s13
	scratch_load_u16 v0, off, s33 offset:190
	v_and_b32_e32 v1, 0xffff0000, v1
	s_wait_loadcnt 0x0
	v_lshlrev_b32_e32 v0, 16, v0
	s_delay_alu instid0(VALU_DEP_1) | instskip(NEXT) | instid1(VALU_DEP_1)
	v_add_f32_e32 v0, v1, v0
	v_and_b32_e32 v1, 0x7f800000, v0
	s_delay_alu instid0(VALU_DEP_1) | instskip(SKIP_2) | instid1(SALU_CYCLE_1)
	v_cmp_ne_u32_e32 vcc_lo, 0x7f800000, v1
                                        ; implicit-def: $vgpr1
	s_wait_xcnt 0x0
	s_and_saveexec_b32 s13, vcc_lo
	s_xor_b32 s13, exec_lo, s13
; %bb.4509:                             ;   in Loop: Header=BB12_2999 Depth=2
	v_bfe_u32 v1, v0, 16, 1
	s_delay_alu instid0(VALU_DEP_1)
	v_add3_u32 v1, v0, v1, 0x7fff
                                        ; implicit-def: $vgpr0
; %bb.4510:                             ;   in Loop: Header=BB12_2999 Depth=2
	s_and_not1_saveexec_b32 s13, s13
; %bb.4511:                             ;   in Loop: Header=BB12_2999 Depth=2
	v_and_b32_e32 v1, 0xffff, v0
	v_or_b32_e32 v2, 0x10000, v0
	s_delay_alu instid0(VALU_DEP_2) | instskip(NEXT) | instid1(VALU_DEP_2)
	v_cmp_eq_u32_e32 vcc_lo, 0, v1
	v_cndmask_b32_e32 v1, v2, v0, vcc_lo
; %bb.4512:                             ;   in Loop: Header=BB12_2999 Depth=2
	s_or_b32 exec_lo, exec_lo, s13
	s_delay_alu instid0(VALU_DEP_1)
	v_lshrrev_b32_e32 v0, 16, v1
	s_mov_b64 s[40:41], 0
	s_mov_b32 s76, -1
.LBB12_4513:                            ;   Parent Loop BB12_47 Depth=1
                                        ;     Parent Loop BB12_2999 Depth=2
                                        ; =>    This Inner Loop Header: Depth=3
	s_cmp_eq_u32 s40, 1
	s_cselect_b32 vcc_lo, -1, 0
	s_cmp_eq_u32 s40, 0
	s_wait_xcnt 0x0
	v_dual_cndmask_b32 v7, v5, v9 :: v_dual_cndmask_b32 v6, v4, v8
	s_cselect_b32 s13, -1, 0
	s_and_b32 s14, exec_lo, s76
	s_mov_b64 s[40:41], 1
	s_mov_b32 s76, 0
	v_add_nc_u64_e32 v[10:11], 64, v[6:7]
	flat_store_b16 v[6:7], v0 th:TH_STORE_NT
	v_dual_cndmask_b32 v9, v9, v11 :: v_dual_cndmask_b32 v8, v8, v10
	v_dual_cndmask_b32 v5, v5, v11, s13 :: v_dual_cndmask_b32 v4, v4, v10, s13
	s_mov_b32 vcc_lo, s14
	s_cbranch_vccnz .LBB12_4513
.LBB12_4514:                            ;   in Loop: Header=BB12_2999 Depth=2
	s_wait_xcnt 0x0
	s_or_b32 exec_lo, exec_lo, s15
	s_mov_b32 s13, 0
.LBB12_4515:                            ;   in Loop: Header=BB12_2999 Depth=2
	s_delay_alu instid0(SALU_CYCLE_1)
	s_and_b32 vcc_lo, exec_lo, s13
	s_cbranch_vccz .LBB12_5041
; %bb.4516:                             ;   in Loop: Header=BB12_2999 Depth=2
	s_mov_b32 s13, -1
	s_wait_xcnt 0x0
	s_and_saveexec_b32 s14, s11
	s_cbranch_execz .LBB12_4518
; %bb.4517:                             ;   in Loop: Header=BB12_2999 Depth=2
	s_wait_loadcnt 0x1
	ds_load_b32 v0, v0 offset:720
	s_wait_dscnt 0x0
	v_and_b32_e32 v0, 15, v0
	s_delay_alu instid0(VALU_DEP_1)
	v_cmp_eq_u32_e32 vcc_lo, 0, v0
	s_or_not1_b32 s13, vcc_lo, exec_lo
.LBB12_4518:                            ;   in Loop: Header=BB12_2999 Depth=2
	s_or_b32 exec_lo, exec_lo, s14
	s_and_saveexec_b32 s14, s7
	s_cbranch_execz .LBB12_4520
; %bb.4519:                             ;   in Loop: Header=BB12_2999 Depth=2
	s_wait_loadcnt 0x1
	ds_load_b32 v0, v0 offset:784
	s_wait_dscnt 0x0
	v_and_b32_e32 v0, 15, v0
	s_delay_alu instid0(VALU_DEP_1) | instskip(SKIP_3) | instid1(SALU_CYCLE_1)
	v_cmp_eq_u32_e32 vcc_lo, 0, v0
	s_and_b32 s15, s13, vcc_lo
	s_and_not1_b32 s13, s13, exec_lo
	s_and_b32 s15, s15, exec_lo
	s_or_b32 s13, s13, s15
.LBB12_4520:                            ;   in Loop: Header=BB12_2999 Depth=2
	s_or_b32 exec_lo, exec_lo, s14
	s_xor_b32 s13, s13, -1
	s_wait_loadcnt 0x1
	v_cndmask_b32_e64 v0, 0, 1, s13
	s_mov_b32 s13, -1
	s_delay_alu instid0(VALU_DEP_1)
	v_cmp_ne_u32_e32 vcc_lo, 0, v0
	s_cbranch_vccz .LBB12_5042
; %bb.4521:                             ;   in Loop: Header=BB12_2999 Depth=2
	s_mov_b32 s76, -1
	v_mov_b32_e32 v2, 0
	s_cbranch_execnz .LBB12_5043
.LBB12_4522:                            ;   in Loop: Header=BB12_2999 Depth=2
	v_ashrrev_i32_e32 v0, 31, v123
	s_mov_b32 s14, 0
	s_mov_b32 s13, exec_lo
                                        ; implicit-def: $vgpr96_vgpr97
                                        ; implicit-def: $vgpr68_vgpr69
                                        ; implicit-def: $vgpr48_vgpr49
                                        ; implicit-def: $vgpr24_vgpr25
                                        ; implicit-def: $vgpr20_vgpr21
                                        ; implicit-def: $vgpr16_vgpr17
                                        ; implicit-def: $vgpr12_vgpr13
                                        ; implicit-def: $vgpr8_vgpr9
	s_delay_alu instid0(VALU_DEP_1) | instskip(NEXT) | instid1(VALU_DEP_1)
	v_lshrrev_b32_e32 v0, 21, v0
	v_add_nc_u32_e32 v0, v123, v0
	s_delay_alu instid0(VALU_DEP_1)
	v_ashrrev_i32_e32 v2, 11, v0
	scratch_load_b32 v0, off, s33 offset:360 ; 4-byte Folded Reload
	s_wait_loadcnt 0x0
	v_sub_nc_u32_e32 v31, v2, v0
	s_clause 0x1
	scratch_load_b64 v[0:1], off, s33 offset:348
	scratch_load_b64 v[4:5], off, s33 offset:340
	s_wait_loadcnt 0x0
	v_add_nc_u64_e32 v[4:5], v[4:5], v[0:1]
	s_wait_xcnt 0x0
	v_cmpx_lt_i32_e32 0, v31
	s_cbranch_execz .LBB12_5045
; %bb.4523:                             ;   in Loop: Header=BB12_2999 Depth=2
	s_trap 2
	scratch_load_b64 v[8:9], off, s33 offset:348 ; 8-byte Folded Reload
	ds_load_b64 v[0:1], v0
	s_mov_b32 s40, 0
                                        ; implicit-def: $sgpr15
                                        ; implicit-def: $vgpr96_vgpr97
                                        ; implicit-def: $vgpr68_vgpr69
                                        ; implicit-def: $vgpr48_vgpr49
                                        ; implicit-def: $vgpr24_vgpr25
                                        ; implicit-def: $vgpr20_vgpr21
                                        ; implicit-def: $vgpr16_vgpr17
                                        ; implicit-def: $vgpr12_vgpr13
	s_wait_dscnt 0x0
	ds_load_b32 v6, v0
	s_wait_dscnt 0x0
	v_lshlrev_b32_e32 v30, 16, v6
	s_wait_loadcnt 0x0
	v_add_nc_u64_e32 v[118:119], v[72:73], v[8:9]
	v_add_nc_u64_e32 v[62:63], v[0:1], v[8:9]
                                        ; implicit-def: $vgpr8_vgpr9
	s_branch .LBB12_4525
.LBB12_4524:                            ;   in Loop: Header=BB12_4525 Depth=3
	s_or_b32 exec_lo, exec_lo, s41
	v_dual_lshrrev_b32 v35, 16, v114 :: v_dual_lshrrev_b32 v85, 16, v112
	v_dual_lshrrev_b32 v81, 16, v42 :: v_dual_lshrrev_b32 v83, 16, v83
	v_dual_lshrrev_b32 v0, 16, v0 :: v_dual_lshrrev_b32 v1, 16, v1
	v_lshrrev_b32_e32 v87, 16, v102
	s_delay_alu instid0(VALU_DEP_4)
	v_and_or_b32 v37, 0xffff0000, v37, v35
	v_lshrrev_b32_e32 v35, 16, v67
	v_and_or_b32 v36, 0xffff0000, v36, v81
	v_lshrrev_b32_e32 v81, 16, v82
	v_and_or_b32 v113, 0xffff0000, v65, v0
	v_and_or_b32 v112, 0xffff0000, v64, v1
	v_dual_lshrrev_b32 v0, 16, v7 :: v_dual_lshrrev_b32 v1, 16, v86
	v_and_or_b32 v52, 0xffff0000, v52, v35
	v_dual_lshrrev_b32 v35, 16, v44 :: v_dual_lshrrev_b32 v67, 16, v45
	v_and_or_b32 v114, 0xffff0000, v6, v81
	v_lshrrev_b32_e32 v6, 16, v100
	v_and_or_b32 v115, 0xffff0000, v66, v0
	v_and_or_b32 v33, 0xffff0000, v33, v1
	v_add_nc_u64_e32 v[0:1], v[118:119], v[92:93]
	v_and_or_b32 v54, 0xffff0000, v54, v35
	v_lshrrev_b32_e32 v35, 16, v80
	v_and_or_b32 v32, 0xffff0000, v32, v6
	v_and_or_b32 v53, 0xffff0000, v53, v83
	;; [unrolled: 1-line block ×5, first 2 shown]
	v_dual_cndmask_b32 v29, 0, v60, s40 :: v_dual_cndmask_b32 v119, v119, v1, s40
	v_lshrrev_b32_e32 v7, 16, v84
	v_and_or_b32 v39, 0xffff0000, v39, v87
	s_clause 0x1
	global_store_b128 v[4:5], v[112:115], off th:TH_STORE_NT
	global_store_b128 v[4:5], v[52:55], off offset:512 th:TH_STORE_NT
	v_sub_nc_u32_e32 v31, v31, v29
	s_wait_xcnt 0x0
	v_add_nc_u64_e32 v[52:53], v[62:63], v[92:93]
	v_and_or_b32 v34, 0xffff0000, v34, v7
	v_add_nc_u64_e32 v[6:7], 0x800, v[92:93]
	s_clause 0x1
	global_store_b128 v[4:5], v[36:39], off offset:1024 th:TH_STORE_NT
	global_store_b128 v[4:5], v[32:35], off offset:1536 th:TH_STORE_NT
	v_cmp_gt_i32_e32 vcc_lo, 1, v31
	v_dual_cndmask_b32 v118, v118, v0, s40 :: v_dual_cndmask_b32 v63, v63, v53, s40
	v_cndmask_b32_e64 v7, 0, v7, s40
	v_cndmask_b32_e64 v6, 0x800, v6, s40
	;; [unrolled: 1-line block ×3, first 2 shown]
	s_or_b32 s14, vcc_lo, s14
	s_and_not1_b32 s15, s15, exec_lo
	s_and_b32 s41, s40, exec_lo
	s_wait_xcnt 0x0
	v_add_nc_u64_e32 v[4:5], v[4:5], v[6:7]
	s_or_b32 s15, s15, s41
	s_and_not1_b32 exec_lo, exec_lo, s14
	s_cbranch_execz .LBB12_5044
.LBB12_4525:                            ;   Parent Loop BB12_47 Depth=1
                                        ;     Parent Loop BB12_2999 Depth=2
                                        ; =>    This Inner Loop Header: Depth=3
	s_clause 0x3
	global_load_b128 v[112:115], v[118:119], off th:TH_LOAD_NT
	global_load_b128 v[100:103], v[118:119], off offset:512 th:TH_LOAD_NT
	global_load_b128 v[84:87], v[118:119], off offset:1024 th:TH_LOAD_NT
	;; [unrolled: 1-line block ×3, first 2 shown]
	s_clause 0x3
	global_load_b128 v[64:67], v[62:63], off th:TH_LOAD_NT
	global_load_b128 v[52:55], v[62:63], off offset:512 th:TH_LOAD_NT
	global_load_b128 v[36:39], v[62:63], off offset:1024 th:TH_LOAD_NT
	;; [unrolled: 1-line block ×3, first 2 shown]
	s_wait_xcnt 0x0
	s_and_saveexec_b32 s41, s40
	s_cbranch_execz .LBB12_4783
; %bb.4526:                             ;   in Loop: Header=BB12_4525 Depth=3
	v_lshlrev_b32_e32 v0, 16, v96
	s_delay_alu instid0(VALU_DEP_1) | instskip(NEXT) | instid1(VALU_DEP_1)
	v_mul_f32_e32 v0, v30, v0
	v_and_b32_e32 v1, 0x7f800000, v0
	s_delay_alu instid0(VALU_DEP_1) | instskip(SKIP_1) | instid1(SALU_CYCLE_1)
	v_cmp_ne_u32_e32 vcc_lo, 0x7f800000, v1
                                        ; implicit-def: $vgpr1
	s_and_saveexec_b32 s40, vcc_lo
	s_xor_b32 s40, exec_lo, s40
; %bb.4527:                             ;   in Loop: Header=BB12_4525 Depth=3
	v_bfe_u32 v1, v0, 16, 1
	s_delay_alu instid0(VALU_DEP_1)
	v_add3_u32 v1, v0, v1, 0x7fff
                                        ; implicit-def: $vgpr0
; %bb.4528:                             ;   in Loop: Header=BB12_4525 Depth=3
	s_and_not1_saveexec_b32 s40, s40
; %bb.4529:                             ;   in Loop: Header=BB12_4525 Depth=3
	v_and_b32_e32 v1, 0xffff, v0
	v_or_b32_e32 v6, 0x10000, v0
	s_delay_alu instid0(VALU_DEP_2) | instskip(NEXT) | instid1(VALU_DEP_2)
	v_cmp_eq_u32_e32 vcc_lo, 0, v1
	v_cndmask_b32_e32 v1, v6, v0, vcc_lo
; %bb.4530:                             ;   in Loop: Header=BB12_4525 Depth=3
	s_or_b32 exec_lo, exec_lo, s40
	v_and_b32_e32 v0, 0xffff0000, v96
	s_delay_alu instid0(VALU_DEP_1) | instskip(NEXT) | instid1(VALU_DEP_1)
	v_mul_f32_e32 v6, v30, v0
	v_and_b32_e32 v0, 0x7f800000, v6
	s_delay_alu instid0(VALU_DEP_1) | instskip(SKIP_1) | instid1(SALU_CYCLE_1)
	v_cmp_ne_u32_e32 vcc_lo, 0x7f800000, v0
                                        ; implicit-def: $vgpr0
	s_and_saveexec_b32 s40, vcc_lo
	s_xor_b32 s40, exec_lo, s40
; %bb.4531:                             ;   in Loop: Header=BB12_4525 Depth=3
	v_bfe_u32 v0, v6, 16, 1
	s_delay_alu instid0(VALU_DEP_1)
	v_add3_u32 v0, v6, v0, 0x7fff
                                        ; implicit-def: $vgpr6
; %bb.4532:                             ;   in Loop: Header=BB12_4525 Depth=3
	s_and_not1_saveexec_b32 s40, s40
; %bb.4533:                             ;   in Loop: Header=BB12_4525 Depth=3
	v_and_b32_e32 v0, 0xffff, v6
	v_or_b32_e32 v7, 0x10000, v6
	s_delay_alu instid0(VALU_DEP_2) | instskip(NEXT) | instid1(VALU_DEP_2)
	v_cmp_eq_u32_e32 vcc_lo, 0, v0
	v_cndmask_b32_e32 v0, v7, v6, vcc_lo
; %bb.4534:                             ;   in Loop: Header=BB12_4525 Depth=3
	s_or_b32 exec_lo, exec_lo, s40
	v_lshlrev_b32_e32 v6, 16, v97
	s_mov_b32 s40, exec_lo
                                        ; implicit-def: $vgpr107
	s_delay_alu instid0(VALU_DEP_1) | instskip(NEXT) | instid1(VALU_DEP_1)
	v_mul_f32_e32 v6, v30, v6
	v_and_b32_e32 v7, 0x7f800000, v6
	s_delay_alu instid0(VALU_DEP_1)
	v_cmpx_ne_u32_e32 0x7f800000, v7
	s_xor_b32 s40, exec_lo, s40
; %bb.4535:                             ;   in Loop: Header=BB12_4525 Depth=3
	v_bfe_u32 v7, v6, 16, 1
	s_delay_alu instid0(VALU_DEP_1)
	v_add3_u32 v107, v6, v7, 0x7fff
                                        ; implicit-def: $vgpr6
; %bb.4536:                             ;   in Loop: Header=BB12_4525 Depth=3
	s_and_not1_saveexec_b32 s40, s40
; %bb.4537:                             ;   in Loop: Header=BB12_4525 Depth=3
	v_and_b32_e32 v7, 0xffff, v6
	v_or_b32_e32 v29, 0x10000, v6
	s_delay_alu instid0(VALU_DEP_2) | instskip(NEXT) | instid1(VALU_DEP_2)
	v_cmp_eq_u32_e32 vcc_lo, 0, v7
	v_cndmask_b32_e32 v107, v29, v6, vcc_lo
; %bb.4538:                             ;   in Loop: Header=BB12_4525 Depth=3
	s_or_b32 exec_lo, exec_lo, s40
	v_and_b32_e32 v6, 0xffff0000, v97
	s_mov_b32 s40, exec_lo
                                        ; implicit-def: $vgpr44
	s_delay_alu instid0(VALU_DEP_1) | instskip(NEXT) | instid1(VALU_DEP_1)
	v_mul_f32_e32 v6, v30, v6
	v_and_b32_e32 v7, 0x7f800000, v6
	s_delay_alu instid0(VALU_DEP_1)
	v_cmpx_ne_u32_e32 0x7f800000, v7
	s_xor_b32 s40, exec_lo, s40
; %bb.4539:                             ;   in Loop: Header=BB12_4525 Depth=3
	v_bfe_u32 v7, v6, 16, 1
	s_delay_alu instid0(VALU_DEP_1)
	v_add3_u32 v44, v6, v7, 0x7fff
                                        ; implicit-def: $vgpr6
; %bb.4540:                             ;   in Loop: Header=BB12_4525 Depth=3
	s_and_not1_saveexec_b32 s40, s40
; %bb.4541:                             ;   in Loop: Header=BB12_4525 Depth=3
	v_and_b32_e32 v7, 0xffff, v6
	v_or_b32_e32 v29, 0x10000, v6
	s_delay_alu instid0(VALU_DEP_2) | instskip(NEXT) | instid1(VALU_DEP_2)
	v_cmp_eq_u32_e32 vcc_lo, 0, v7
	v_cndmask_b32_e32 v44, v29, v6, vcc_lo
; %bb.4542:                             ;   in Loop: Header=BB12_4525 Depth=3
	s_or_b32 exec_lo, exec_lo, s40
	v_lshlrev_b32_e32 v6, 16, v98
	s_mov_b32 s40, exec_lo
                                        ; implicit-def: $vgpr45
	s_delay_alu instid0(VALU_DEP_1) | instskip(NEXT) | instid1(VALU_DEP_1)
	v_mul_f32_e32 v6, v30, v6
	v_and_b32_e32 v7, 0x7f800000, v6
	s_delay_alu instid0(VALU_DEP_1)
	v_cmpx_ne_u32_e32 0x7f800000, v7
	s_xor_b32 s40, exec_lo, s40
; %bb.4543:                             ;   in Loop: Header=BB12_4525 Depth=3
	v_bfe_u32 v7, v6, 16, 1
	s_delay_alu instid0(VALU_DEP_1)
	v_add3_u32 v45, v6, v7, 0x7fff
                                        ; implicit-def: $vgpr6
; %bb.4544:                             ;   in Loop: Header=BB12_4525 Depth=3
	s_and_not1_saveexec_b32 s40, s40
; %bb.4545:                             ;   in Loop: Header=BB12_4525 Depth=3
	v_and_b32_e32 v7, 0xffff, v6
	v_or_b32_e32 v29, 0x10000, v6
	s_delay_alu instid0(VALU_DEP_2) | instskip(NEXT) | instid1(VALU_DEP_2)
	v_cmp_eq_u32_e32 vcc_lo, 0, v7
	v_cndmask_b32_e32 v45, v29, v6, vcc_lo
; %bb.4546:                             ;   in Loop: Header=BB12_4525 Depth=3
	s_or_b32 exec_lo, exec_lo, s40
	v_and_b32_e32 v6, 0xffff0000, v98
	s_delay_alu instid0(VALU_DEP_1) | instskip(NEXT) | instid1(VALU_DEP_1)
	v_mul_f32_e32 v7, v30, v6
	v_and_b32_e32 v6, 0x7f800000, v7
	s_delay_alu instid0(VALU_DEP_1) | instskip(SKIP_1) | instid1(SALU_CYCLE_1)
	v_cmp_ne_u32_e32 vcc_lo, 0x7f800000, v6
                                        ; implicit-def: $vgpr6
	s_and_saveexec_b32 s40, vcc_lo
	s_xor_b32 s40, exec_lo, s40
; %bb.4547:                             ;   in Loop: Header=BB12_4525 Depth=3
	v_bfe_u32 v6, v7, 16, 1
	s_delay_alu instid0(VALU_DEP_1)
	v_add3_u32 v6, v7, v6, 0x7fff
                                        ; implicit-def: $vgpr7
; %bb.4548:                             ;   in Loop: Header=BB12_4525 Depth=3
	s_and_not1_saveexec_b32 s40, s40
; %bb.4549:                             ;   in Loop: Header=BB12_4525 Depth=3
	v_and_b32_e32 v6, 0xffff, v7
	v_or_b32_e32 v29, 0x10000, v7
	s_delay_alu instid0(VALU_DEP_2) | instskip(NEXT) | instid1(VALU_DEP_2)
	v_cmp_eq_u32_e32 vcc_lo, 0, v6
	v_cndmask_b32_e32 v6, v29, v7, vcc_lo
; %bb.4550:                             ;   in Loop: Header=BB12_4525 Depth=3
	s_or_b32 exec_lo, exec_lo, s40
	v_lshlrev_b32_e32 v7, 16, v99
	s_delay_alu instid0(VALU_DEP_1) | instskip(NEXT) | instid1(VALU_DEP_1)
	v_mul_f32_e32 v29, v30, v7
	v_and_b32_e32 v7, 0x7f800000, v29
	s_delay_alu instid0(VALU_DEP_1) | instskip(SKIP_1) | instid1(SALU_CYCLE_1)
	v_cmp_ne_u32_e32 vcc_lo, 0x7f800000, v7
                                        ; implicit-def: $vgpr7
	s_and_saveexec_b32 s40, vcc_lo
	s_xor_b32 s40, exec_lo, s40
; %bb.4551:                             ;   in Loop: Header=BB12_4525 Depth=3
	v_bfe_u32 v7, v29, 16, 1
	s_delay_alu instid0(VALU_DEP_1)
	v_add3_u32 v7, v29, v7, 0x7fff
                                        ; implicit-def: $vgpr29
; %bb.4552:                             ;   in Loop: Header=BB12_4525 Depth=3
	s_and_not1_saveexec_b32 s40, s40
; %bb.4553:                             ;   in Loop: Header=BB12_4525 Depth=3
	v_and_b32_e32 v7, 0xffff, v29
	v_or_b32_e32 v96, 0x10000, v29
	s_delay_alu instid0(VALU_DEP_2) | instskip(NEXT) | instid1(VALU_DEP_2)
	v_cmp_eq_u32_e32 vcc_lo, 0, v7
	v_cndmask_b32_e32 v7, v96, v29, vcc_lo
; %bb.4554:                             ;   in Loop: Header=BB12_4525 Depth=3
	s_or_b32 exec_lo, exec_lo, s40
	v_and_b32_e32 v29, 0xffff0000, v99
	s_mov_b32 s40, exec_lo
                                        ; implicit-def: $vgpr46
	s_delay_alu instid0(VALU_DEP_1) | instskip(NEXT) | instid1(VALU_DEP_1)
	v_mul_f32_e32 v29, v30, v29
	v_and_b32_e32 v96, 0x7f800000, v29
	s_delay_alu instid0(VALU_DEP_1)
	v_cmpx_ne_u32_e32 0x7f800000, v96
	s_xor_b32 s40, exec_lo, s40
; %bb.4555:                             ;   in Loop: Header=BB12_4525 Depth=3
	v_bfe_u32 v96, v29, 16, 1
	s_delay_alu instid0(VALU_DEP_1)
	v_add3_u32 v46, v29, v96, 0x7fff
                                        ; implicit-def: $vgpr29
; %bb.4556:                             ;   in Loop: Header=BB12_4525 Depth=3
	s_and_not1_saveexec_b32 s40, s40
; %bb.4557:                             ;   in Loop: Header=BB12_4525 Depth=3
	v_and_b32_e32 v96, 0xffff, v29
	v_or_b32_e32 v97, 0x10000, v29
	s_delay_alu instid0(VALU_DEP_2) | instskip(NEXT) | instid1(VALU_DEP_2)
	v_cmp_eq_u32_e32 vcc_lo, 0, v96
	v_cndmask_b32_e32 v46, v97, v29, vcc_lo
; %bb.4558:                             ;   in Loop: Header=BB12_4525 Depth=3
	s_or_b32 exec_lo, exec_lo, s40
	v_lshlrev_b32_e32 v29, 16, v68
	s_mov_b32 s40, exec_lo
                                        ; implicit-def: $vgpr47
	s_delay_alu instid0(VALU_DEP_1) | instskip(NEXT) | instid1(VALU_DEP_1)
	v_mul_f32_e32 v29, v30, v29
	v_and_b32_e32 v96, 0x7f800000, v29
	s_delay_alu instid0(VALU_DEP_1)
	v_cmpx_ne_u32_e32 0x7f800000, v96
	s_xor_b32 s40, exec_lo, s40
; %bb.4559:                             ;   in Loop: Header=BB12_4525 Depth=3
	v_bfe_u32 v96, v29, 16, 1
	s_delay_alu instid0(VALU_DEP_1)
	v_add3_u32 v47, v29, v96, 0x7fff
                                        ; implicit-def: $vgpr29
; %bb.4560:                             ;   in Loop: Header=BB12_4525 Depth=3
	s_and_not1_saveexec_b32 s40, s40
; %bb.4561:                             ;   in Loop: Header=BB12_4525 Depth=3
	v_and_b32_e32 v96, 0xffff, v29
	v_or_b32_e32 v97, 0x10000, v29
	s_delay_alu instid0(VALU_DEP_2) | instskip(NEXT) | instid1(VALU_DEP_2)
	v_cmp_eq_u32_e32 vcc_lo, 0, v96
	v_cndmask_b32_e32 v47, v97, v29, vcc_lo
; %bb.4562:                             ;   in Loop: Header=BB12_4525 Depth=3
	s_or_b32 exec_lo, exec_lo, s40
	v_and_b32_e32 v29, 0xffff0000, v68
	s_mov_b32 s40, exec_lo
                                        ; implicit-def: $vgpr79
	s_delay_alu instid0(VALU_DEP_1) | instskip(NEXT) | instid1(VALU_DEP_1)
	v_mul_f32_e32 v29, v30, v29
	v_and_b32_e32 v68, 0x7f800000, v29
	s_delay_alu instid0(VALU_DEP_1)
	v_cmpx_ne_u32_e32 0x7f800000, v68
	s_xor_b32 s40, exec_lo, s40
; %bb.4563:                             ;   in Loop: Header=BB12_4525 Depth=3
	v_bfe_u32 v68, v29, 16, 1
	s_delay_alu instid0(VALU_DEP_1)
	v_add3_u32 v79, v29, v68, 0x7fff
                                        ; implicit-def: $vgpr29
; %bb.4564:                             ;   in Loop: Header=BB12_4525 Depth=3
	s_and_not1_saveexec_b32 s40, s40
; %bb.4565:                             ;   in Loop: Header=BB12_4525 Depth=3
	v_and_b32_e32 v68, 0xffff, v29
	v_or_b32_e32 v96, 0x10000, v29
	s_delay_alu instid0(VALU_DEP_2) | instskip(NEXT) | instid1(VALU_DEP_2)
	v_cmp_eq_u32_e32 vcc_lo, 0, v68
	v_cndmask_b32_e32 v79, v96, v29, vcc_lo
; %bb.4566:                             ;   in Loop: Header=BB12_4525 Depth=3
	s_or_b32 exec_lo, exec_lo, s40
	v_lshlrev_b32_e32 v29, 16, v69
	s_mov_b32 s40, exec_lo
                                        ; implicit-def: $vgpr106
	s_delay_alu instid0(VALU_DEP_1) | instskip(NEXT) | instid1(VALU_DEP_1)
	v_mul_f32_e32 v29, v30, v29
	v_and_b32_e32 v68, 0x7f800000, v29
	s_delay_alu instid0(VALU_DEP_1)
	v_cmpx_ne_u32_e32 0x7f800000, v68
	s_xor_b32 s40, exec_lo, s40
; %bb.4567:                             ;   in Loop: Header=BB12_4525 Depth=3
	v_bfe_u32 v68, v29, 16, 1
	s_delay_alu instid0(VALU_DEP_1)
	v_add3_u32 v106, v29, v68, 0x7fff
                                        ; implicit-def: $vgpr29
; %bb.4568:                             ;   in Loop: Header=BB12_4525 Depth=3
	s_and_not1_saveexec_b32 s40, s40
; %bb.4569:                             ;   in Loop: Header=BB12_4525 Depth=3
	v_and_b32_e32 v68, 0xffff, v29
	v_or_b32_e32 v96, 0x10000, v29
	s_delay_alu instid0(VALU_DEP_2) | instskip(NEXT) | instid1(VALU_DEP_2)
	v_cmp_eq_u32_e32 vcc_lo, 0, v68
	v_cndmask_b32_e32 v106, v96, v29, vcc_lo
; %bb.4570:                             ;   in Loop: Header=BB12_4525 Depth=3
	s_or_b32 exec_lo, exec_lo, s40
	v_and_b32_e32 v29, 0xffff0000, v69
	s_mov_b32 s40, exec_lo
                                        ; implicit-def: $vgpr77
	s_delay_alu instid0(VALU_DEP_1) | instskip(NEXT) | instid1(VALU_DEP_1)
	v_mul_f32_e32 v29, v30, v29
	v_and_b32_e32 v68, 0x7f800000, v29
	s_delay_alu instid0(VALU_DEP_1)
	v_cmpx_ne_u32_e32 0x7f800000, v68
	s_xor_b32 s40, exec_lo, s40
; %bb.4571:                             ;   in Loop: Header=BB12_4525 Depth=3
	v_bfe_u32 v68, v29, 16, 1
	s_delay_alu instid0(VALU_DEP_1)
	v_add3_u32 v77, v29, v68, 0x7fff
                                        ; implicit-def: $vgpr29
; %bb.4572:                             ;   in Loop: Header=BB12_4525 Depth=3
	s_and_not1_saveexec_b32 s40, s40
; %bb.4573:                             ;   in Loop: Header=BB12_4525 Depth=3
	v_and_b32_e32 v68, 0xffff, v29
	v_or_b32_e32 v69, 0x10000, v29
	s_delay_alu instid0(VALU_DEP_2) | instskip(NEXT) | instid1(VALU_DEP_2)
	v_cmp_eq_u32_e32 vcc_lo, 0, v68
	v_cndmask_b32_e32 v77, v69, v29, vcc_lo
; %bb.4574:                             ;   in Loop: Header=BB12_4525 Depth=3
	s_or_b32 exec_lo, exec_lo, s40
	v_lshlrev_b32_e32 v29, 16, v70
	s_mov_b32 s40, exec_lo
                                        ; implicit-def: $vgpr78
	s_delay_alu instid0(VALU_DEP_1) | instskip(NEXT) | instid1(VALU_DEP_1)
	v_mul_f32_e32 v29, v30, v29
	v_and_b32_e32 v68, 0x7f800000, v29
	s_delay_alu instid0(VALU_DEP_1)
	v_cmpx_ne_u32_e32 0x7f800000, v68
	s_xor_b32 s40, exec_lo, s40
; %bb.4575:                             ;   in Loop: Header=BB12_4525 Depth=3
	v_bfe_u32 v68, v29, 16, 1
	s_delay_alu instid0(VALU_DEP_1)
	v_add3_u32 v78, v29, v68, 0x7fff
                                        ; implicit-def: $vgpr29
; %bb.4576:                             ;   in Loop: Header=BB12_4525 Depth=3
	s_and_not1_saveexec_b32 s40, s40
; %bb.4577:                             ;   in Loop: Header=BB12_4525 Depth=3
	v_and_b32_e32 v68, 0xffff, v29
	v_or_b32_e32 v69, 0x10000, v29
	s_delay_alu instid0(VALU_DEP_2) | instskip(NEXT) | instid1(VALU_DEP_2)
	v_cmp_eq_u32_e32 vcc_lo, 0, v68
	v_cndmask_b32_e32 v78, v69, v29, vcc_lo
; %bb.4578:                             ;   in Loop: Header=BB12_4525 Depth=3
	s_or_b32 exec_lo, exec_lo, s40
	v_and_b32_e32 v29, 0xffff0000, v70
	s_mov_b32 s40, exec_lo
                                        ; implicit-def: $vgpr75
	s_delay_alu instid0(VALU_DEP_1) | instskip(NEXT) | instid1(VALU_DEP_1)
	v_mul_f32_e32 v29, v30, v29
	v_and_b32_e32 v68, 0x7f800000, v29
	s_delay_alu instid0(VALU_DEP_1)
	v_cmpx_ne_u32_e32 0x7f800000, v68
	s_xor_b32 s40, exec_lo, s40
; %bb.4579:                             ;   in Loop: Header=BB12_4525 Depth=3
	v_bfe_u32 v68, v29, 16, 1
	s_delay_alu instid0(VALU_DEP_1)
	v_add3_u32 v75, v29, v68, 0x7fff
                                        ; implicit-def: $vgpr29
; %bb.4580:                             ;   in Loop: Header=BB12_4525 Depth=3
	s_and_not1_saveexec_b32 s40, s40
; %bb.4581:                             ;   in Loop: Header=BB12_4525 Depth=3
	v_and_b32_e32 v68, 0xffff, v29
	v_or_b32_e32 v69, 0x10000, v29
	s_delay_alu instid0(VALU_DEP_2) | instskip(NEXT) | instid1(VALU_DEP_2)
	v_cmp_eq_u32_e32 vcc_lo, 0, v68
	v_cndmask_b32_e32 v75, v69, v29, vcc_lo
; %bb.4582:                             ;   in Loop: Header=BB12_4525 Depth=3
	s_or_b32 exec_lo, exec_lo, s40
	v_lshlrev_b32_e32 v29, 16, v71
	s_mov_b32 s40, exec_lo
                                        ; implicit-def: $vgpr76
	s_delay_alu instid0(VALU_DEP_1) | instskip(NEXT) | instid1(VALU_DEP_1)
	v_mul_f32_e32 v29, v30, v29
	v_and_b32_e32 v68, 0x7f800000, v29
	s_delay_alu instid0(VALU_DEP_1)
	v_cmpx_ne_u32_e32 0x7f800000, v68
	s_xor_b32 s40, exec_lo, s40
; %bb.4583:                             ;   in Loop: Header=BB12_4525 Depth=3
	v_bfe_u32 v68, v29, 16, 1
	s_delay_alu instid0(VALU_DEP_1)
	v_add3_u32 v76, v29, v68, 0x7fff
                                        ; implicit-def: $vgpr29
; %bb.4584:                             ;   in Loop: Header=BB12_4525 Depth=3
	s_and_not1_saveexec_b32 s40, s40
; %bb.4585:                             ;   in Loop: Header=BB12_4525 Depth=3
	v_and_b32_e32 v68, 0xffff, v29
	v_or_b32_e32 v69, 0x10000, v29
	s_delay_alu instid0(VALU_DEP_2) | instskip(NEXT) | instid1(VALU_DEP_2)
	v_cmp_eq_u32_e32 vcc_lo, 0, v68
	v_cndmask_b32_e32 v76, v69, v29, vcc_lo
; %bb.4586:                             ;   in Loop: Header=BB12_4525 Depth=3
	s_or_b32 exec_lo, exec_lo, s40
	v_and_b32_e32 v29, 0xffff0000, v71
	s_mov_b32 s40, exec_lo
                                        ; implicit-def: $vgpr42
	s_delay_alu instid0(VALU_DEP_1) | instskip(NEXT) | instid1(VALU_DEP_1)
	v_mul_f32_e32 v29, v30, v29
	v_and_b32_e32 v68, 0x7f800000, v29
	s_delay_alu instid0(VALU_DEP_1)
	v_cmpx_ne_u32_e32 0x7f800000, v68
	s_xor_b32 s40, exec_lo, s40
; %bb.4587:                             ;   in Loop: Header=BB12_4525 Depth=3
	v_bfe_u32 v68, v29, 16, 1
	s_delay_alu instid0(VALU_DEP_1)
	v_add3_u32 v42, v29, v68, 0x7fff
                                        ; implicit-def: $vgpr29
; %bb.4588:                             ;   in Loop: Header=BB12_4525 Depth=3
	s_and_not1_saveexec_b32 s40, s40
; %bb.4589:                             ;   in Loop: Header=BB12_4525 Depth=3
	v_and_b32_e32 v68, 0xffff, v29
	v_or_b32_e32 v69, 0x10000, v29
	s_delay_alu instid0(VALU_DEP_2) | instskip(NEXT) | instid1(VALU_DEP_2)
	v_cmp_eq_u32_e32 vcc_lo, 0, v68
	v_cndmask_b32_e32 v42, v69, v29, vcc_lo
; %bb.4590:                             ;   in Loop: Header=BB12_4525 Depth=3
	s_or_b32 exec_lo, exec_lo, s40
	v_lshlrev_b32_e32 v29, 16, v48
	s_mov_b32 s40, exec_lo
                                        ; implicit-def: $vgpr43
	s_delay_alu instid0(VALU_DEP_1) | instskip(NEXT) | instid1(VALU_DEP_1)
	v_mul_f32_e32 v29, v30, v29
	v_and_b32_e32 v68, 0x7f800000, v29
	s_delay_alu instid0(VALU_DEP_1)
	v_cmpx_ne_u32_e32 0x7f800000, v68
	s_xor_b32 s40, exec_lo, s40
; %bb.4591:                             ;   in Loop: Header=BB12_4525 Depth=3
	v_bfe_u32 v68, v29, 16, 1
	s_delay_alu instid0(VALU_DEP_1)
	v_add3_u32 v43, v29, v68, 0x7fff
                                        ; implicit-def: $vgpr29
; %bb.4592:                             ;   in Loop: Header=BB12_4525 Depth=3
	s_and_not1_saveexec_b32 s40, s40
; %bb.4593:                             ;   in Loop: Header=BB12_4525 Depth=3
	v_and_b32_e32 v68, 0xffff, v29
	v_or_b32_e32 v69, 0x10000, v29
	s_delay_alu instid0(VALU_DEP_2) | instskip(NEXT) | instid1(VALU_DEP_2)
	v_cmp_eq_u32_e32 vcc_lo, 0, v68
	v_cndmask_b32_e32 v43, v69, v29, vcc_lo
; %bb.4594:                             ;   in Loop: Header=BB12_4525 Depth=3
	s_or_b32 exec_lo, exec_lo, s40
	v_and_b32_e32 v29, 0xffff0000, v48
	s_mov_b32 s40, exec_lo
                                        ; implicit-def: $vgpr98
	s_delay_alu instid0(VALU_DEP_1) | instskip(NEXT) | instid1(VALU_DEP_1)
	v_mul_f32_e32 v29, v30, v29
	v_and_b32_e32 v48, 0x7f800000, v29
	s_delay_alu instid0(VALU_DEP_1)
	v_cmpx_ne_u32_e32 0x7f800000, v48
	s_xor_b32 s40, exec_lo, s40
; %bb.4595:                             ;   in Loop: Header=BB12_4525 Depth=3
	v_bfe_u32 v48, v29, 16, 1
	s_delay_alu instid0(VALU_DEP_1)
	v_add3_u32 v98, v29, v48, 0x7fff
                                        ; implicit-def: $vgpr29
; %bb.4596:                             ;   in Loop: Header=BB12_4525 Depth=3
	s_and_not1_saveexec_b32 s40, s40
; %bb.4597:                             ;   in Loop: Header=BB12_4525 Depth=3
	v_and_b32_e32 v48, 0xffff, v29
	v_or_b32_e32 v68, 0x10000, v29
	s_delay_alu instid0(VALU_DEP_2) | instskip(NEXT) | instid1(VALU_DEP_2)
	v_cmp_eq_u32_e32 vcc_lo, 0, v48
	v_cndmask_b32_e32 v98, v68, v29, vcc_lo
; %bb.4598:                             ;   in Loop: Header=BB12_4525 Depth=3
	s_or_b32 exec_lo, exec_lo, s40
	v_lshlrev_b32_e32 v29, 16, v49
	s_mov_b32 s40, exec_lo
                                        ; implicit-def: $vgpr99
	s_delay_alu instid0(VALU_DEP_1) | instskip(NEXT) | instid1(VALU_DEP_1)
	v_mul_f32_e32 v29, v30, v29
	v_and_b32_e32 v48, 0x7f800000, v29
	s_delay_alu instid0(VALU_DEP_1)
	v_cmpx_ne_u32_e32 0x7f800000, v48
	s_xor_b32 s40, exec_lo, s40
; %bb.4599:                             ;   in Loop: Header=BB12_4525 Depth=3
	v_bfe_u32 v48, v29, 16, 1
	s_delay_alu instid0(VALU_DEP_1)
	v_add3_u32 v99, v29, v48, 0x7fff
                                        ; implicit-def: $vgpr29
; %bb.4600:                             ;   in Loop: Header=BB12_4525 Depth=3
	s_and_not1_saveexec_b32 s40, s40
; %bb.4601:                             ;   in Loop: Header=BB12_4525 Depth=3
	v_and_b32_e32 v48, 0xffff, v29
	v_or_b32_e32 v68, 0x10000, v29
	s_delay_alu instid0(VALU_DEP_2) | instskip(NEXT) | instid1(VALU_DEP_2)
	v_cmp_eq_u32_e32 vcc_lo, 0, v48
	v_cndmask_b32_e32 v99, v68, v29, vcc_lo
; %bb.4602:                             ;   in Loop: Header=BB12_4525 Depth=3
	s_or_b32 exec_lo, exec_lo, s40
	v_and_b32_e32 v29, 0xffff0000, v49
	s_mov_b32 s40, exec_lo
                                        ; implicit-def: $vgpr96
	s_delay_alu instid0(VALU_DEP_1) | instskip(NEXT) | instid1(VALU_DEP_1)
	v_mul_f32_e32 v29, v30, v29
	v_and_b32_e32 v48, 0x7f800000, v29
	s_delay_alu instid0(VALU_DEP_1)
	v_cmpx_ne_u32_e32 0x7f800000, v48
	s_xor_b32 s40, exec_lo, s40
; %bb.4603:                             ;   in Loop: Header=BB12_4525 Depth=3
	v_bfe_u32 v48, v29, 16, 1
	s_delay_alu instid0(VALU_DEP_1)
	v_add3_u32 v96, v29, v48, 0x7fff
                                        ; implicit-def: $vgpr29
; %bb.4604:                             ;   in Loop: Header=BB12_4525 Depth=3
	s_and_not1_saveexec_b32 s40, s40
; %bb.4605:                             ;   in Loop: Header=BB12_4525 Depth=3
	v_and_b32_e32 v48, 0xffff, v29
	v_or_b32_e32 v49, 0x10000, v29
	s_delay_alu instid0(VALU_DEP_2) | instskip(NEXT) | instid1(VALU_DEP_2)
	v_cmp_eq_u32_e32 vcc_lo, 0, v48
	v_cndmask_b32_e32 v96, v49, v29, vcc_lo
; %bb.4606:                             ;   in Loop: Header=BB12_4525 Depth=3
	s_or_b32 exec_lo, exec_lo, s40
	v_lshlrev_b32_e32 v29, 16, v50
	s_mov_b32 s40, exec_lo
                                        ; implicit-def: $vgpr97
	s_delay_alu instid0(VALU_DEP_1) | instskip(NEXT) | instid1(VALU_DEP_1)
	v_mul_f32_e32 v29, v30, v29
	v_and_b32_e32 v48, 0x7f800000, v29
	s_delay_alu instid0(VALU_DEP_1)
	v_cmpx_ne_u32_e32 0x7f800000, v48
	s_xor_b32 s40, exec_lo, s40
; %bb.4607:                             ;   in Loop: Header=BB12_4525 Depth=3
	v_bfe_u32 v48, v29, 16, 1
	s_delay_alu instid0(VALU_DEP_1)
	v_add3_u32 v97, v29, v48, 0x7fff
                                        ; implicit-def: $vgpr29
; %bb.4608:                             ;   in Loop: Header=BB12_4525 Depth=3
	s_and_not1_saveexec_b32 s40, s40
; %bb.4609:                             ;   in Loop: Header=BB12_4525 Depth=3
	v_and_b32_e32 v48, 0xffff, v29
	v_or_b32_e32 v49, 0x10000, v29
	s_delay_alu instid0(VALU_DEP_2) | instskip(NEXT) | instid1(VALU_DEP_2)
	v_cmp_eq_u32_e32 vcc_lo, 0, v48
	v_cndmask_b32_e32 v97, v49, v29, vcc_lo
; %bb.4610:                             ;   in Loop: Header=BB12_4525 Depth=3
	s_or_b32 exec_lo, exec_lo, s40
	v_and_b32_e32 v29, 0xffff0000, v50
	s_mov_b32 s40, exec_lo
                                        ; implicit-def: $vgpr70
	s_delay_alu instid0(VALU_DEP_1) | instskip(NEXT) | instid1(VALU_DEP_1)
	v_mul_f32_e32 v29, v30, v29
	v_and_b32_e32 v48, 0x7f800000, v29
	s_delay_alu instid0(VALU_DEP_1)
	v_cmpx_ne_u32_e32 0x7f800000, v48
	s_xor_b32 s40, exec_lo, s40
; %bb.4611:                             ;   in Loop: Header=BB12_4525 Depth=3
	v_bfe_u32 v48, v29, 16, 1
	s_delay_alu instid0(VALU_DEP_1)
	v_add3_u32 v70, v29, v48, 0x7fff
                                        ; implicit-def: $vgpr29
; %bb.4612:                             ;   in Loop: Header=BB12_4525 Depth=3
	s_and_not1_saveexec_b32 s40, s40
; %bb.4613:                             ;   in Loop: Header=BB12_4525 Depth=3
	v_and_b32_e32 v48, 0xffff, v29
	v_or_b32_e32 v49, 0x10000, v29
	s_delay_alu instid0(VALU_DEP_2) | instskip(NEXT) | instid1(VALU_DEP_2)
	v_cmp_eq_u32_e32 vcc_lo, 0, v48
	v_cndmask_b32_e32 v70, v49, v29, vcc_lo
; %bb.4614:                             ;   in Loop: Header=BB12_4525 Depth=3
	s_or_b32 exec_lo, exec_lo, s40
	v_lshlrev_b32_e32 v29, 16, v51
	s_mov_b32 s40, exec_lo
                                        ; implicit-def: $vgpr71
	s_delay_alu instid0(VALU_DEP_1) | instskip(NEXT) | instid1(VALU_DEP_1)
	v_mul_f32_e32 v29, v30, v29
	v_and_b32_e32 v48, 0x7f800000, v29
	s_delay_alu instid0(VALU_DEP_1)
	v_cmpx_ne_u32_e32 0x7f800000, v48
	s_xor_b32 s40, exec_lo, s40
; %bb.4615:                             ;   in Loop: Header=BB12_4525 Depth=3
	v_bfe_u32 v48, v29, 16, 1
	s_delay_alu instid0(VALU_DEP_1)
	v_add3_u32 v71, v29, v48, 0x7fff
                                        ; implicit-def: $vgpr29
; %bb.4616:                             ;   in Loop: Header=BB12_4525 Depth=3
	s_and_not1_saveexec_b32 s40, s40
; %bb.4617:                             ;   in Loop: Header=BB12_4525 Depth=3
	v_and_b32_e32 v48, 0xffff, v29
	v_or_b32_e32 v49, 0x10000, v29
	s_delay_alu instid0(VALU_DEP_2) | instskip(NEXT) | instid1(VALU_DEP_2)
	v_cmp_eq_u32_e32 vcc_lo, 0, v48
	v_cndmask_b32_e32 v71, v49, v29, vcc_lo
; %bb.4618:                             ;   in Loop: Header=BB12_4525 Depth=3
	s_or_b32 exec_lo, exec_lo, s40
	v_and_b32_e32 v29, 0xffff0000, v51
	s_mov_b32 s40, exec_lo
                                        ; implicit-def: $vgpr68
	s_delay_alu instid0(VALU_DEP_1) | instskip(NEXT) | instid1(VALU_DEP_1)
	v_mul_f32_e32 v29, v30, v29
	v_and_b32_e32 v48, 0x7f800000, v29
	s_delay_alu instid0(VALU_DEP_1)
	v_cmpx_ne_u32_e32 0x7f800000, v48
	s_xor_b32 s40, exec_lo, s40
; %bb.4619:                             ;   in Loop: Header=BB12_4525 Depth=3
	v_bfe_u32 v48, v29, 16, 1
	s_delay_alu instid0(VALU_DEP_1)
	v_add3_u32 v68, v29, v48, 0x7fff
                                        ; implicit-def: $vgpr29
; %bb.4620:                             ;   in Loop: Header=BB12_4525 Depth=3
	s_and_not1_saveexec_b32 s40, s40
; %bb.4621:                             ;   in Loop: Header=BB12_4525 Depth=3
	v_and_b32_e32 v48, 0xffff, v29
	v_or_b32_e32 v49, 0x10000, v29
	s_delay_alu instid0(VALU_DEP_2) | instskip(NEXT) | instid1(VALU_DEP_2)
	v_cmp_eq_u32_e32 vcc_lo, 0, v48
	v_cndmask_b32_e32 v68, v49, v29, vcc_lo
; %bb.4622:                             ;   in Loop: Header=BB12_4525 Depth=3
	s_or_b32 exec_lo, exec_lo, s40
	v_lshlrev_b32_e32 v29, 16, v24
	s_mov_b32 s40, exec_lo
                                        ; implicit-def: $vgpr69
	s_delay_alu instid0(VALU_DEP_1) | instskip(NEXT) | instid1(VALU_DEP_1)
	v_mul_f32_e32 v29, v30, v29
	v_and_b32_e32 v48, 0x7f800000, v29
	s_delay_alu instid0(VALU_DEP_1)
	v_cmpx_ne_u32_e32 0x7f800000, v48
	s_xor_b32 s40, exec_lo, s40
; %bb.4623:                             ;   in Loop: Header=BB12_4525 Depth=3
	v_bfe_u32 v48, v29, 16, 1
	s_delay_alu instid0(VALU_DEP_1)
	v_add3_u32 v69, v29, v48, 0x7fff
                                        ; implicit-def: $vgpr29
; %bb.4624:                             ;   in Loop: Header=BB12_4525 Depth=3
	s_and_not1_saveexec_b32 s40, s40
; %bb.4625:                             ;   in Loop: Header=BB12_4525 Depth=3
	v_and_b32_e32 v48, 0xffff, v29
	v_or_b32_e32 v49, 0x10000, v29
	s_delay_alu instid0(VALU_DEP_2) | instskip(NEXT) | instid1(VALU_DEP_2)
	v_cmp_eq_u32_e32 vcc_lo, 0, v48
	v_cndmask_b32_e32 v69, v49, v29, vcc_lo
; %bb.4626:                             ;   in Loop: Header=BB12_4525 Depth=3
	s_or_b32 exec_lo, exec_lo, s40
	v_and_b32_e32 v24, 0xffff0000, v24
	s_mov_b32 s40, exec_lo
                                        ; implicit-def: $vgpr50
	s_delay_alu instid0(VALU_DEP_1) | instskip(NEXT) | instid1(VALU_DEP_1)
	v_mul_f32_e32 v24, v30, v24
	v_and_b32_e32 v29, 0x7f800000, v24
	s_delay_alu instid0(VALU_DEP_1)
	v_cmpx_ne_u32_e32 0x7f800000, v29
	s_xor_b32 s40, exec_lo, s40
; %bb.4627:                             ;   in Loop: Header=BB12_4525 Depth=3
	v_bfe_u32 v29, v24, 16, 1
	s_delay_alu instid0(VALU_DEP_1)
	v_add3_u32 v50, v24, v29, 0x7fff
                                        ; implicit-def: $vgpr24
; %bb.4628:                             ;   in Loop: Header=BB12_4525 Depth=3
	s_and_not1_saveexec_b32 s40, s40
; %bb.4629:                             ;   in Loop: Header=BB12_4525 Depth=3
	v_and_b32_e32 v29, 0xffff, v24
	v_or_b32_e32 v48, 0x10000, v24
	s_delay_alu instid0(VALU_DEP_2) | instskip(NEXT) | instid1(VALU_DEP_2)
	v_cmp_eq_u32_e32 vcc_lo, 0, v29
	v_cndmask_b32_e32 v50, v48, v24, vcc_lo
; %bb.4630:                             ;   in Loop: Header=BB12_4525 Depth=3
	s_or_b32 exec_lo, exec_lo, s40
	v_lshlrev_b32_e32 v24, 16, v25
	s_mov_b32 s40, exec_lo
                                        ; implicit-def: $vgpr51
	s_delay_alu instid0(VALU_DEP_1) | instskip(NEXT) | instid1(VALU_DEP_1)
	v_mul_f32_e32 v24, v30, v24
	v_and_b32_e32 v29, 0x7f800000, v24
	s_delay_alu instid0(VALU_DEP_1)
	v_cmpx_ne_u32_e32 0x7f800000, v29
	s_xor_b32 s40, exec_lo, s40
; %bb.4631:                             ;   in Loop: Header=BB12_4525 Depth=3
	v_bfe_u32 v29, v24, 16, 1
	s_delay_alu instid0(VALU_DEP_1)
	v_add3_u32 v51, v24, v29, 0x7fff
                                        ; implicit-def: $vgpr24
; %bb.4632:                             ;   in Loop: Header=BB12_4525 Depth=3
	s_and_not1_saveexec_b32 s40, s40
; %bb.4633:                             ;   in Loop: Header=BB12_4525 Depth=3
	v_and_b32_e32 v29, 0xffff, v24
	v_or_b32_e32 v48, 0x10000, v24
	s_delay_alu instid0(VALU_DEP_2) | instskip(NEXT) | instid1(VALU_DEP_2)
	v_cmp_eq_u32_e32 vcc_lo, 0, v29
	v_cndmask_b32_e32 v51, v48, v24, vcc_lo
; %bb.4634:                             ;   in Loop: Header=BB12_4525 Depth=3
	s_or_b32 exec_lo, exec_lo, s40
	v_and_b32_e32 v24, 0xffff0000, v25
	s_mov_b32 s40, exec_lo
                                        ; implicit-def: $vgpr48
	s_delay_alu instid0(VALU_DEP_1) | instskip(NEXT) | instid1(VALU_DEP_1)
	v_mul_f32_e32 v24, v30, v24
	v_and_b32_e32 v25, 0x7f800000, v24
	s_delay_alu instid0(VALU_DEP_1)
	v_cmpx_ne_u32_e32 0x7f800000, v25
	s_xor_b32 s40, exec_lo, s40
; %bb.4635:                             ;   in Loop: Header=BB12_4525 Depth=3
	v_bfe_u32 v25, v24, 16, 1
	s_delay_alu instid0(VALU_DEP_1)
	v_add3_u32 v48, v24, v25, 0x7fff
                                        ; implicit-def: $vgpr24
; %bb.4636:                             ;   in Loop: Header=BB12_4525 Depth=3
	s_and_not1_saveexec_b32 s40, s40
; %bb.4637:                             ;   in Loop: Header=BB12_4525 Depth=3
	v_and_b32_e32 v25, 0xffff, v24
	v_or_b32_e32 v29, 0x10000, v24
	s_delay_alu instid0(VALU_DEP_2) | instskip(NEXT) | instid1(VALU_DEP_2)
	v_cmp_eq_u32_e32 vcc_lo, 0, v25
	v_cndmask_b32_e32 v48, v29, v24, vcc_lo
; %bb.4638:                             ;   in Loop: Header=BB12_4525 Depth=3
	s_or_b32 exec_lo, exec_lo, s40
	v_lshlrev_b32_e32 v24, 16, v26
	s_mov_b32 s40, exec_lo
                                        ; implicit-def: $vgpr49
	s_delay_alu instid0(VALU_DEP_1) | instskip(NEXT) | instid1(VALU_DEP_1)
	v_mul_f32_e32 v24, v30, v24
	v_and_b32_e32 v25, 0x7f800000, v24
	s_delay_alu instid0(VALU_DEP_1)
	v_cmpx_ne_u32_e32 0x7f800000, v25
	s_xor_b32 s40, exec_lo, s40
; %bb.4639:                             ;   in Loop: Header=BB12_4525 Depth=3
	v_bfe_u32 v25, v24, 16, 1
	s_delay_alu instid0(VALU_DEP_1)
	v_add3_u32 v49, v24, v25, 0x7fff
                                        ; implicit-def: $vgpr24
; %bb.4640:                             ;   in Loop: Header=BB12_4525 Depth=3
	s_and_not1_saveexec_b32 s40, s40
; %bb.4641:                             ;   in Loop: Header=BB12_4525 Depth=3
	v_and_b32_e32 v25, 0xffff, v24
	v_or_b32_e32 v29, 0x10000, v24
	s_delay_alu instid0(VALU_DEP_2) | instskip(NEXT) | instid1(VALU_DEP_2)
	v_cmp_eq_u32_e32 vcc_lo, 0, v25
	v_cndmask_b32_e32 v49, v29, v24, vcc_lo
; %bb.4642:                             ;   in Loop: Header=BB12_4525 Depth=3
	s_or_b32 exec_lo, exec_lo, s40
	v_and_b32_e32 v24, 0xffff0000, v26
	s_mov_b32 s40, exec_lo
                                        ; implicit-def: $vgpr26
	s_delay_alu instid0(VALU_DEP_1) | instskip(NEXT) | instid1(VALU_DEP_1)
	v_mul_f32_e32 v24, v30, v24
	v_and_b32_e32 v25, 0x7f800000, v24
	s_delay_alu instid0(VALU_DEP_1)
	v_cmpx_ne_u32_e32 0x7f800000, v25
	s_xor_b32 s40, exec_lo, s40
; %bb.4643:                             ;   in Loop: Header=BB12_4525 Depth=3
	v_bfe_u32 v25, v24, 16, 1
	s_delay_alu instid0(VALU_DEP_1)
	v_add3_u32 v26, v24, v25, 0x7fff
                                        ; implicit-def: $vgpr24
; %bb.4644:                             ;   in Loop: Header=BB12_4525 Depth=3
	s_and_not1_saveexec_b32 s40, s40
; %bb.4645:                             ;   in Loop: Header=BB12_4525 Depth=3
	v_and_b32_e32 v25, 0xffff, v24
	v_or_b32_e32 v26, 0x10000, v24
	s_delay_alu instid0(VALU_DEP_2) | instskip(NEXT) | instid1(VALU_DEP_2)
	v_cmp_eq_u32_e32 vcc_lo, 0, v25
	v_cndmask_b32_e32 v26, v26, v24, vcc_lo
; %bb.4646:                             ;   in Loop: Header=BB12_4525 Depth=3
	s_or_b32 exec_lo, exec_lo, s40
	v_lshlrev_b32_e32 v24, 16, v27
	s_mov_b32 s40, exec_lo
                                        ; implicit-def: $vgpr29
	s_delay_alu instid0(VALU_DEP_1) | instskip(NEXT) | instid1(VALU_DEP_1)
	v_mul_f32_e32 v24, v30, v24
	v_and_b32_e32 v25, 0x7f800000, v24
	s_delay_alu instid0(VALU_DEP_1)
	v_cmpx_ne_u32_e32 0x7f800000, v25
	s_xor_b32 s40, exec_lo, s40
; %bb.4647:                             ;   in Loop: Header=BB12_4525 Depth=3
	v_bfe_u32 v25, v24, 16, 1
	s_delay_alu instid0(VALU_DEP_1)
	v_add3_u32 v29, v24, v25, 0x7fff
                                        ; implicit-def: $vgpr24
; %bb.4648:                             ;   in Loop: Header=BB12_4525 Depth=3
	s_and_not1_saveexec_b32 s40, s40
; %bb.4649:                             ;   in Loop: Header=BB12_4525 Depth=3
	v_and_b32_e32 v25, 0xffff, v24
	v_or_b32_e32 v29, 0x10000, v24
	s_delay_alu instid0(VALU_DEP_2) | instskip(NEXT) | instid1(VALU_DEP_2)
	v_cmp_eq_u32_e32 vcc_lo, 0, v25
	v_cndmask_b32_e32 v29, v29, v24, vcc_lo
; %bb.4650:                             ;   in Loop: Header=BB12_4525 Depth=3
	s_or_b32 exec_lo, exec_lo, s40
	v_and_b32_e32 v24, 0xffff0000, v27
	s_delay_alu instid0(VALU_DEP_1) | instskip(NEXT) | instid1(VALU_DEP_1)
	v_mul_f32_e32 v24, v30, v24
	v_and_b32_e32 v25, 0x7f800000, v24
	s_delay_alu instid0(VALU_DEP_1) | instskip(SKIP_1) | instid1(SALU_CYCLE_1)
	v_cmp_ne_u32_e32 vcc_lo, 0x7f800000, v25
                                        ; implicit-def: $vgpr25
	s_and_saveexec_b32 s40, vcc_lo
	s_xor_b32 s40, exec_lo, s40
; %bb.4651:                             ;   in Loop: Header=BB12_4525 Depth=3
	v_bfe_u32 v25, v24, 16, 1
	s_delay_alu instid0(VALU_DEP_1)
	v_add3_u32 v25, v24, v25, 0x7fff
                                        ; implicit-def: $vgpr24
; %bb.4652:                             ;   in Loop: Header=BB12_4525 Depth=3
	s_and_not1_saveexec_b32 s40, s40
; %bb.4653:                             ;   in Loop: Header=BB12_4525 Depth=3
	v_and_b32_e32 v25, 0xffff, v24
	v_or_b32_e32 v27, 0x10000, v24
	s_delay_alu instid0(VALU_DEP_2) | instskip(NEXT) | instid1(VALU_DEP_2)
	v_cmp_eq_u32_e32 vcc_lo, 0, v25
	v_cndmask_b32_e32 v25, v27, v24, vcc_lo
; %bb.4654:                             ;   in Loop: Header=BB12_4525 Depth=3
	s_or_b32 exec_lo, exec_lo, s40
	v_and_b32_e32 v1, 0xffff0000, v1
	v_lshlrev_b32_e32 v24, 16, v20
	s_delay_alu instid0(VALU_DEP_1) | instskip(NEXT) | instid1(VALU_DEP_1)
	v_add_f32_e32 v24, v24, v1
	v_and_b32_e32 v1, 0x7f800000, v24
	s_delay_alu instid0(VALU_DEP_1) | instskip(SKIP_1) | instid1(SALU_CYCLE_1)
	v_cmp_ne_u32_e32 vcc_lo, 0x7f800000, v1
                                        ; implicit-def: $vgpr1
	s_and_saveexec_b32 s40, vcc_lo
	s_xor_b32 s40, exec_lo, s40
; %bb.4655:                             ;   in Loop: Header=BB12_4525 Depth=3
	v_bfe_u32 v1, v24, 16, 1
	s_delay_alu instid0(VALU_DEP_1)
	v_add3_u32 v1, v24, v1, 0x7fff
                                        ; implicit-def: $vgpr24
; %bb.4656:                             ;   in Loop: Header=BB12_4525 Depth=3
	s_and_not1_saveexec_b32 s40, s40
; %bb.4657:                             ;   in Loop: Header=BB12_4525 Depth=3
	v_and_b32_e32 v1, 0xffff, v24
	v_or_b32_e32 v27, 0x10000, v24
	s_delay_alu instid0(VALU_DEP_2) | instskip(NEXT) | instid1(VALU_DEP_2)
	v_cmp_eq_u32_e32 vcc_lo, 0, v1
	v_cndmask_b32_e32 v1, v27, v24, vcc_lo
; %bb.4658:                             ;   in Loop: Header=BB12_4525 Depth=3
	s_or_b32 exec_lo, exec_lo, s40
	v_and_b32_e32 v24, 0xffff0000, v20
	v_and_b32_e32 v0, 0xffff0000, v0
	s_delay_alu instid0(VALU_DEP_1) | instskip(NEXT) | instid1(VALU_DEP_1)
	v_add_f32_e32 v0, v24, v0
	v_and_b32_e32 v24, 0x7f800000, v0
	s_delay_alu instid0(VALU_DEP_1) | instskip(SKIP_1) | instid1(SALU_CYCLE_1)
	v_cmp_ne_u32_e32 vcc_lo, 0x7f800000, v24
                                        ; implicit-def: $vgpr24
	s_and_saveexec_b32 s40, vcc_lo
	s_xor_b32 s40, exec_lo, s40
; %bb.4659:                             ;   in Loop: Header=BB12_4525 Depth=3
	v_bfe_u32 v24, v0, 16, 1
	s_delay_alu instid0(VALU_DEP_1)
	v_add3_u32 v24, v0, v24, 0x7fff
                                        ; implicit-def: $vgpr0
; %bb.4660:                             ;   in Loop: Header=BB12_4525 Depth=3
	s_and_not1_saveexec_b32 s40, s40
; %bb.4661:                             ;   in Loop: Header=BB12_4525 Depth=3
	v_and_b32_e32 v24, 0xffff, v0
	v_or_b32_e32 v27, 0x10000, v0
	s_delay_alu instid0(VALU_DEP_2) | instskip(NEXT) | instid1(VALU_DEP_2)
	v_cmp_eq_u32_e32 vcc_lo, 0, v24
	v_cndmask_b32_e32 v24, v27, v0, vcc_lo
; %bb.4662:                             ;   in Loop: Header=BB12_4525 Depth=3
	s_or_b32 exec_lo, exec_lo, s40
	v_and_b32_e32 v0, 0xffff0000, v107
	v_lshlrev_b32_e32 v27, 16, v21
	s_delay_alu instid0(VALU_DEP_1) | instskip(NEXT) | instid1(VALU_DEP_1)
	v_add_f32_e32 v27, v27, v0
	v_and_b32_e32 v0, 0x7f800000, v27
	s_delay_alu instid0(VALU_DEP_1) | instskip(SKIP_1) | instid1(SALU_CYCLE_1)
	v_cmp_ne_u32_e32 vcc_lo, 0x7f800000, v0
                                        ; implicit-def: $vgpr0
	s_and_saveexec_b32 s40, vcc_lo
	s_xor_b32 s40, exec_lo, s40
; %bb.4663:                             ;   in Loop: Header=BB12_4525 Depth=3
	v_bfe_u32 v0, v27, 16, 1
	s_delay_alu instid0(VALU_DEP_1)
	v_add3_u32 v0, v27, v0, 0x7fff
                                        ; implicit-def: $vgpr27
; %bb.4664:                             ;   in Loop: Header=BB12_4525 Depth=3
	s_and_not1_saveexec_b32 s40, s40
; %bb.4665:                             ;   in Loop: Header=BB12_4525 Depth=3
	v_and_b32_e32 v0, 0xffff, v27
	v_or_b32_e32 v90, 0x10000, v27
	s_delay_alu instid0(VALU_DEP_2) | instskip(NEXT) | instid1(VALU_DEP_2)
	v_cmp_eq_u32_e32 vcc_lo, 0, v0
	v_cndmask_b32_e32 v0, v90, v27, vcc_lo
; %bb.4666:                             ;   in Loop: Header=BB12_4525 Depth=3
	s_or_b32 exec_lo, exec_lo, s40
	v_and_b32_e32 v27, 0xffff0000, v21
	v_and_b32_e32 v44, 0xffff0000, v44
	s_delay_alu instid0(VALU_DEP_1) | instskip(NEXT) | instid1(VALU_DEP_1)
	v_add_f32_e32 v44, v27, v44
	v_and_b32_e32 v27, 0x7f800000, v44
	s_delay_alu instid0(VALU_DEP_1) | instskip(SKIP_1) | instid1(SALU_CYCLE_1)
	v_cmp_ne_u32_e32 vcc_lo, 0x7f800000, v27
                                        ; implicit-def: $vgpr27
	s_and_saveexec_b32 s40, vcc_lo
	s_xor_b32 s40, exec_lo, s40
; %bb.4667:                             ;   in Loop: Header=BB12_4525 Depth=3
	v_bfe_u32 v27, v44, 16, 1
	s_delay_alu instid0(VALU_DEP_1)
	v_add3_u32 v27, v44, v27, 0x7fff
                                        ; implicit-def: $vgpr44
; %bb.4668:                             ;   in Loop: Header=BB12_4525 Depth=3
	s_and_not1_saveexec_b32 s40, s40
; %bb.4669:                             ;   in Loop: Header=BB12_4525 Depth=3
	v_and_b32_e32 v27, 0xffff, v44
	v_or_b32_e32 v90, 0x10000, v44
	s_delay_alu instid0(VALU_DEP_2) | instskip(NEXT) | instid1(VALU_DEP_2)
	v_cmp_eq_u32_e32 vcc_lo, 0, v27
	v_cndmask_b32_e32 v27, v90, v44, vcc_lo
; %bb.4670:                             ;   in Loop: Header=BB12_4525 Depth=3
	s_or_b32 exec_lo, exec_lo, s40
	v_and_b32_e32 v44, 0xffff0000, v45
	v_lshlrev_b32_e32 v45, 16, v22
	s_delay_alu instid0(VALU_DEP_1) | instskip(NEXT) | instid1(VALU_DEP_1)
	v_add_f32_e32 v45, v45, v44
	v_and_b32_e32 v44, 0x7f800000, v45
	s_delay_alu instid0(VALU_DEP_1) | instskip(SKIP_1) | instid1(SALU_CYCLE_1)
	v_cmp_ne_u32_e32 vcc_lo, 0x7f800000, v44
                                        ; implicit-def: $vgpr44
	s_and_saveexec_b32 s40, vcc_lo
	s_xor_b32 s40, exec_lo, s40
; %bb.4671:                             ;   in Loop: Header=BB12_4525 Depth=3
	v_bfe_u32 v44, v45, 16, 1
	s_delay_alu instid0(VALU_DEP_1)
	v_add3_u32 v44, v45, v44, 0x7fff
                                        ; implicit-def: $vgpr45
; %bb.4672:                             ;   in Loop: Header=BB12_4525 Depth=3
	s_and_not1_saveexec_b32 s40, s40
; %bb.4673:                             ;   in Loop: Header=BB12_4525 Depth=3
	v_and_b32_e32 v44, 0xffff, v45
	v_or_b32_e32 v90, 0x10000, v45
	s_delay_alu instid0(VALU_DEP_2) | instskip(NEXT) | instid1(VALU_DEP_2)
	v_cmp_eq_u32_e32 vcc_lo, 0, v44
	v_cndmask_b32_e32 v44, v90, v45, vcc_lo
; %bb.4674:                             ;   in Loop: Header=BB12_4525 Depth=3
	s_or_b32 exec_lo, exec_lo, s40
	v_and_b32_e32 v45, 0xffff0000, v22
	v_and_b32_e32 v6, 0xffff0000, v6
	s_delay_alu instid0(VALU_DEP_1) | instskip(NEXT) | instid1(VALU_DEP_1)
	v_add_f32_e32 v45, v45, v6
	v_and_b32_e32 v6, 0x7f800000, v45
	s_delay_alu instid0(VALU_DEP_1) | instskip(SKIP_1) | instid1(SALU_CYCLE_1)
	v_cmp_ne_u32_e32 vcc_lo, 0x7f800000, v6
                                        ; implicit-def: $vgpr6
	s_and_saveexec_b32 s40, vcc_lo
	s_xor_b32 s40, exec_lo, s40
; %bb.4675:                             ;   in Loop: Header=BB12_4525 Depth=3
	v_bfe_u32 v6, v45, 16, 1
	s_delay_alu instid0(VALU_DEP_1)
	v_add3_u32 v6, v45, v6, 0x7fff
                                        ; implicit-def: $vgpr45
; %bb.4676:                             ;   in Loop: Header=BB12_4525 Depth=3
	s_and_not1_saveexec_b32 s40, s40
; %bb.4677:                             ;   in Loop: Header=BB12_4525 Depth=3
	v_and_b32_e32 v6, 0xffff, v45
	v_or_b32_e32 v90, 0x10000, v45
	s_delay_alu instid0(VALU_DEP_2) | instskip(NEXT) | instid1(VALU_DEP_2)
	v_cmp_eq_u32_e32 vcc_lo, 0, v6
	v_cndmask_b32_e32 v6, v90, v45, vcc_lo
; %bb.4678:                             ;   in Loop: Header=BB12_4525 Depth=3
	s_or_b32 exec_lo, exec_lo, s40
	v_and_b32_e32 v7, 0xffff0000, v7
	v_lshlrev_b32_e32 v45, 16, v23
	s_delay_alu instid0(VALU_DEP_1) | instskip(NEXT) | instid1(VALU_DEP_1)
	v_add_f32_e32 v45, v45, v7
	v_and_b32_e32 v7, 0x7f800000, v45
	s_delay_alu instid0(VALU_DEP_1) | instskip(SKIP_1) | instid1(SALU_CYCLE_1)
	v_cmp_ne_u32_e32 vcc_lo, 0x7f800000, v7
                                        ; implicit-def: $vgpr7
	s_and_saveexec_b32 s40, vcc_lo
	s_xor_b32 s40, exec_lo, s40
; %bb.4679:                             ;   in Loop: Header=BB12_4525 Depth=3
	v_bfe_u32 v7, v45, 16, 1
	s_delay_alu instid0(VALU_DEP_1)
	v_add3_u32 v7, v45, v7, 0x7fff
                                        ; implicit-def: $vgpr45
; %bb.4680:                             ;   in Loop: Header=BB12_4525 Depth=3
	s_and_not1_saveexec_b32 s40, s40
; %bb.4681:                             ;   in Loop: Header=BB12_4525 Depth=3
	v_and_b32_e32 v7, 0xffff, v45
	v_or_b32_e32 v90, 0x10000, v45
	s_delay_alu instid0(VALU_DEP_2) | instskip(NEXT) | instid1(VALU_DEP_2)
	v_cmp_eq_u32_e32 vcc_lo, 0, v7
	v_cndmask_b32_e32 v7, v90, v45, vcc_lo
; %bb.4682:                             ;   in Loop: Header=BB12_4525 Depth=3
	s_or_b32 exec_lo, exec_lo, s40
	v_and_b32_e32 v45, 0xffff0000, v23
	v_and_b32_e32 v46, 0xffff0000, v46
	s_delay_alu instid0(VALU_DEP_1) | instskip(NEXT) | instid1(VALU_DEP_1)
	v_add_f32_e32 v46, v45, v46
	v_and_b32_e32 v45, 0x7f800000, v46
	s_delay_alu instid0(VALU_DEP_1) | instskip(SKIP_1) | instid1(SALU_CYCLE_1)
	v_cmp_ne_u32_e32 vcc_lo, 0x7f800000, v45
                                        ; implicit-def: $vgpr45
	s_and_saveexec_b32 s40, vcc_lo
	s_xor_b32 s40, exec_lo, s40
; %bb.4683:                             ;   in Loop: Header=BB12_4525 Depth=3
	v_bfe_u32 v45, v46, 16, 1
	s_delay_alu instid0(VALU_DEP_1)
	v_add3_u32 v45, v46, v45, 0x7fff
                                        ; implicit-def: $vgpr46
; %bb.4684:                             ;   in Loop: Header=BB12_4525 Depth=3
	s_and_not1_saveexec_b32 s40, s40
; %bb.4685:                             ;   in Loop: Header=BB12_4525 Depth=3
	v_and_b32_e32 v45, 0xffff, v46
	v_or_b32_e32 v90, 0x10000, v46
	s_delay_alu instid0(VALU_DEP_2) | instskip(NEXT) | instid1(VALU_DEP_2)
	v_cmp_eq_u32_e32 vcc_lo, 0, v45
	v_cndmask_b32_e32 v45, v90, v46, vcc_lo
; %bb.4686:                             ;   in Loop: Header=BB12_4525 Depth=3
	s_or_b32 exec_lo, exec_lo, s40
	v_and_b32_e32 v46, 0xffff0000, v47
	v_lshlrev_b32_e32 v47, 16, v16
	s_delay_alu instid0(VALU_DEP_1) | instskip(NEXT) | instid1(VALU_DEP_1)
	v_add_f32_e32 v47, v47, v46
	v_and_b32_e32 v46, 0x7f800000, v47
	s_delay_alu instid0(VALU_DEP_1) | instskip(SKIP_1) | instid1(SALU_CYCLE_1)
	v_cmp_ne_u32_e32 vcc_lo, 0x7f800000, v46
                                        ; implicit-def: $vgpr46
	s_and_saveexec_b32 s40, vcc_lo
	s_xor_b32 s40, exec_lo, s40
; %bb.4687:                             ;   in Loop: Header=BB12_4525 Depth=3
	v_bfe_u32 v46, v47, 16, 1
	s_delay_alu instid0(VALU_DEP_1)
	v_add3_u32 v46, v47, v46, 0x7fff
                                        ; implicit-def: $vgpr47
; %bb.4688:                             ;   in Loop: Header=BB12_4525 Depth=3
	s_and_not1_saveexec_b32 s40, s40
; %bb.4689:                             ;   in Loop: Header=BB12_4525 Depth=3
	v_and_b32_e32 v46, 0xffff, v47
	v_or_b32_e32 v90, 0x10000, v47
	s_delay_alu instid0(VALU_DEP_2) | instskip(NEXT) | instid1(VALU_DEP_2)
	v_cmp_eq_u32_e32 vcc_lo, 0, v46
	v_cndmask_b32_e32 v46, v90, v47, vcc_lo
; %bb.4690:                             ;   in Loop: Header=BB12_4525 Depth=3
	s_or_b32 exec_lo, exec_lo, s40
	v_and_b32_e32 v47, 0xffff0000, v16
	v_and_b32_e32 v79, 0xffff0000, v79
	s_delay_alu instid0(VALU_DEP_1) | instskip(NEXT) | instid1(VALU_DEP_1)
	v_add_f32_e32 v79, v47, v79
	v_and_b32_e32 v47, 0x7f800000, v79
	s_delay_alu instid0(VALU_DEP_1) | instskip(SKIP_1) | instid1(SALU_CYCLE_1)
	v_cmp_ne_u32_e32 vcc_lo, 0x7f800000, v47
                                        ; implicit-def: $vgpr47
	s_and_saveexec_b32 s40, vcc_lo
	s_xor_b32 s40, exec_lo, s40
; %bb.4691:                             ;   in Loop: Header=BB12_4525 Depth=3
	v_bfe_u32 v47, v79, 16, 1
	s_delay_alu instid0(VALU_DEP_1)
	v_add3_u32 v47, v79, v47, 0x7fff
                                        ; implicit-def: $vgpr79
; %bb.4692:                             ;   in Loop: Header=BB12_4525 Depth=3
	s_and_not1_saveexec_b32 s40, s40
; %bb.4693:                             ;   in Loop: Header=BB12_4525 Depth=3
	v_and_b32_e32 v47, 0xffff, v79
	v_or_b32_e32 v90, 0x10000, v79
	s_delay_alu instid0(VALU_DEP_2) | instskip(NEXT) | instid1(VALU_DEP_2)
	v_cmp_eq_u32_e32 vcc_lo, 0, v47
	v_cndmask_b32_e32 v47, v90, v79, vcc_lo
; %bb.4694:                             ;   in Loop: Header=BB12_4525 Depth=3
	s_or_b32 exec_lo, exec_lo, s40
	v_and_b32_e32 v79, 0xffff0000, v106
	v_lshlrev_b32_e32 v90, 16, v17
	s_delay_alu instid0(VALU_DEP_1) | instskip(NEXT) | instid1(VALU_DEP_1)
	v_add_f32_e32 v90, v90, v79
	v_and_b32_e32 v79, 0x7f800000, v90
	s_delay_alu instid0(VALU_DEP_1) | instskip(SKIP_1) | instid1(SALU_CYCLE_1)
	v_cmp_ne_u32_e32 vcc_lo, 0x7f800000, v79
                                        ; implicit-def: $vgpr79
	s_and_saveexec_b32 s40, vcc_lo
	s_xor_b32 s40, exec_lo, s40
; %bb.4695:                             ;   in Loop: Header=BB12_4525 Depth=3
	v_bfe_u32 v79, v90, 16, 1
	s_delay_alu instid0(VALU_DEP_1)
	v_add3_u32 v79, v90, v79, 0x7fff
                                        ; implicit-def: $vgpr90
; %bb.4696:                             ;   in Loop: Header=BB12_4525 Depth=3
	s_and_not1_saveexec_b32 s40, s40
; %bb.4697:                             ;   in Loop: Header=BB12_4525 Depth=3
	v_and_b32_e32 v79, 0xffff, v90
	v_or_b32_e32 v94, 0x10000, v90
	s_delay_alu instid0(VALU_DEP_2) | instskip(NEXT) | instid1(VALU_DEP_2)
	v_cmp_eq_u32_e32 vcc_lo, 0, v79
	v_cndmask_b32_e32 v79, v94, v90, vcc_lo
; %bb.4698:                             ;   in Loop: Header=BB12_4525 Depth=3
	s_or_b32 exec_lo, exec_lo, s40
	v_and_b32_e32 v90, 0xffff0000, v17
	v_and_b32_e32 v77, 0xffff0000, v77
	s_delay_alu instid0(VALU_DEP_1) | instskip(NEXT) | instid1(VALU_DEP_1)
	v_add_f32_e32 v90, v90, v77
	v_and_b32_e32 v77, 0x7f800000, v90
	s_delay_alu instid0(VALU_DEP_1) | instskip(SKIP_1) | instid1(SALU_CYCLE_1)
	v_cmp_ne_u32_e32 vcc_lo, 0x7f800000, v77
                                        ; implicit-def: $vgpr77
	s_and_saveexec_b32 s40, vcc_lo
	s_xor_b32 s40, exec_lo, s40
; %bb.4699:                             ;   in Loop: Header=BB12_4525 Depth=3
	v_bfe_u32 v77, v90, 16, 1
	s_delay_alu instid0(VALU_DEP_1)
	v_add3_u32 v77, v90, v77, 0x7fff
                                        ; implicit-def: $vgpr90
; %bb.4700:                             ;   in Loop: Header=BB12_4525 Depth=3
	s_and_not1_saveexec_b32 s40, s40
; %bb.4701:                             ;   in Loop: Header=BB12_4525 Depth=3
	v_and_b32_e32 v77, 0xffff, v90
	v_or_b32_e32 v94, 0x10000, v90
	s_delay_alu instid0(VALU_DEP_2) | instskip(NEXT) | instid1(VALU_DEP_2)
	v_cmp_eq_u32_e32 vcc_lo, 0, v77
	v_cndmask_b32_e32 v77, v94, v90, vcc_lo
; %bb.4702:                             ;   in Loop: Header=BB12_4525 Depth=3
	s_or_b32 exec_lo, exec_lo, s40
	v_and_b32_e32 v78, 0xffff0000, v78
	v_lshlrev_b32_e32 v90, 16, v18
	s_delay_alu instid0(VALU_DEP_1) | instskip(NEXT) | instid1(VALU_DEP_1)
	v_add_f32_e32 v90, v90, v78
	v_and_b32_e32 v78, 0x7f800000, v90
	s_delay_alu instid0(VALU_DEP_1) | instskip(SKIP_1) | instid1(SALU_CYCLE_1)
	v_cmp_ne_u32_e32 vcc_lo, 0x7f800000, v78
                                        ; implicit-def: $vgpr78
	s_and_saveexec_b32 s40, vcc_lo
	s_xor_b32 s40, exec_lo, s40
; %bb.4703:                             ;   in Loop: Header=BB12_4525 Depth=3
	v_bfe_u32 v78, v90, 16, 1
	s_delay_alu instid0(VALU_DEP_1)
	v_add3_u32 v78, v90, v78, 0x7fff
                                        ; implicit-def: $vgpr90
; %bb.4704:                             ;   in Loop: Header=BB12_4525 Depth=3
	s_and_not1_saveexec_b32 s40, s40
; %bb.4705:                             ;   in Loop: Header=BB12_4525 Depth=3
	v_and_b32_e32 v78, 0xffff, v90
	v_or_b32_e32 v94, 0x10000, v90
	s_delay_alu instid0(VALU_DEP_2) | instskip(NEXT) | instid1(VALU_DEP_2)
	v_cmp_eq_u32_e32 vcc_lo, 0, v78
	v_cndmask_b32_e32 v78, v94, v90, vcc_lo
; %bb.4706:                             ;   in Loop: Header=BB12_4525 Depth=3
	s_or_b32 exec_lo, exec_lo, s40
	v_and_b32_e32 v90, 0xffff0000, v18
	v_and_b32_e32 v75, 0xffff0000, v75
	s_delay_alu instid0(VALU_DEP_1) | instskip(NEXT) | instid1(VALU_DEP_1)
	v_add_f32_e32 v90, v90, v75
	v_and_b32_e32 v75, 0x7f800000, v90
	s_delay_alu instid0(VALU_DEP_1) | instskip(SKIP_1) | instid1(SALU_CYCLE_1)
	v_cmp_ne_u32_e32 vcc_lo, 0x7f800000, v75
                                        ; implicit-def: $vgpr75
	s_and_saveexec_b32 s40, vcc_lo
	s_xor_b32 s40, exec_lo, s40
; %bb.4707:                             ;   in Loop: Header=BB12_4525 Depth=3
	v_bfe_u32 v75, v90, 16, 1
	s_delay_alu instid0(VALU_DEP_1)
	v_add3_u32 v75, v90, v75, 0x7fff
                                        ; implicit-def: $vgpr90
; %bb.4708:                             ;   in Loop: Header=BB12_4525 Depth=3
	s_and_not1_saveexec_b32 s40, s40
; %bb.4709:                             ;   in Loop: Header=BB12_4525 Depth=3
	v_and_b32_e32 v75, 0xffff, v90
	v_or_b32_e32 v94, 0x10000, v90
	s_delay_alu instid0(VALU_DEP_2) | instskip(NEXT) | instid1(VALU_DEP_2)
	v_cmp_eq_u32_e32 vcc_lo, 0, v75
	v_cndmask_b32_e32 v75, v94, v90, vcc_lo
; %bb.4710:                             ;   in Loop: Header=BB12_4525 Depth=3
	s_or_b32 exec_lo, exec_lo, s40
	v_and_b32_e32 v76, 0xffff0000, v76
	v_lshlrev_b32_e32 v90, 16, v19
	s_delay_alu instid0(VALU_DEP_1) | instskip(NEXT) | instid1(VALU_DEP_1)
	v_add_f32_e32 v90, v90, v76
	v_and_b32_e32 v76, 0x7f800000, v90
	s_delay_alu instid0(VALU_DEP_1) | instskip(SKIP_1) | instid1(SALU_CYCLE_1)
	v_cmp_ne_u32_e32 vcc_lo, 0x7f800000, v76
                                        ; implicit-def: $vgpr76
	s_and_saveexec_b32 s40, vcc_lo
	s_xor_b32 s40, exec_lo, s40
; %bb.4711:                             ;   in Loop: Header=BB12_4525 Depth=3
	v_bfe_u32 v76, v90, 16, 1
	s_delay_alu instid0(VALU_DEP_1)
	v_add3_u32 v76, v90, v76, 0x7fff
                                        ; implicit-def: $vgpr90
; %bb.4712:                             ;   in Loop: Header=BB12_4525 Depth=3
	s_and_not1_saveexec_b32 s40, s40
; %bb.4713:                             ;   in Loop: Header=BB12_4525 Depth=3
	v_and_b32_e32 v76, 0xffff, v90
	v_or_b32_e32 v94, 0x10000, v90
	s_delay_alu instid0(VALU_DEP_2) | instskip(NEXT) | instid1(VALU_DEP_2)
	v_cmp_eq_u32_e32 vcc_lo, 0, v76
	v_cndmask_b32_e32 v76, v94, v90, vcc_lo
; %bb.4714:                             ;   in Loop: Header=BB12_4525 Depth=3
	s_or_b32 exec_lo, exec_lo, s40
	v_and_b32_e32 v90, 0xffff0000, v19
	v_and_b32_e32 v42, 0xffff0000, v42
	s_delay_alu instid0(VALU_DEP_1) | instskip(NEXT) | instid1(VALU_DEP_1)
	v_add_f32_e32 v90, v90, v42
	v_and_b32_e32 v42, 0x7f800000, v90
	s_delay_alu instid0(VALU_DEP_1) | instskip(SKIP_1) | instid1(SALU_CYCLE_1)
	v_cmp_ne_u32_e32 vcc_lo, 0x7f800000, v42
                                        ; implicit-def: $vgpr42
	s_and_saveexec_b32 s40, vcc_lo
	s_xor_b32 s40, exec_lo, s40
; %bb.4715:                             ;   in Loop: Header=BB12_4525 Depth=3
	v_bfe_u32 v42, v90, 16, 1
	s_delay_alu instid0(VALU_DEP_1)
	v_add3_u32 v42, v90, v42, 0x7fff
                                        ; implicit-def: $vgpr90
; %bb.4716:                             ;   in Loop: Header=BB12_4525 Depth=3
	s_and_not1_saveexec_b32 s40, s40
; %bb.4717:                             ;   in Loop: Header=BB12_4525 Depth=3
	v_and_b32_e32 v42, 0xffff, v90
	v_or_b32_e32 v94, 0x10000, v90
	s_delay_alu instid0(VALU_DEP_2) | instskip(NEXT) | instid1(VALU_DEP_2)
	v_cmp_eq_u32_e32 vcc_lo, 0, v42
	v_cndmask_b32_e32 v42, v94, v90, vcc_lo
; %bb.4718:                             ;   in Loop: Header=BB12_4525 Depth=3
	s_or_b32 exec_lo, exec_lo, s40
	v_and_b32_e32 v43, 0xffff0000, v43
	v_lshlrev_b32_e32 v90, 16, v12
	s_delay_alu instid0(VALU_DEP_1) | instskip(NEXT) | instid1(VALU_DEP_1)
	v_add_f32_e32 v90, v90, v43
	v_and_b32_e32 v43, 0x7f800000, v90
	s_delay_alu instid0(VALU_DEP_1) | instskip(SKIP_1) | instid1(SALU_CYCLE_1)
	v_cmp_ne_u32_e32 vcc_lo, 0x7f800000, v43
                                        ; implicit-def: $vgpr43
	s_and_saveexec_b32 s40, vcc_lo
	s_xor_b32 s40, exec_lo, s40
; %bb.4719:                             ;   in Loop: Header=BB12_4525 Depth=3
	v_bfe_u32 v43, v90, 16, 1
	s_delay_alu instid0(VALU_DEP_1)
	v_add3_u32 v43, v90, v43, 0x7fff
                                        ; implicit-def: $vgpr90
; %bb.4720:                             ;   in Loop: Header=BB12_4525 Depth=3
	s_and_not1_saveexec_b32 s40, s40
; %bb.4721:                             ;   in Loop: Header=BB12_4525 Depth=3
	v_and_b32_e32 v43, 0xffff, v90
	v_or_b32_e32 v94, 0x10000, v90
	s_delay_alu instid0(VALU_DEP_2) | instskip(NEXT) | instid1(VALU_DEP_2)
	v_cmp_eq_u32_e32 vcc_lo, 0, v43
	v_cndmask_b32_e32 v43, v94, v90, vcc_lo
; %bb.4722:                             ;   in Loop: Header=BB12_4525 Depth=3
	s_or_b32 exec_lo, exec_lo, s40
	v_and_b32_e32 v90, 0xffff0000, v12
	v_and_b32_e32 v98, 0xffff0000, v98
	s_delay_alu instid0(VALU_DEP_1) | instskip(NEXT) | instid1(VALU_DEP_1)
	v_add_f32_e32 v90, v90, v98
	v_and_b32_e32 v98, 0x7f800000, v90
	s_delay_alu instid0(VALU_DEP_1) | instskip(SKIP_1) | instid1(SALU_CYCLE_1)
	v_cmp_ne_u32_e32 vcc_lo, 0x7f800000, v98
                                        ; implicit-def: $vgpr98
	s_and_saveexec_b32 s40, vcc_lo
	s_xor_b32 s40, exec_lo, s40
; %bb.4723:                             ;   in Loop: Header=BB12_4525 Depth=3
	v_bfe_u32 v98, v90, 16, 1
	s_delay_alu instid0(VALU_DEP_1)
	v_add3_u32 v98, v90, v98, 0x7fff
                                        ; implicit-def: $vgpr90
; %bb.4724:                             ;   in Loop: Header=BB12_4525 Depth=3
	s_and_not1_saveexec_b32 s40, s40
; %bb.4725:                             ;   in Loop: Header=BB12_4525 Depth=3
	v_and_b32_e32 v98, 0xffff, v90
	v_or_b32_e32 v94, 0x10000, v90
	s_delay_alu instid0(VALU_DEP_2) | instskip(NEXT) | instid1(VALU_DEP_2)
	v_cmp_eq_u32_e32 vcc_lo, 0, v98
	v_cndmask_b32_e32 v98, v94, v90, vcc_lo
; %bb.4726:                             ;   in Loop: Header=BB12_4525 Depth=3
	s_or_b32 exec_lo, exec_lo, s40
	v_and_b32_e32 v99, 0xffff0000, v99
	v_lshlrev_b32_e32 v90, 16, v13
	s_delay_alu instid0(VALU_DEP_1) | instskip(NEXT) | instid1(VALU_DEP_1)
	v_add_f32_e32 v90, v90, v99
	v_and_b32_e32 v99, 0x7f800000, v90
	s_delay_alu instid0(VALU_DEP_1) | instskip(SKIP_1) | instid1(SALU_CYCLE_1)
	v_cmp_ne_u32_e32 vcc_lo, 0x7f800000, v99
                                        ; implicit-def: $vgpr99
	s_and_saveexec_b32 s40, vcc_lo
	s_xor_b32 s40, exec_lo, s40
; %bb.4727:                             ;   in Loop: Header=BB12_4525 Depth=3
	v_bfe_u32 v99, v90, 16, 1
	s_delay_alu instid0(VALU_DEP_1)
	v_add3_u32 v99, v90, v99, 0x7fff
                                        ; implicit-def: $vgpr90
; %bb.4728:                             ;   in Loop: Header=BB12_4525 Depth=3
	s_and_not1_saveexec_b32 s40, s40
; %bb.4729:                             ;   in Loop: Header=BB12_4525 Depth=3
	v_and_b32_e32 v99, 0xffff, v90
	v_or_b32_e32 v94, 0x10000, v90
	s_delay_alu instid0(VALU_DEP_2) | instskip(NEXT) | instid1(VALU_DEP_2)
	v_cmp_eq_u32_e32 vcc_lo, 0, v99
	v_cndmask_b32_e32 v99, v94, v90, vcc_lo
; %bb.4730:                             ;   in Loop: Header=BB12_4525 Depth=3
	s_or_b32 exec_lo, exec_lo, s40
	v_and_b32_e32 v90, 0xffff0000, v13
	v_and_b32_e32 v96, 0xffff0000, v96
	s_delay_alu instid0(VALU_DEP_1) | instskip(NEXT) | instid1(VALU_DEP_1)
	v_add_f32_e32 v90, v90, v96
	v_and_b32_e32 v96, 0x7f800000, v90
	s_delay_alu instid0(VALU_DEP_1) | instskip(SKIP_1) | instid1(SALU_CYCLE_1)
	v_cmp_ne_u32_e32 vcc_lo, 0x7f800000, v96
                                        ; implicit-def: $vgpr96
	s_and_saveexec_b32 s40, vcc_lo
	s_xor_b32 s40, exec_lo, s40
; %bb.4731:                             ;   in Loop: Header=BB12_4525 Depth=3
	v_bfe_u32 v96, v90, 16, 1
	s_delay_alu instid0(VALU_DEP_1)
	v_add3_u32 v96, v90, v96, 0x7fff
                                        ; implicit-def: $vgpr90
; %bb.4732:                             ;   in Loop: Header=BB12_4525 Depth=3
	s_and_not1_saveexec_b32 s40, s40
; %bb.4733:                             ;   in Loop: Header=BB12_4525 Depth=3
	v_and_b32_e32 v96, 0xffff, v90
	v_or_b32_e32 v94, 0x10000, v90
	s_delay_alu instid0(VALU_DEP_2) | instskip(NEXT) | instid1(VALU_DEP_2)
	v_cmp_eq_u32_e32 vcc_lo, 0, v96
	v_cndmask_b32_e32 v96, v94, v90, vcc_lo
; %bb.4734:                             ;   in Loop: Header=BB12_4525 Depth=3
	s_or_b32 exec_lo, exec_lo, s40
	v_and_b32_e32 v97, 0xffff0000, v97
	v_lshlrev_b32_e32 v90, 16, v14
	s_delay_alu instid0(VALU_DEP_1) | instskip(NEXT) | instid1(VALU_DEP_1)
	v_add_f32_e32 v90, v90, v97
	v_and_b32_e32 v97, 0x7f800000, v90
	s_delay_alu instid0(VALU_DEP_1) | instskip(SKIP_1) | instid1(SALU_CYCLE_1)
	v_cmp_ne_u32_e32 vcc_lo, 0x7f800000, v97
                                        ; implicit-def: $vgpr97
	s_and_saveexec_b32 s40, vcc_lo
	s_xor_b32 s40, exec_lo, s40
; %bb.4735:                             ;   in Loop: Header=BB12_4525 Depth=3
	v_bfe_u32 v97, v90, 16, 1
	s_delay_alu instid0(VALU_DEP_1)
	v_add3_u32 v97, v90, v97, 0x7fff
                                        ; implicit-def: $vgpr90
; %bb.4736:                             ;   in Loop: Header=BB12_4525 Depth=3
	s_and_not1_saveexec_b32 s40, s40
; %bb.4737:                             ;   in Loop: Header=BB12_4525 Depth=3
	v_and_b32_e32 v97, 0xffff, v90
	v_or_b32_e32 v94, 0x10000, v90
	s_delay_alu instid0(VALU_DEP_2) | instskip(NEXT) | instid1(VALU_DEP_2)
	v_cmp_eq_u32_e32 vcc_lo, 0, v97
	v_cndmask_b32_e32 v97, v94, v90, vcc_lo
; %bb.4738:                             ;   in Loop: Header=BB12_4525 Depth=3
	s_or_b32 exec_lo, exec_lo, s40
	v_and_b32_e32 v90, 0xffff0000, v14
	v_and_b32_e32 v70, 0xffff0000, v70
	s_delay_alu instid0(VALU_DEP_1) | instskip(NEXT) | instid1(VALU_DEP_1)
	v_add_f32_e32 v90, v90, v70
	v_and_b32_e32 v70, 0x7f800000, v90
	s_delay_alu instid0(VALU_DEP_1) | instskip(SKIP_1) | instid1(SALU_CYCLE_1)
	v_cmp_ne_u32_e32 vcc_lo, 0x7f800000, v70
                                        ; implicit-def: $vgpr70
	s_and_saveexec_b32 s40, vcc_lo
	s_xor_b32 s40, exec_lo, s40
; %bb.4739:                             ;   in Loop: Header=BB12_4525 Depth=3
	v_bfe_u32 v70, v90, 16, 1
	s_delay_alu instid0(VALU_DEP_1)
	v_add3_u32 v70, v90, v70, 0x7fff
                                        ; implicit-def: $vgpr90
; %bb.4740:                             ;   in Loop: Header=BB12_4525 Depth=3
	s_and_not1_saveexec_b32 s40, s40
; %bb.4741:                             ;   in Loop: Header=BB12_4525 Depth=3
	v_and_b32_e32 v70, 0xffff, v90
	v_or_b32_e32 v94, 0x10000, v90
	s_delay_alu instid0(VALU_DEP_2) | instskip(NEXT) | instid1(VALU_DEP_2)
	v_cmp_eq_u32_e32 vcc_lo, 0, v70
	v_cndmask_b32_e32 v70, v94, v90, vcc_lo
; %bb.4742:                             ;   in Loop: Header=BB12_4525 Depth=3
	s_or_b32 exec_lo, exec_lo, s40
	v_and_b32_e32 v71, 0xffff0000, v71
	v_lshlrev_b32_e32 v90, 16, v15
	s_delay_alu instid0(VALU_DEP_1) | instskip(NEXT) | instid1(VALU_DEP_1)
	v_add_f32_e32 v90, v90, v71
	v_and_b32_e32 v71, 0x7f800000, v90
	s_delay_alu instid0(VALU_DEP_1) | instskip(SKIP_1) | instid1(SALU_CYCLE_1)
	v_cmp_ne_u32_e32 vcc_lo, 0x7f800000, v71
                                        ; implicit-def: $vgpr71
	s_and_saveexec_b32 s40, vcc_lo
	s_xor_b32 s40, exec_lo, s40
; %bb.4743:                             ;   in Loop: Header=BB12_4525 Depth=3
	v_bfe_u32 v71, v90, 16, 1
	s_delay_alu instid0(VALU_DEP_1)
	v_add3_u32 v71, v90, v71, 0x7fff
                                        ; implicit-def: $vgpr90
; %bb.4744:                             ;   in Loop: Header=BB12_4525 Depth=3
	s_and_not1_saveexec_b32 s40, s40
; %bb.4745:                             ;   in Loop: Header=BB12_4525 Depth=3
	v_and_b32_e32 v71, 0xffff, v90
	v_or_b32_e32 v94, 0x10000, v90
	s_delay_alu instid0(VALU_DEP_2) | instskip(NEXT) | instid1(VALU_DEP_2)
	v_cmp_eq_u32_e32 vcc_lo, 0, v71
	v_cndmask_b32_e32 v71, v94, v90, vcc_lo
; %bb.4746:                             ;   in Loop: Header=BB12_4525 Depth=3
	s_or_b32 exec_lo, exec_lo, s40
	v_and_b32_e32 v90, 0xffff0000, v15
	v_and_b32_e32 v68, 0xffff0000, v68
	s_delay_alu instid0(VALU_DEP_1) | instskip(NEXT) | instid1(VALU_DEP_1)
	v_add_f32_e32 v90, v90, v68
	v_and_b32_e32 v68, 0x7f800000, v90
	s_delay_alu instid0(VALU_DEP_1) | instskip(SKIP_1) | instid1(SALU_CYCLE_1)
	v_cmp_ne_u32_e32 vcc_lo, 0x7f800000, v68
                                        ; implicit-def: $vgpr68
	s_and_saveexec_b32 s40, vcc_lo
	s_xor_b32 s40, exec_lo, s40
; %bb.4747:                             ;   in Loop: Header=BB12_4525 Depth=3
	v_bfe_u32 v68, v90, 16, 1
	s_delay_alu instid0(VALU_DEP_1)
	v_add3_u32 v68, v90, v68, 0x7fff
                                        ; implicit-def: $vgpr90
; %bb.4748:                             ;   in Loop: Header=BB12_4525 Depth=3
	s_and_not1_saveexec_b32 s40, s40
; %bb.4749:                             ;   in Loop: Header=BB12_4525 Depth=3
	v_and_b32_e32 v68, 0xffff, v90
	v_or_b32_e32 v94, 0x10000, v90
	s_delay_alu instid0(VALU_DEP_2) | instskip(NEXT) | instid1(VALU_DEP_2)
	v_cmp_eq_u32_e32 vcc_lo, 0, v68
	v_cndmask_b32_e32 v68, v94, v90, vcc_lo
; %bb.4750:                             ;   in Loop: Header=BB12_4525 Depth=3
	s_or_b32 exec_lo, exec_lo, s40
	v_and_b32_e32 v69, 0xffff0000, v69
	v_lshlrev_b32_e32 v90, 16, v8
	s_mov_b32 s40, exec_lo
                                        ; implicit-def: $vgpr106
	s_delay_alu instid0(VALU_DEP_1) | instskip(NEXT) | instid1(VALU_DEP_1)
	v_add_f32_e32 v69, v90, v69
	v_and_b32_e32 v90, 0x7f800000, v69
	s_delay_alu instid0(VALU_DEP_1)
	v_cmpx_ne_u32_e32 0x7f800000, v90
	s_xor_b32 s40, exec_lo, s40
; %bb.4751:                             ;   in Loop: Header=BB12_4525 Depth=3
	v_bfe_u32 v90, v69, 16, 1
	s_delay_alu instid0(VALU_DEP_1)
	v_add3_u32 v106, v69, v90, 0x7fff
                                        ; implicit-def: $vgpr69
; %bb.4752:                             ;   in Loop: Header=BB12_4525 Depth=3
	s_and_not1_saveexec_b32 s40, s40
; %bb.4753:                             ;   in Loop: Header=BB12_4525 Depth=3
	v_and_b32_e32 v90, 0xffff, v69
	v_or_b32_e32 v94, 0x10000, v69
	s_delay_alu instid0(VALU_DEP_2) | instskip(NEXT) | instid1(VALU_DEP_2)
	v_cmp_eq_u32_e32 vcc_lo, 0, v90
	v_cndmask_b32_e32 v106, v94, v69, vcc_lo
; %bb.4754:                             ;   in Loop: Header=BB12_4525 Depth=3
	s_or_b32 exec_lo, exec_lo, s40
	v_and_b32_e32 v69, 0xffff0000, v8
	v_and_b32_e32 v50, 0xffff0000, v50
	s_mov_b32 s40, exec_lo
                                        ; implicit-def: $vgpr107
	s_delay_alu instid0(VALU_DEP_1) | instskip(NEXT) | instid1(VALU_DEP_1)
	v_add_f32_e32 v50, v69, v50
	v_and_b32_e32 v69, 0x7f800000, v50
	s_delay_alu instid0(VALU_DEP_1)
	v_cmpx_ne_u32_e32 0x7f800000, v69
	s_xor_b32 s40, exec_lo, s40
; %bb.4755:                             ;   in Loop: Header=BB12_4525 Depth=3
	v_bfe_u32 v69, v50, 16, 1
	s_delay_alu instid0(VALU_DEP_1)
	v_add3_u32 v107, v50, v69, 0x7fff
                                        ; implicit-def: $vgpr50
; %bb.4756:                             ;   in Loop: Header=BB12_4525 Depth=3
	s_and_not1_saveexec_b32 s40, s40
; %bb.4757:                             ;   in Loop: Header=BB12_4525 Depth=3
	v_and_b32_e32 v69, 0xffff, v50
	v_or_b32_e32 v90, 0x10000, v50
	s_delay_alu instid0(VALU_DEP_2) | instskip(NEXT) | instid1(VALU_DEP_2)
	v_cmp_eq_u32_e32 vcc_lo, 0, v69
	v_cndmask_b32_e32 v107, v90, v50, vcc_lo
; %bb.4758:                             ;   in Loop: Header=BB12_4525 Depth=3
	s_or_b32 exec_lo, exec_lo, s40
	v_and_b32_e32 v50, 0xffff0000, v51
	v_lshlrev_b32_e32 v51, 16, v9
	s_mov_b32 s40, exec_lo
                                        ; implicit-def: $vgpr120
	s_delay_alu instid0(VALU_DEP_1) | instskip(NEXT) | instid1(VALU_DEP_1)
	v_add_f32_e32 v50, v51, v50
	v_and_b32_e32 v51, 0x7f800000, v50
	s_delay_alu instid0(VALU_DEP_1)
	v_cmpx_ne_u32_e32 0x7f800000, v51
	s_xor_b32 s40, exec_lo, s40
; %bb.4759:                             ;   in Loop: Header=BB12_4525 Depth=3
	v_bfe_u32 v51, v50, 16, 1
	s_delay_alu instid0(VALU_DEP_1)
	v_add3_u32 v120, v50, v51, 0x7fff
                                        ; implicit-def: $vgpr50
; %bb.4760:                             ;   in Loop: Header=BB12_4525 Depth=3
	s_and_not1_saveexec_b32 s40, s40
; %bb.4761:                             ;   in Loop: Header=BB12_4525 Depth=3
	v_and_b32_e32 v51, 0xffff, v50
	v_or_b32_e32 v69, 0x10000, v50
	s_delay_alu instid0(VALU_DEP_2) | instskip(NEXT) | instid1(VALU_DEP_2)
	v_cmp_eq_u32_e32 vcc_lo, 0, v51
	v_cndmask_b32_e32 v120, v69, v50, vcc_lo
; %bb.4762:                             ;   in Loop: Header=BB12_4525 Depth=3
	s_or_b32 exec_lo, exec_lo, s40
	v_and_b32_e32 v50, 0xffff0000, v9
	v_and_b32_e32 v48, 0xffff0000, v48
	s_mov_b32 s40, exec_lo
                                        ; implicit-def: $vgpr90
	s_delay_alu instid0(VALU_DEP_1) | instskip(NEXT) | instid1(VALU_DEP_1)
	v_add_f32_e32 v48, v50, v48
	v_and_b32_e32 v50, 0x7f800000, v48
	s_delay_alu instid0(VALU_DEP_1)
	v_cmpx_ne_u32_e32 0x7f800000, v50
	s_xor_b32 s40, exec_lo, s40
; %bb.4763:                             ;   in Loop: Header=BB12_4525 Depth=3
	v_bfe_u32 v50, v48, 16, 1
	s_delay_alu instid0(VALU_DEP_1)
	v_add3_u32 v90, v48, v50, 0x7fff
                                        ; implicit-def: $vgpr48
; %bb.4764:                             ;   in Loop: Header=BB12_4525 Depth=3
	s_and_not1_saveexec_b32 s40, s40
; %bb.4765:                             ;   in Loop: Header=BB12_4525 Depth=3
	v_and_b32_e32 v50, 0xffff, v48
	v_or_b32_e32 v51, 0x10000, v48
	s_delay_alu instid0(VALU_DEP_2) | instskip(NEXT) | instid1(VALU_DEP_2)
	v_cmp_eq_u32_e32 vcc_lo, 0, v50
	v_cndmask_b32_e32 v90, v51, v48, vcc_lo
; %bb.4766:                             ;   in Loop: Header=BB12_4525 Depth=3
	s_or_b32 exec_lo, exec_lo, s40
	v_and_b32_e32 v48, 0xffff0000, v49
	v_lshlrev_b32_e32 v49, 16, v10
	s_mov_b32 s40, exec_lo
                                        ; implicit-def: $vgpr121
	s_delay_alu instid0(VALU_DEP_1) | instskip(NEXT) | instid1(VALU_DEP_1)
	v_add_f32_e32 v48, v49, v48
	v_and_b32_e32 v49, 0x7f800000, v48
	s_delay_alu instid0(VALU_DEP_1)
	v_cmpx_ne_u32_e32 0x7f800000, v49
	s_xor_b32 s40, exec_lo, s40
; %bb.4767:                             ;   in Loop: Header=BB12_4525 Depth=3
	v_bfe_u32 v49, v48, 16, 1
	s_delay_alu instid0(VALU_DEP_1)
	v_add3_u32 v121, v48, v49, 0x7fff
                                        ; implicit-def: $vgpr48
; %bb.4768:                             ;   in Loop: Header=BB12_4525 Depth=3
	s_and_not1_saveexec_b32 s40, s40
; %bb.4769:                             ;   in Loop: Header=BB12_4525 Depth=3
	v_and_b32_e32 v49, 0xffff, v48
	v_or_b32_e32 v50, 0x10000, v48
	s_delay_alu instid0(VALU_DEP_2) | instskip(NEXT) | instid1(VALU_DEP_2)
	v_cmp_eq_u32_e32 vcc_lo, 0, v49
	v_cndmask_b32_e32 v121, v50, v48, vcc_lo
; %bb.4770:                             ;   in Loop: Header=BB12_4525 Depth=3
	s_or_b32 exec_lo, exec_lo, s40
	v_and_b32_e32 v48, 0xffff0000, v10
	v_and_b32_e32 v26, 0xffff0000, v26
	s_delay_alu instid0(VALU_DEP_1) | instskip(NEXT) | instid1(VALU_DEP_1)
	v_add_f32_e32 v48, v48, v26
	v_and_b32_e32 v26, 0x7f800000, v48
	s_delay_alu instid0(VALU_DEP_1) | instskip(SKIP_1) | instid1(SALU_CYCLE_1)
	v_cmp_ne_u32_e32 vcc_lo, 0x7f800000, v26
                                        ; implicit-def: $vgpr26
	s_and_saveexec_b32 s40, vcc_lo
	s_xor_b32 s40, exec_lo, s40
; %bb.4771:                             ;   in Loop: Header=BB12_4525 Depth=3
	v_bfe_u32 v26, v48, 16, 1
	s_delay_alu instid0(VALU_DEP_1)
	v_add3_u32 v26, v48, v26, 0x7fff
                                        ; implicit-def: $vgpr48
; %bb.4772:                             ;   in Loop: Header=BB12_4525 Depth=3
	s_and_not1_saveexec_b32 s40, s40
; %bb.4773:                             ;   in Loop: Header=BB12_4525 Depth=3
	v_and_b32_e32 v26, 0xffff, v48
	v_or_b32_e32 v49, 0x10000, v48
	s_delay_alu instid0(VALU_DEP_2) | instskip(NEXT) | instid1(VALU_DEP_2)
	v_cmp_eq_u32_e32 vcc_lo, 0, v26
	v_cndmask_b32_e32 v26, v49, v48, vcc_lo
; %bb.4774:                             ;   in Loop: Header=BB12_4525 Depth=3
	s_or_b32 exec_lo, exec_lo, s40
	v_and_b32_e32 v29, 0xffff0000, v29
	v_lshlrev_b32_e32 v48, 16, v11
	s_delay_alu instid0(VALU_DEP_1) | instskip(NEXT) | instid1(VALU_DEP_1)
	v_add_f32_e32 v48, v48, v29
	v_and_b32_e32 v29, 0x7f800000, v48
	s_delay_alu instid0(VALU_DEP_1) | instskip(SKIP_1) | instid1(SALU_CYCLE_1)
	v_cmp_ne_u32_e32 vcc_lo, 0x7f800000, v29
                                        ; implicit-def: $vgpr29
	s_and_saveexec_b32 s40, vcc_lo
	s_xor_b32 s40, exec_lo, s40
; %bb.4775:                             ;   in Loop: Header=BB12_4525 Depth=3
	v_bfe_u32 v29, v48, 16, 1
	s_delay_alu instid0(VALU_DEP_1)
	v_add3_u32 v29, v48, v29, 0x7fff
                                        ; implicit-def: $vgpr48
; %bb.4776:                             ;   in Loop: Header=BB12_4525 Depth=3
	s_and_not1_saveexec_b32 s40, s40
; %bb.4777:                             ;   in Loop: Header=BB12_4525 Depth=3
	v_and_b32_e32 v29, 0xffff, v48
	v_or_b32_e32 v49, 0x10000, v48
	s_delay_alu instid0(VALU_DEP_2) | instskip(NEXT) | instid1(VALU_DEP_2)
	v_cmp_eq_u32_e32 vcc_lo, 0, v29
	v_cndmask_b32_e32 v29, v49, v48, vcc_lo
; %bb.4778:                             ;   in Loop: Header=BB12_4525 Depth=3
	s_or_b32 exec_lo, exec_lo, s40
	v_and_b32_e32 v48, 0xffff0000, v11
	v_and_b32_e32 v25, 0xffff0000, v25
	s_mov_b32 s40, exec_lo
                                        ; implicit-def: $vgpr94
	s_delay_alu instid0(VALU_DEP_1) | instskip(NEXT) | instid1(VALU_DEP_1)
	v_add_f32_e32 v25, v48, v25
	v_and_b32_e32 v48, 0x7f800000, v25
	s_delay_alu instid0(VALU_DEP_1)
	v_cmpx_ne_u32_e32 0x7f800000, v48
	s_xor_b32 s40, exec_lo, s40
; %bb.4779:                             ;   in Loop: Header=BB12_4525 Depth=3
	v_bfe_u32 v48, v25, 16, 1
	s_delay_alu instid0(VALU_DEP_1)
	v_add3_u32 v94, v25, v48, 0x7fff
                                        ; implicit-def: $vgpr25
; %bb.4780:                             ;   in Loop: Header=BB12_4525 Depth=3
	s_and_not1_saveexec_b32 s40, s40
; %bb.4781:                             ;   in Loop: Header=BB12_4525 Depth=3
	v_and_b32_e32 v48, 0xffff, v25
	v_or_b32_e32 v49, 0x10000, v25
	s_delay_alu instid0(VALU_DEP_2) | instskip(NEXT) | instid1(VALU_DEP_2)
	v_cmp_eq_u32_e32 vcc_lo, 0, v48
	v_cndmask_b32_e32 v94, v49, v25, vcc_lo
; %bb.4782:                             ;   in Loop: Header=BB12_4525 Depth=3
	s_or_b32 exec_lo, exec_lo, s40
	v_dual_lshrrev_b32 v25, 16, v99 :: v_dual_lshrrev_b32 v50, 16, v97
	v_lshrrev_b32_e32 v48, 16, v43
	v_dual_lshrrev_b32 v51, 16, v71 :: v_dual_lshrrev_b32 v0, 16, v0
	v_lshrrev_b32_e32 v1, 16, v1
	s_delay_alu instid0(VALU_DEP_4)
	v_and_or_b32 v49, 0xffff0000, v96, v25
	v_lshrrev_b32_e32 v25, 16, v46
	v_and_or_b32 v48, 0xffff0000, v98, v48
	v_and_or_b32 v51, 0xffff0000, v68, v51
	v_lshrrev_b32_e32 v98, 16, v44
	v_and_or_b32 v97, 0xffff0000, v27, v0
	;; [unrolled: 3-line block ×3, first 2 shown]
	v_dual_lshrrev_b32 v0, 16, v7 :: v_dual_lshrrev_b32 v1, 16, v120
	v_dual_lshrrev_b32 v69, 16, v79 :: v_dual_lshrrev_b32 v71, 16, v76
	v_and_or_b32 v50, 0xffff0000, v70, v50
	v_and_or_b32 v70, 0xffff0000, v75, v25
	;; [unrolled: 1-line block ×3, first 2 shown]
	v_dual_lshrrev_b32 v6, 16, v106 :: v_dual_lshrrev_b32 v7, 16, v121
	v_lshrrev_b32_e32 v27, 16, v29
	v_and_or_b32 v99, 0xffff0000, v45, v0
	v_and_or_b32 v25, 0xffff0000, v90, v1
	v_add_nc_u64_e32 v[0:1], 0x800, v[92:93]
	v_and_or_b32 v69, 0xffff0000, v77, v69
	v_and_or_b32 v71, 0xffff0000, v42, v71
	;; [unrolled: 1-line block ×5, first 2 shown]
	s_clause 0x3
	global_store_b128 v[4:5], v[96:99], off th:TH_STORE_NT
	global_store_b128 v[4:5], v[68:71], off offset:512 th:TH_STORE_NT
	global_store_b128 v[4:5], v[48:51], off offset:1024 th:TH_STORE_NT
	;; [unrolled: 1-line block ×3, first 2 shown]
	s_wait_xcnt 0x0
	v_add_nc_u64_e32 v[4:5], v[4:5], v[0:1]
.LBB12_4783:                            ;   in Loop: Header=BB12_4525 Depth=3
	s_or_b32 exec_lo, exec_lo, s41
	v_add_nc_u64_e32 v[0:1], 0x800, v[92:93]
	v_sub_nc_u32_e32 v31, v31, v60
	s_delay_alu instid0(VALU_DEP_1) | instskip(NEXT) | instid1(VALU_DEP_3)
	v_cmp_lt_i32_e64 s40, 0, v31
	v_add_nc_u64_e32 v[118:119], v[118:119], v[0:1]
	v_add_nc_u64_e32 v[62:63], v[62:63], v[0:1]
	s_and_saveexec_b32 s41, s40
	s_cbranch_execz .LBB12_4785
; %bb.4784:                             ;   in Loop: Header=BB12_4525 Depth=3
	s_clause 0x3
	global_load_b128 v[96:99], v[118:119], off th:TH_LOAD_NT
	global_load_b128 v[68:71], v[118:119], off offset:512 th:TH_LOAD_NT
	global_load_b128 v[48:51], v[118:119], off offset:1024 th:TH_LOAD_NT
	;; [unrolled: 1-line block ×3, first 2 shown]
	s_clause 0x3
	global_load_b128 v[20:23], v[62:63], off th:TH_LOAD_NT
	global_load_b128 v[16:19], v[62:63], off offset:512 th:TH_LOAD_NT
	global_load_b128 v[12:15], v[62:63], off offset:1024 th:TH_LOAD_NT
	;; [unrolled: 1-line block ×3, first 2 shown]
	s_wait_xcnt 0x4
	v_add_nc_u64_e32 v[118:119], 0x800, v[118:119]
	s_wait_xcnt 0x0
	v_add_nc_u64_e32 v[62:63], 0x800, v[62:63]
.LBB12_4785:                            ;   in Loop: Header=BB12_4525 Depth=3
	s_or_b32 exec_lo, exec_lo, s41
	s_wait_loadcnt 0x7
	v_lshlrev_b32_e32 v0, 16, v112
	s_delay_alu instid0(VALU_DEP_1) | instskip(NEXT) | instid1(VALU_DEP_1)
	v_mul_f32_e32 v0, v30, v0
	v_and_b32_e32 v1, 0x7f800000, v0
	s_delay_alu instid0(VALU_DEP_1) | instskip(SKIP_1) | instid1(SALU_CYCLE_1)
	v_cmp_ne_u32_e32 vcc_lo, 0x7f800000, v1
                                        ; implicit-def: $vgpr1
	s_and_saveexec_b32 s41, vcc_lo
	s_xor_b32 s41, exec_lo, s41
; %bb.4786:                             ;   in Loop: Header=BB12_4525 Depth=3
	v_bfe_u32 v1, v0, 16, 1
	s_delay_alu instid0(VALU_DEP_1)
	v_add3_u32 v1, v0, v1, 0x7fff
                                        ; implicit-def: $vgpr0
; %bb.4787:                             ;   in Loop: Header=BB12_4525 Depth=3
	s_and_not1_saveexec_b32 s41, s41
; %bb.4788:                             ;   in Loop: Header=BB12_4525 Depth=3
	v_and_b32_e32 v1, 0xffff, v0
	v_or_b32_e32 v6, 0x10000, v0
	s_delay_alu instid0(VALU_DEP_2) | instskip(NEXT) | instid1(VALU_DEP_2)
	v_cmp_eq_u32_e32 vcc_lo, 0, v1
	v_cndmask_b32_e32 v1, v6, v0, vcc_lo
; %bb.4789:                             ;   in Loop: Header=BB12_4525 Depth=3
	s_or_b32 exec_lo, exec_lo, s41
	v_and_b32_e32 v0, 0xffff0000, v112
	s_delay_alu instid0(VALU_DEP_1) | instskip(NEXT) | instid1(VALU_DEP_1)
	v_mul_f32_e32 v6, v30, v0
	v_and_b32_e32 v0, 0x7f800000, v6
	s_delay_alu instid0(VALU_DEP_1) | instskip(SKIP_1) | instid1(SALU_CYCLE_1)
	v_cmp_ne_u32_e32 vcc_lo, 0x7f800000, v0
                                        ; implicit-def: $vgpr0
	s_and_saveexec_b32 s41, vcc_lo
	s_xor_b32 s41, exec_lo, s41
; %bb.4790:                             ;   in Loop: Header=BB12_4525 Depth=3
	v_bfe_u32 v0, v6, 16, 1
	s_delay_alu instid0(VALU_DEP_1)
	v_add3_u32 v0, v6, v0, 0x7fff
                                        ; implicit-def: $vgpr6
; %bb.4791:                             ;   in Loop: Header=BB12_4525 Depth=3
	s_and_not1_saveexec_b32 s41, s41
; %bb.4792:                             ;   in Loop: Header=BB12_4525 Depth=3
	v_and_b32_e32 v0, 0xffff, v6
	v_or_b32_e32 v7, 0x10000, v6
	s_delay_alu instid0(VALU_DEP_2) | instskip(NEXT) | instid1(VALU_DEP_2)
	v_cmp_eq_u32_e32 vcc_lo, 0, v0
	v_cndmask_b32_e32 v0, v7, v6, vcc_lo
; %bb.4793:                             ;   in Loop: Header=BB12_4525 Depth=3
	s_or_b32 exec_lo, exec_lo, s41
	v_lshlrev_b32_e32 v6, 16, v113
	s_mov_b32 s41, exec_lo
                                        ; implicit-def: $vgpr107
	s_delay_alu instid0(VALU_DEP_1) | instskip(NEXT) | instid1(VALU_DEP_1)
	v_mul_f32_e32 v6, v30, v6
	v_and_b32_e32 v7, 0x7f800000, v6
	s_delay_alu instid0(VALU_DEP_1)
	v_cmpx_ne_u32_e32 0x7f800000, v7
	s_xor_b32 s41, exec_lo, s41
; %bb.4794:                             ;   in Loop: Header=BB12_4525 Depth=3
	v_bfe_u32 v7, v6, 16, 1
	s_delay_alu instid0(VALU_DEP_1)
	v_add3_u32 v107, v6, v7, 0x7fff
                                        ; implicit-def: $vgpr6
; %bb.4795:                             ;   in Loop: Header=BB12_4525 Depth=3
	s_and_not1_saveexec_b32 s41, s41
; %bb.4796:                             ;   in Loop: Header=BB12_4525 Depth=3
	v_and_b32_e32 v7, 0xffff, v6
	v_or_b32_e32 v29, 0x10000, v6
	s_delay_alu instid0(VALU_DEP_2) | instskip(NEXT) | instid1(VALU_DEP_2)
	v_cmp_eq_u32_e32 vcc_lo, 0, v7
	v_cndmask_b32_e32 v107, v29, v6, vcc_lo
; %bb.4797:                             ;   in Loop: Header=BB12_4525 Depth=3
	s_or_b32 exec_lo, exec_lo, s41
	v_and_b32_e32 v6, 0xffff0000, v113
	s_mov_b32 s41, exec_lo
                                        ; implicit-def: $vgpr44
	s_delay_alu instid0(VALU_DEP_1) | instskip(NEXT) | instid1(VALU_DEP_1)
	v_mul_f32_e32 v6, v30, v6
	v_and_b32_e32 v7, 0x7f800000, v6
	s_delay_alu instid0(VALU_DEP_1)
	v_cmpx_ne_u32_e32 0x7f800000, v7
	s_xor_b32 s41, exec_lo, s41
; %bb.4798:                             ;   in Loop: Header=BB12_4525 Depth=3
	v_bfe_u32 v7, v6, 16, 1
	s_delay_alu instid0(VALU_DEP_1)
	v_add3_u32 v44, v6, v7, 0x7fff
                                        ; implicit-def: $vgpr6
; %bb.4799:                             ;   in Loop: Header=BB12_4525 Depth=3
	s_and_not1_saveexec_b32 s41, s41
; %bb.4800:                             ;   in Loop: Header=BB12_4525 Depth=3
	v_and_b32_e32 v7, 0xffff, v6
	v_or_b32_e32 v29, 0x10000, v6
	s_delay_alu instid0(VALU_DEP_2) | instskip(NEXT) | instid1(VALU_DEP_2)
	v_cmp_eq_u32_e32 vcc_lo, 0, v7
	v_cndmask_b32_e32 v44, v29, v6, vcc_lo
; %bb.4801:                             ;   in Loop: Header=BB12_4525 Depth=3
	s_or_b32 exec_lo, exec_lo, s41
	v_lshlrev_b32_e32 v6, 16, v114
	s_mov_b32 s41, exec_lo
                                        ; implicit-def: $vgpr45
	s_delay_alu instid0(VALU_DEP_1) | instskip(NEXT) | instid1(VALU_DEP_1)
	v_mul_f32_e32 v6, v30, v6
	v_and_b32_e32 v7, 0x7f800000, v6
	s_delay_alu instid0(VALU_DEP_1)
	v_cmpx_ne_u32_e32 0x7f800000, v7
	s_xor_b32 s41, exec_lo, s41
; %bb.4802:                             ;   in Loop: Header=BB12_4525 Depth=3
	v_bfe_u32 v7, v6, 16, 1
	s_delay_alu instid0(VALU_DEP_1)
	v_add3_u32 v45, v6, v7, 0x7fff
                                        ; implicit-def: $vgpr6
; %bb.4803:                             ;   in Loop: Header=BB12_4525 Depth=3
	s_and_not1_saveexec_b32 s41, s41
; %bb.4804:                             ;   in Loop: Header=BB12_4525 Depth=3
	v_and_b32_e32 v7, 0xffff, v6
	v_or_b32_e32 v29, 0x10000, v6
	s_delay_alu instid0(VALU_DEP_2) | instskip(NEXT) | instid1(VALU_DEP_2)
	v_cmp_eq_u32_e32 vcc_lo, 0, v7
	v_cndmask_b32_e32 v45, v29, v6, vcc_lo
; %bb.4805:                             ;   in Loop: Header=BB12_4525 Depth=3
	s_or_b32 exec_lo, exec_lo, s41
	v_and_b32_e32 v6, 0xffff0000, v114
	s_delay_alu instid0(VALU_DEP_1) | instskip(NEXT) | instid1(VALU_DEP_1)
	v_mul_f32_e32 v7, v30, v6
	v_and_b32_e32 v6, 0x7f800000, v7
	s_delay_alu instid0(VALU_DEP_1) | instskip(SKIP_1) | instid1(SALU_CYCLE_1)
	v_cmp_ne_u32_e32 vcc_lo, 0x7f800000, v6
                                        ; implicit-def: $vgpr6
	s_and_saveexec_b32 s41, vcc_lo
	s_xor_b32 s41, exec_lo, s41
; %bb.4806:                             ;   in Loop: Header=BB12_4525 Depth=3
	v_bfe_u32 v6, v7, 16, 1
	s_delay_alu instid0(VALU_DEP_1)
	v_add3_u32 v6, v7, v6, 0x7fff
                                        ; implicit-def: $vgpr7
; %bb.4807:                             ;   in Loop: Header=BB12_4525 Depth=3
	s_and_not1_saveexec_b32 s41, s41
; %bb.4808:                             ;   in Loop: Header=BB12_4525 Depth=3
	v_and_b32_e32 v6, 0xffff, v7
	v_or_b32_e32 v29, 0x10000, v7
	s_delay_alu instid0(VALU_DEP_2) | instskip(NEXT) | instid1(VALU_DEP_2)
	v_cmp_eq_u32_e32 vcc_lo, 0, v6
	v_cndmask_b32_e32 v6, v29, v7, vcc_lo
; %bb.4809:                             ;   in Loop: Header=BB12_4525 Depth=3
	s_or_b32 exec_lo, exec_lo, s41
	v_lshlrev_b32_e32 v7, 16, v115
	s_delay_alu instid0(VALU_DEP_1) | instskip(NEXT) | instid1(VALU_DEP_1)
	v_mul_f32_e32 v29, v30, v7
	v_and_b32_e32 v7, 0x7f800000, v29
	s_delay_alu instid0(VALU_DEP_1) | instskip(SKIP_1) | instid1(SALU_CYCLE_1)
	v_cmp_ne_u32_e32 vcc_lo, 0x7f800000, v7
                                        ; implicit-def: $vgpr7
	s_and_saveexec_b32 s41, vcc_lo
	s_xor_b32 s41, exec_lo, s41
; %bb.4810:                             ;   in Loop: Header=BB12_4525 Depth=3
	v_bfe_u32 v7, v29, 16, 1
	s_delay_alu instid0(VALU_DEP_1)
	v_add3_u32 v7, v29, v7, 0x7fff
                                        ; implicit-def: $vgpr29
; %bb.4811:                             ;   in Loop: Header=BB12_4525 Depth=3
	s_and_not1_saveexec_b32 s41, s41
; %bb.4812:                             ;   in Loop: Header=BB12_4525 Depth=3
	v_and_b32_e32 v7, 0xffff, v29
	v_or_b32_e32 v112, 0x10000, v29
	s_delay_alu instid0(VALU_DEP_2) | instskip(NEXT) | instid1(VALU_DEP_2)
	v_cmp_eq_u32_e32 vcc_lo, 0, v7
	v_cndmask_b32_e32 v7, v112, v29, vcc_lo
; %bb.4813:                             ;   in Loop: Header=BB12_4525 Depth=3
	s_or_b32 exec_lo, exec_lo, s41
	v_and_b32_e32 v29, 0xffff0000, v115
	s_mov_b32 s41, exec_lo
                                        ; implicit-def: $vgpr46
	s_delay_alu instid0(VALU_DEP_1) | instskip(NEXT) | instid1(VALU_DEP_1)
	v_mul_f32_e32 v29, v30, v29
	v_and_b32_e32 v112, 0x7f800000, v29
	s_delay_alu instid0(VALU_DEP_1)
	v_cmpx_ne_u32_e32 0x7f800000, v112
	s_xor_b32 s41, exec_lo, s41
; %bb.4814:                             ;   in Loop: Header=BB12_4525 Depth=3
	v_bfe_u32 v112, v29, 16, 1
	s_delay_alu instid0(VALU_DEP_1)
	v_add3_u32 v46, v29, v112, 0x7fff
                                        ; implicit-def: $vgpr29
; %bb.4815:                             ;   in Loop: Header=BB12_4525 Depth=3
	s_and_not1_saveexec_b32 s41, s41
; %bb.4816:                             ;   in Loop: Header=BB12_4525 Depth=3
	v_and_b32_e32 v112, 0xffff, v29
	v_or_b32_e32 v113, 0x10000, v29
	s_delay_alu instid0(VALU_DEP_2) | instskip(NEXT) | instid1(VALU_DEP_2)
	v_cmp_eq_u32_e32 vcc_lo, 0, v112
	v_cndmask_b32_e32 v46, v113, v29, vcc_lo
; %bb.4817:                             ;   in Loop: Header=BB12_4525 Depth=3
	s_or_b32 exec_lo, exec_lo, s41
	s_wait_loadcnt 0x6
	v_lshlrev_b32_e32 v29, 16, v100
	s_mov_b32 s41, exec_lo
                                        ; implicit-def: $vgpr47
	s_delay_alu instid0(VALU_DEP_1) | instskip(NEXT) | instid1(VALU_DEP_1)
	v_mul_f32_e32 v29, v30, v29
	v_and_b32_e32 v112, 0x7f800000, v29
	s_delay_alu instid0(VALU_DEP_1)
	v_cmpx_ne_u32_e32 0x7f800000, v112
	s_xor_b32 s41, exec_lo, s41
; %bb.4818:                             ;   in Loop: Header=BB12_4525 Depth=3
	v_bfe_u32 v112, v29, 16, 1
	s_delay_alu instid0(VALU_DEP_1)
	v_add3_u32 v47, v29, v112, 0x7fff
                                        ; implicit-def: $vgpr29
; %bb.4819:                             ;   in Loop: Header=BB12_4525 Depth=3
	s_and_not1_saveexec_b32 s41, s41
; %bb.4820:                             ;   in Loop: Header=BB12_4525 Depth=3
	v_and_b32_e32 v112, 0xffff, v29
	v_or_b32_e32 v113, 0x10000, v29
	s_delay_alu instid0(VALU_DEP_2) | instskip(NEXT) | instid1(VALU_DEP_2)
	v_cmp_eq_u32_e32 vcc_lo, 0, v112
	v_cndmask_b32_e32 v47, v113, v29, vcc_lo
; %bb.4821:                             ;   in Loop: Header=BB12_4525 Depth=3
	s_or_b32 exec_lo, exec_lo, s41
	v_and_b32_e32 v29, 0xffff0000, v100
	s_mov_b32 s41, exec_lo
                                        ; implicit-def: $vgpr79
	s_delay_alu instid0(VALU_DEP_1) | instskip(NEXT) | instid1(VALU_DEP_1)
	v_mul_f32_e32 v29, v30, v29
	v_and_b32_e32 v100, 0x7f800000, v29
	s_delay_alu instid0(VALU_DEP_1)
	v_cmpx_ne_u32_e32 0x7f800000, v100
	s_xor_b32 s41, exec_lo, s41
; %bb.4822:                             ;   in Loop: Header=BB12_4525 Depth=3
	v_bfe_u32 v100, v29, 16, 1
	s_delay_alu instid0(VALU_DEP_1)
	v_add3_u32 v79, v29, v100, 0x7fff
                                        ; implicit-def: $vgpr29
; %bb.4823:                             ;   in Loop: Header=BB12_4525 Depth=3
	s_and_not1_saveexec_b32 s41, s41
; %bb.4824:                             ;   in Loop: Header=BB12_4525 Depth=3
	v_and_b32_e32 v100, 0xffff, v29
	v_or_b32_e32 v112, 0x10000, v29
	s_delay_alu instid0(VALU_DEP_2) | instskip(NEXT) | instid1(VALU_DEP_2)
	v_cmp_eq_u32_e32 vcc_lo, 0, v100
	v_cndmask_b32_e32 v79, v112, v29, vcc_lo
; %bb.4825:                             ;   in Loop: Header=BB12_4525 Depth=3
	s_or_b32 exec_lo, exec_lo, s41
	v_lshlrev_b32_e32 v29, 16, v101
	s_mov_b32 s41, exec_lo
                                        ; implicit-def: $vgpr106
	s_delay_alu instid0(VALU_DEP_1) | instskip(NEXT) | instid1(VALU_DEP_1)
	v_mul_f32_e32 v29, v30, v29
	v_and_b32_e32 v100, 0x7f800000, v29
	s_delay_alu instid0(VALU_DEP_1)
	v_cmpx_ne_u32_e32 0x7f800000, v100
	s_xor_b32 s41, exec_lo, s41
; %bb.4826:                             ;   in Loop: Header=BB12_4525 Depth=3
	v_bfe_u32 v100, v29, 16, 1
	s_delay_alu instid0(VALU_DEP_1)
	v_add3_u32 v106, v29, v100, 0x7fff
                                        ; implicit-def: $vgpr29
; %bb.4827:                             ;   in Loop: Header=BB12_4525 Depth=3
	s_and_not1_saveexec_b32 s41, s41
; %bb.4828:                             ;   in Loop: Header=BB12_4525 Depth=3
	v_and_b32_e32 v100, 0xffff, v29
	v_or_b32_e32 v112, 0x10000, v29
	s_delay_alu instid0(VALU_DEP_2) | instskip(NEXT) | instid1(VALU_DEP_2)
	v_cmp_eq_u32_e32 vcc_lo, 0, v100
	v_cndmask_b32_e32 v106, v112, v29, vcc_lo
; %bb.4829:                             ;   in Loop: Header=BB12_4525 Depth=3
	s_or_b32 exec_lo, exec_lo, s41
	v_and_b32_e32 v29, 0xffff0000, v101
	s_mov_b32 s41, exec_lo
                                        ; implicit-def: $vgpr77
	s_delay_alu instid0(VALU_DEP_1) | instskip(NEXT) | instid1(VALU_DEP_1)
	v_mul_f32_e32 v29, v30, v29
	v_and_b32_e32 v100, 0x7f800000, v29
	s_delay_alu instid0(VALU_DEP_1)
	v_cmpx_ne_u32_e32 0x7f800000, v100
	s_xor_b32 s41, exec_lo, s41
; %bb.4830:                             ;   in Loop: Header=BB12_4525 Depth=3
	v_bfe_u32 v100, v29, 16, 1
	s_delay_alu instid0(VALU_DEP_1)
	v_add3_u32 v77, v29, v100, 0x7fff
                                        ; implicit-def: $vgpr29
; %bb.4831:                             ;   in Loop: Header=BB12_4525 Depth=3
	s_and_not1_saveexec_b32 s41, s41
; %bb.4832:                             ;   in Loop: Header=BB12_4525 Depth=3
	v_and_b32_e32 v100, 0xffff, v29
	v_or_b32_e32 v101, 0x10000, v29
	s_delay_alu instid0(VALU_DEP_2) | instskip(NEXT) | instid1(VALU_DEP_2)
	v_cmp_eq_u32_e32 vcc_lo, 0, v100
	v_cndmask_b32_e32 v77, v101, v29, vcc_lo
; %bb.4833:                             ;   in Loop: Header=BB12_4525 Depth=3
	s_or_b32 exec_lo, exec_lo, s41
	v_lshlrev_b32_e32 v29, 16, v102
	s_mov_b32 s41, exec_lo
                                        ; implicit-def: $vgpr78
	s_delay_alu instid0(VALU_DEP_1) | instskip(NEXT) | instid1(VALU_DEP_1)
	v_mul_f32_e32 v29, v30, v29
	v_and_b32_e32 v100, 0x7f800000, v29
	s_delay_alu instid0(VALU_DEP_1)
	v_cmpx_ne_u32_e32 0x7f800000, v100
	s_xor_b32 s41, exec_lo, s41
; %bb.4834:                             ;   in Loop: Header=BB12_4525 Depth=3
	v_bfe_u32 v100, v29, 16, 1
	s_delay_alu instid0(VALU_DEP_1)
	v_add3_u32 v78, v29, v100, 0x7fff
                                        ; implicit-def: $vgpr29
; %bb.4835:                             ;   in Loop: Header=BB12_4525 Depth=3
	s_and_not1_saveexec_b32 s41, s41
; %bb.4836:                             ;   in Loop: Header=BB12_4525 Depth=3
	v_and_b32_e32 v100, 0xffff, v29
	v_or_b32_e32 v101, 0x10000, v29
	s_delay_alu instid0(VALU_DEP_2) | instskip(NEXT) | instid1(VALU_DEP_2)
	v_cmp_eq_u32_e32 vcc_lo, 0, v100
	v_cndmask_b32_e32 v78, v101, v29, vcc_lo
; %bb.4837:                             ;   in Loop: Header=BB12_4525 Depth=3
	s_or_b32 exec_lo, exec_lo, s41
	v_and_b32_e32 v29, 0xffff0000, v102
	s_mov_b32 s41, exec_lo
                                        ; implicit-def: $vgpr75
	s_delay_alu instid0(VALU_DEP_1) | instskip(NEXT) | instid1(VALU_DEP_1)
	v_mul_f32_e32 v29, v30, v29
	v_and_b32_e32 v100, 0x7f800000, v29
	s_delay_alu instid0(VALU_DEP_1)
	v_cmpx_ne_u32_e32 0x7f800000, v100
	s_xor_b32 s41, exec_lo, s41
; %bb.4838:                             ;   in Loop: Header=BB12_4525 Depth=3
	v_bfe_u32 v100, v29, 16, 1
	s_delay_alu instid0(VALU_DEP_1)
	v_add3_u32 v75, v29, v100, 0x7fff
                                        ; implicit-def: $vgpr29
; %bb.4839:                             ;   in Loop: Header=BB12_4525 Depth=3
	s_and_not1_saveexec_b32 s41, s41
; %bb.4840:                             ;   in Loop: Header=BB12_4525 Depth=3
	v_and_b32_e32 v100, 0xffff, v29
	v_or_b32_e32 v101, 0x10000, v29
	s_delay_alu instid0(VALU_DEP_2) | instskip(NEXT) | instid1(VALU_DEP_2)
	v_cmp_eq_u32_e32 vcc_lo, 0, v100
	v_cndmask_b32_e32 v75, v101, v29, vcc_lo
; %bb.4841:                             ;   in Loop: Header=BB12_4525 Depth=3
	s_or_b32 exec_lo, exec_lo, s41
	v_lshlrev_b32_e32 v29, 16, v103
	s_mov_b32 s41, exec_lo
                                        ; implicit-def: $vgpr76
	s_delay_alu instid0(VALU_DEP_1) | instskip(NEXT) | instid1(VALU_DEP_1)
	v_mul_f32_e32 v29, v30, v29
	v_and_b32_e32 v100, 0x7f800000, v29
	s_delay_alu instid0(VALU_DEP_1)
	v_cmpx_ne_u32_e32 0x7f800000, v100
	s_xor_b32 s41, exec_lo, s41
; %bb.4842:                             ;   in Loop: Header=BB12_4525 Depth=3
	v_bfe_u32 v100, v29, 16, 1
	s_delay_alu instid0(VALU_DEP_1)
	v_add3_u32 v76, v29, v100, 0x7fff
                                        ; implicit-def: $vgpr29
; %bb.4843:                             ;   in Loop: Header=BB12_4525 Depth=3
	s_and_not1_saveexec_b32 s41, s41
; %bb.4844:                             ;   in Loop: Header=BB12_4525 Depth=3
	v_and_b32_e32 v100, 0xffff, v29
	v_or_b32_e32 v101, 0x10000, v29
	s_delay_alu instid0(VALU_DEP_2) | instskip(NEXT) | instid1(VALU_DEP_2)
	v_cmp_eq_u32_e32 vcc_lo, 0, v100
	v_cndmask_b32_e32 v76, v101, v29, vcc_lo
; %bb.4845:                             ;   in Loop: Header=BB12_4525 Depth=3
	s_or_b32 exec_lo, exec_lo, s41
	v_and_b32_e32 v29, 0xffff0000, v103
	s_mov_b32 s41, exec_lo
                                        ; implicit-def: $vgpr42
	s_delay_alu instid0(VALU_DEP_1) | instskip(NEXT) | instid1(VALU_DEP_1)
	v_mul_f32_e32 v29, v30, v29
	v_and_b32_e32 v100, 0x7f800000, v29
	s_delay_alu instid0(VALU_DEP_1)
	v_cmpx_ne_u32_e32 0x7f800000, v100
	s_xor_b32 s41, exec_lo, s41
; %bb.4846:                             ;   in Loop: Header=BB12_4525 Depth=3
	v_bfe_u32 v100, v29, 16, 1
	s_delay_alu instid0(VALU_DEP_1)
	v_add3_u32 v42, v29, v100, 0x7fff
                                        ; implicit-def: $vgpr29
; %bb.4847:                             ;   in Loop: Header=BB12_4525 Depth=3
	s_and_not1_saveexec_b32 s41, s41
; %bb.4848:                             ;   in Loop: Header=BB12_4525 Depth=3
	v_and_b32_e32 v100, 0xffff, v29
	v_or_b32_e32 v101, 0x10000, v29
	s_delay_alu instid0(VALU_DEP_2) | instskip(NEXT) | instid1(VALU_DEP_2)
	v_cmp_eq_u32_e32 vcc_lo, 0, v100
	v_cndmask_b32_e32 v42, v101, v29, vcc_lo
; %bb.4849:                             ;   in Loop: Header=BB12_4525 Depth=3
	s_or_b32 exec_lo, exec_lo, s41
	s_wait_loadcnt 0x5
	v_lshlrev_b32_e32 v29, 16, v84
	s_mov_b32 s41, exec_lo
                                        ; implicit-def: $vgpr43
	s_delay_alu instid0(VALU_DEP_1) | instskip(NEXT) | instid1(VALU_DEP_1)
	v_mul_f32_e32 v29, v30, v29
	v_and_b32_e32 v100, 0x7f800000, v29
	s_delay_alu instid0(VALU_DEP_1)
	v_cmpx_ne_u32_e32 0x7f800000, v100
	s_xor_b32 s41, exec_lo, s41
; %bb.4850:                             ;   in Loop: Header=BB12_4525 Depth=3
	v_bfe_u32 v100, v29, 16, 1
	s_delay_alu instid0(VALU_DEP_1)
	v_add3_u32 v43, v29, v100, 0x7fff
                                        ; implicit-def: $vgpr29
; %bb.4851:                             ;   in Loop: Header=BB12_4525 Depth=3
	s_and_not1_saveexec_b32 s41, s41
; %bb.4852:                             ;   in Loop: Header=BB12_4525 Depth=3
	v_and_b32_e32 v100, 0xffff, v29
	v_or_b32_e32 v101, 0x10000, v29
	s_delay_alu instid0(VALU_DEP_2) | instskip(NEXT) | instid1(VALU_DEP_2)
	v_cmp_eq_u32_e32 vcc_lo, 0, v100
	v_cndmask_b32_e32 v43, v101, v29, vcc_lo
; %bb.4853:                             ;   in Loop: Header=BB12_4525 Depth=3
	s_or_b32 exec_lo, exec_lo, s41
	v_and_b32_e32 v29, 0xffff0000, v84
	s_mov_b32 s41, exec_lo
                                        ; implicit-def: $vgpr114
	s_delay_alu instid0(VALU_DEP_1) | instskip(NEXT) | instid1(VALU_DEP_1)
	v_mul_f32_e32 v29, v30, v29
	v_and_b32_e32 v84, 0x7f800000, v29
	s_delay_alu instid0(VALU_DEP_1)
	v_cmpx_ne_u32_e32 0x7f800000, v84
	s_xor_b32 s41, exec_lo, s41
; %bb.4854:                             ;   in Loop: Header=BB12_4525 Depth=3
	v_bfe_u32 v84, v29, 16, 1
	s_delay_alu instid0(VALU_DEP_1)
	v_add3_u32 v114, v29, v84, 0x7fff
                                        ; implicit-def: $vgpr29
; %bb.4855:                             ;   in Loop: Header=BB12_4525 Depth=3
	s_and_not1_saveexec_b32 s41, s41
; %bb.4856:                             ;   in Loop: Header=BB12_4525 Depth=3
	v_and_b32_e32 v84, 0xffff, v29
	v_or_b32_e32 v100, 0x10000, v29
	s_delay_alu instid0(VALU_DEP_2) | instskip(NEXT) | instid1(VALU_DEP_2)
	v_cmp_eq_u32_e32 vcc_lo, 0, v84
	v_cndmask_b32_e32 v114, v100, v29, vcc_lo
; %bb.4857:                             ;   in Loop: Header=BB12_4525 Depth=3
	s_or_b32 exec_lo, exec_lo, s41
	v_lshlrev_b32_e32 v29, 16, v85
	s_mov_b32 s41, exec_lo
                                        ; implicit-def: $vgpr115
	s_delay_alu instid0(VALU_DEP_1) | instskip(NEXT) | instid1(VALU_DEP_1)
	v_mul_f32_e32 v29, v30, v29
	v_and_b32_e32 v84, 0x7f800000, v29
	s_delay_alu instid0(VALU_DEP_1)
	v_cmpx_ne_u32_e32 0x7f800000, v84
	s_xor_b32 s41, exec_lo, s41
; %bb.4858:                             ;   in Loop: Header=BB12_4525 Depth=3
	v_bfe_u32 v84, v29, 16, 1
	s_delay_alu instid0(VALU_DEP_1)
	v_add3_u32 v115, v29, v84, 0x7fff
                                        ; implicit-def: $vgpr29
; %bb.4859:                             ;   in Loop: Header=BB12_4525 Depth=3
	s_and_not1_saveexec_b32 s41, s41
; %bb.4860:                             ;   in Loop: Header=BB12_4525 Depth=3
	v_and_b32_e32 v84, 0xffff, v29
	v_or_b32_e32 v100, 0x10000, v29
	s_delay_alu instid0(VALU_DEP_2) | instskip(NEXT) | instid1(VALU_DEP_2)
	v_cmp_eq_u32_e32 vcc_lo, 0, v84
	v_cndmask_b32_e32 v115, v100, v29, vcc_lo
; %bb.4861:                             ;   in Loop: Header=BB12_4525 Depth=3
	s_or_b32 exec_lo, exec_lo, s41
	v_and_b32_e32 v29, 0xffff0000, v85
	s_mov_b32 s41, exec_lo
                                        ; implicit-def: $vgpr112
	s_delay_alu instid0(VALU_DEP_1) | instskip(NEXT) | instid1(VALU_DEP_1)
	v_mul_f32_e32 v29, v30, v29
	v_and_b32_e32 v84, 0x7f800000, v29
	s_delay_alu instid0(VALU_DEP_1)
	v_cmpx_ne_u32_e32 0x7f800000, v84
	s_xor_b32 s41, exec_lo, s41
; %bb.4862:                             ;   in Loop: Header=BB12_4525 Depth=3
	v_bfe_u32 v84, v29, 16, 1
	s_delay_alu instid0(VALU_DEP_1)
	v_add3_u32 v112, v29, v84, 0x7fff
                                        ; implicit-def: $vgpr29
; %bb.4863:                             ;   in Loop: Header=BB12_4525 Depth=3
	s_and_not1_saveexec_b32 s41, s41
; %bb.4864:                             ;   in Loop: Header=BB12_4525 Depth=3
	v_and_b32_e32 v84, 0xffff, v29
	v_or_b32_e32 v85, 0x10000, v29
	s_delay_alu instid0(VALU_DEP_2) | instskip(NEXT) | instid1(VALU_DEP_2)
	v_cmp_eq_u32_e32 vcc_lo, 0, v84
	v_cndmask_b32_e32 v112, v85, v29, vcc_lo
; %bb.4865:                             ;   in Loop: Header=BB12_4525 Depth=3
	s_or_b32 exec_lo, exec_lo, s41
	v_lshlrev_b32_e32 v29, 16, v86
	s_mov_b32 s41, exec_lo
                                        ; implicit-def: $vgpr113
	s_delay_alu instid0(VALU_DEP_1) | instskip(NEXT) | instid1(VALU_DEP_1)
	v_mul_f32_e32 v29, v30, v29
	v_and_b32_e32 v84, 0x7f800000, v29
	s_delay_alu instid0(VALU_DEP_1)
	v_cmpx_ne_u32_e32 0x7f800000, v84
	s_xor_b32 s41, exec_lo, s41
; %bb.4866:                             ;   in Loop: Header=BB12_4525 Depth=3
	v_bfe_u32 v84, v29, 16, 1
	s_delay_alu instid0(VALU_DEP_1)
	v_add3_u32 v113, v29, v84, 0x7fff
                                        ; implicit-def: $vgpr29
; %bb.4867:                             ;   in Loop: Header=BB12_4525 Depth=3
	s_and_not1_saveexec_b32 s41, s41
; %bb.4868:                             ;   in Loop: Header=BB12_4525 Depth=3
	v_and_b32_e32 v84, 0xffff, v29
	v_or_b32_e32 v85, 0x10000, v29
	s_delay_alu instid0(VALU_DEP_2) | instskip(NEXT) | instid1(VALU_DEP_2)
	v_cmp_eq_u32_e32 vcc_lo, 0, v84
	v_cndmask_b32_e32 v113, v85, v29, vcc_lo
; %bb.4869:                             ;   in Loop: Header=BB12_4525 Depth=3
	s_or_b32 exec_lo, exec_lo, s41
	v_and_b32_e32 v29, 0xffff0000, v86
	s_mov_b32 s41, exec_lo
                                        ; implicit-def: $vgpr102
	s_delay_alu instid0(VALU_DEP_1) | instskip(NEXT) | instid1(VALU_DEP_1)
	v_mul_f32_e32 v29, v30, v29
	v_and_b32_e32 v84, 0x7f800000, v29
	s_delay_alu instid0(VALU_DEP_1)
	v_cmpx_ne_u32_e32 0x7f800000, v84
	s_xor_b32 s41, exec_lo, s41
; %bb.4870:                             ;   in Loop: Header=BB12_4525 Depth=3
	v_bfe_u32 v84, v29, 16, 1
	s_delay_alu instid0(VALU_DEP_1)
	v_add3_u32 v102, v29, v84, 0x7fff
                                        ; implicit-def: $vgpr29
; %bb.4871:                             ;   in Loop: Header=BB12_4525 Depth=3
	s_and_not1_saveexec_b32 s41, s41
; %bb.4872:                             ;   in Loop: Header=BB12_4525 Depth=3
	v_and_b32_e32 v84, 0xffff, v29
	v_or_b32_e32 v85, 0x10000, v29
	s_delay_alu instid0(VALU_DEP_2) | instskip(NEXT) | instid1(VALU_DEP_2)
	v_cmp_eq_u32_e32 vcc_lo, 0, v84
	v_cndmask_b32_e32 v102, v85, v29, vcc_lo
; %bb.4873:                             ;   in Loop: Header=BB12_4525 Depth=3
	s_or_b32 exec_lo, exec_lo, s41
	v_lshlrev_b32_e32 v29, 16, v87
	s_mov_b32 s41, exec_lo
                                        ; implicit-def: $vgpr103
	s_delay_alu instid0(VALU_DEP_1) | instskip(NEXT) | instid1(VALU_DEP_1)
	v_mul_f32_e32 v29, v30, v29
	v_and_b32_e32 v84, 0x7f800000, v29
	s_delay_alu instid0(VALU_DEP_1)
	v_cmpx_ne_u32_e32 0x7f800000, v84
	s_xor_b32 s41, exec_lo, s41
; %bb.4874:                             ;   in Loop: Header=BB12_4525 Depth=3
	v_bfe_u32 v84, v29, 16, 1
	s_delay_alu instid0(VALU_DEP_1)
	v_add3_u32 v103, v29, v84, 0x7fff
                                        ; implicit-def: $vgpr29
; %bb.4875:                             ;   in Loop: Header=BB12_4525 Depth=3
	s_and_not1_saveexec_b32 s41, s41
; %bb.4876:                             ;   in Loop: Header=BB12_4525 Depth=3
	v_and_b32_e32 v84, 0xffff, v29
	v_or_b32_e32 v85, 0x10000, v29
	s_delay_alu instid0(VALU_DEP_2) | instskip(NEXT) | instid1(VALU_DEP_2)
	v_cmp_eq_u32_e32 vcc_lo, 0, v84
	v_cndmask_b32_e32 v103, v85, v29, vcc_lo
; %bb.4877:                             ;   in Loop: Header=BB12_4525 Depth=3
	s_or_b32 exec_lo, exec_lo, s41
	v_and_b32_e32 v29, 0xffff0000, v87
	s_mov_b32 s41, exec_lo
                                        ; implicit-def: $vgpr100
	s_delay_alu instid0(VALU_DEP_1) | instskip(NEXT) | instid1(VALU_DEP_1)
	v_mul_f32_e32 v29, v30, v29
	v_and_b32_e32 v84, 0x7f800000, v29
	s_delay_alu instid0(VALU_DEP_1)
	v_cmpx_ne_u32_e32 0x7f800000, v84
	s_xor_b32 s41, exec_lo, s41
; %bb.4878:                             ;   in Loop: Header=BB12_4525 Depth=3
	v_bfe_u32 v84, v29, 16, 1
	s_delay_alu instid0(VALU_DEP_1)
	v_add3_u32 v100, v29, v84, 0x7fff
                                        ; implicit-def: $vgpr29
; %bb.4879:                             ;   in Loop: Header=BB12_4525 Depth=3
	s_and_not1_saveexec_b32 s41, s41
; %bb.4880:                             ;   in Loop: Header=BB12_4525 Depth=3
	v_and_b32_e32 v84, 0xffff, v29
	v_or_b32_e32 v85, 0x10000, v29
	s_delay_alu instid0(VALU_DEP_2) | instskip(NEXT) | instid1(VALU_DEP_2)
	v_cmp_eq_u32_e32 vcc_lo, 0, v84
	v_cndmask_b32_e32 v100, v85, v29, vcc_lo
; %bb.4881:                             ;   in Loop: Header=BB12_4525 Depth=3
	s_or_b32 exec_lo, exec_lo, s41
	s_wait_loadcnt 0x4
	v_lshlrev_b32_e32 v29, 16, v80
	s_mov_b32 s41, exec_lo
                                        ; implicit-def: $vgpr101
	s_delay_alu instid0(VALU_DEP_1) | instskip(NEXT) | instid1(VALU_DEP_1)
	v_mul_f32_e32 v29, v30, v29
	v_and_b32_e32 v84, 0x7f800000, v29
	s_delay_alu instid0(VALU_DEP_1)
	v_cmpx_ne_u32_e32 0x7f800000, v84
	s_xor_b32 s41, exec_lo, s41
; %bb.4882:                             ;   in Loop: Header=BB12_4525 Depth=3
	v_bfe_u32 v84, v29, 16, 1
	s_delay_alu instid0(VALU_DEP_1)
	v_add3_u32 v101, v29, v84, 0x7fff
                                        ; implicit-def: $vgpr29
; %bb.4883:                             ;   in Loop: Header=BB12_4525 Depth=3
	s_and_not1_saveexec_b32 s41, s41
; %bb.4884:                             ;   in Loop: Header=BB12_4525 Depth=3
	v_and_b32_e32 v84, 0xffff, v29
	v_or_b32_e32 v85, 0x10000, v29
	s_delay_alu instid0(VALU_DEP_2) | instskip(NEXT) | instid1(VALU_DEP_2)
	v_cmp_eq_u32_e32 vcc_lo, 0, v84
	v_cndmask_b32_e32 v101, v85, v29, vcc_lo
; %bb.4885:                             ;   in Loop: Header=BB12_4525 Depth=3
	s_or_b32 exec_lo, exec_lo, s41
	v_and_b32_e32 v29, 0xffff0000, v80
	s_mov_b32 s41, exec_lo
                                        ; implicit-def: $vgpr86
	s_delay_alu instid0(VALU_DEP_1) | instskip(NEXT) | instid1(VALU_DEP_1)
	v_mul_f32_e32 v29, v30, v29
	v_and_b32_e32 v80, 0x7f800000, v29
	s_delay_alu instid0(VALU_DEP_1)
	v_cmpx_ne_u32_e32 0x7f800000, v80
	s_xor_b32 s41, exec_lo, s41
; %bb.4886:                             ;   in Loop: Header=BB12_4525 Depth=3
	v_bfe_u32 v80, v29, 16, 1
	s_delay_alu instid0(VALU_DEP_1)
	v_add3_u32 v86, v29, v80, 0x7fff
                                        ; implicit-def: $vgpr29
; %bb.4887:                             ;   in Loop: Header=BB12_4525 Depth=3
	s_and_not1_saveexec_b32 s41, s41
; %bb.4888:                             ;   in Loop: Header=BB12_4525 Depth=3
	v_and_b32_e32 v80, 0xffff, v29
	v_or_b32_e32 v84, 0x10000, v29
	s_delay_alu instid0(VALU_DEP_2) | instskip(NEXT) | instid1(VALU_DEP_2)
	v_cmp_eq_u32_e32 vcc_lo, 0, v80
	v_cndmask_b32_e32 v86, v84, v29, vcc_lo
; %bb.4889:                             ;   in Loop: Header=BB12_4525 Depth=3
	s_or_b32 exec_lo, exec_lo, s41
	v_lshlrev_b32_e32 v29, 16, v81
	s_mov_b32 s41, exec_lo
                                        ; implicit-def: $vgpr87
	s_delay_alu instid0(VALU_DEP_1) | instskip(NEXT) | instid1(VALU_DEP_1)
	v_mul_f32_e32 v29, v30, v29
	v_and_b32_e32 v80, 0x7f800000, v29
	s_delay_alu instid0(VALU_DEP_1)
	v_cmpx_ne_u32_e32 0x7f800000, v80
	s_xor_b32 s41, exec_lo, s41
; %bb.4890:                             ;   in Loop: Header=BB12_4525 Depth=3
	v_bfe_u32 v80, v29, 16, 1
	s_delay_alu instid0(VALU_DEP_1)
	v_add3_u32 v87, v29, v80, 0x7fff
                                        ; implicit-def: $vgpr29
; %bb.4891:                             ;   in Loop: Header=BB12_4525 Depth=3
	s_and_not1_saveexec_b32 s41, s41
; %bb.4892:                             ;   in Loop: Header=BB12_4525 Depth=3
	v_and_b32_e32 v80, 0xffff, v29
	v_or_b32_e32 v84, 0x10000, v29
	s_delay_alu instid0(VALU_DEP_2) | instskip(NEXT) | instid1(VALU_DEP_2)
	v_cmp_eq_u32_e32 vcc_lo, 0, v80
	v_cndmask_b32_e32 v87, v84, v29, vcc_lo
; %bb.4893:                             ;   in Loop: Header=BB12_4525 Depth=3
	s_or_b32 exec_lo, exec_lo, s41
	v_and_b32_e32 v29, 0xffff0000, v81
	s_mov_b32 s41, exec_lo
                                        ; implicit-def: $vgpr84
	s_delay_alu instid0(VALU_DEP_1) | instskip(NEXT) | instid1(VALU_DEP_1)
	v_mul_f32_e32 v29, v30, v29
	v_and_b32_e32 v80, 0x7f800000, v29
	s_delay_alu instid0(VALU_DEP_1)
	v_cmpx_ne_u32_e32 0x7f800000, v80
	s_xor_b32 s41, exec_lo, s41
; %bb.4894:                             ;   in Loop: Header=BB12_4525 Depth=3
	v_bfe_u32 v80, v29, 16, 1
	s_delay_alu instid0(VALU_DEP_1)
	v_add3_u32 v84, v29, v80, 0x7fff
                                        ; implicit-def: $vgpr29
; %bb.4895:                             ;   in Loop: Header=BB12_4525 Depth=3
	s_and_not1_saveexec_b32 s41, s41
; %bb.4896:                             ;   in Loop: Header=BB12_4525 Depth=3
	v_and_b32_e32 v80, 0xffff, v29
	v_or_b32_e32 v81, 0x10000, v29
	s_delay_alu instid0(VALU_DEP_2) | instskip(NEXT) | instid1(VALU_DEP_2)
	v_cmp_eq_u32_e32 vcc_lo, 0, v80
	v_cndmask_b32_e32 v84, v81, v29, vcc_lo
; %bb.4897:                             ;   in Loop: Header=BB12_4525 Depth=3
	s_or_b32 exec_lo, exec_lo, s41
	v_lshlrev_b32_e32 v29, 16, v82
	s_mov_b32 s41, exec_lo
                                        ; implicit-def: $vgpr85
	s_delay_alu instid0(VALU_DEP_1) | instskip(NEXT) | instid1(VALU_DEP_1)
	v_mul_f32_e32 v29, v30, v29
	v_and_b32_e32 v80, 0x7f800000, v29
	s_delay_alu instid0(VALU_DEP_1)
	v_cmpx_ne_u32_e32 0x7f800000, v80
	s_xor_b32 s41, exec_lo, s41
; %bb.4898:                             ;   in Loop: Header=BB12_4525 Depth=3
	v_bfe_u32 v80, v29, 16, 1
	s_delay_alu instid0(VALU_DEP_1)
	v_add3_u32 v85, v29, v80, 0x7fff
                                        ; implicit-def: $vgpr29
; %bb.4899:                             ;   in Loop: Header=BB12_4525 Depth=3
	s_and_not1_saveexec_b32 s41, s41
; %bb.4900:                             ;   in Loop: Header=BB12_4525 Depth=3
	v_and_b32_e32 v80, 0xffff, v29
	v_or_b32_e32 v81, 0x10000, v29
	s_delay_alu instid0(VALU_DEP_2) | instskip(NEXT) | instid1(VALU_DEP_2)
	v_cmp_eq_u32_e32 vcc_lo, 0, v80
	v_cndmask_b32_e32 v85, v81, v29, vcc_lo
; %bb.4901:                             ;   in Loop: Header=BB12_4525 Depth=3
	s_or_b32 exec_lo, exec_lo, s41
	v_and_b32_e32 v29, 0xffff0000, v82
	s_delay_alu instid0(VALU_DEP_1) | instskip(NEXT) | instid1(VALU_DEP_1)
	v_mul_f32_e32 v29, v30, v29
	v_and_b32_e32 v80, 0x7f800000, v29
	s_delay_alu instid0(VALU_DEP_1) | instskip(SKIP_1) | instid1(SALU_CYCLE_1)
	v_cmp_ne_u32_e32 vcc_lo, 0x7f800000, v80
                                        ; implicit-def: $vgpr80
	s_and_saveexec_b32 s41, vcc_lo
	s_xor_b32 s41, exec_lo, s41
; %bb.4902:                             ;   in Loop: Header=BB12_4525 Depth=3
	v_bfe_u32 v80, v29, 16, 1
	s_delay_alu instid0(VALU_DEP_1)
	v_add3_u32 v80, v29, v80, 0x7fff
                                        ; implicit-def: $vgpr29
; %bb.4903:                             ;   in Loop: Header=BB12_4525 Depth=3
	s_and_not1_saveexec_b32 s41, s41
; %bb.4904:                             ;   in Loop: Header=BB12_4525 Depth=3
	v_and_b32_e32 v80, 0xffff, v29
	v_or_b32_e32 v81, 0x10000, v29
	s_delay_alu instid0(VALU_DEP_2) | instskip(NEXT) | instid1(VALU_DEP_2)
	v_cmp_eq_u32_e32 vcc_lo, 0, v80
	v_cndmask_b32_e32 v80, v81, v29, vcc_lo
; %bb.4905:                             ;   in Loop: Header=BB12_4525 Depth=3
	s_or_b32 exec_lo, exec_lo, s41
	v_lshlrev_b32_e32 v29, 16, v83
	s_delay_alu instid0(VALU_DEP_1) | instskip(NEXT) | instid1(VALU_DEP_1)
	v_mul_f32_e32 v29, v30, v29
	v_and_b32_e32 v81, 0x7f800000, v29
	s_delay_alu instid0(VALU_DEP_1) | instskip(SKIP_1) | instid1(SALU_CYCLE_1)
	v_cmp_ne_u32_e32 vcc_lo, 0x7f800000, v81
                                        ; implicit-def: $vgpr81
	s_and_saveexec_b32 s41, vcc_lo
	s_xor_b32 s41, exec_lo, s41
; %bb.4906:                             ;   in Loop: Header=BB12_4525 Depth=3
	v_bfe_u32 v81, v29, 16, 1
	s_delay_alu instid0(VALU_DEP_1)
	v_add3_u32 v81, v29, v81, 0x7fff
                                        ; implicit-def: $vgpr29
; %bb.4907:                             ;   in Loop: Header=BB12_4525 Depth=3
	s_and_not1_saveexec_b32 s41, s41
; %bb.4908:                             ;   in Loop: Header=BB12_4525 Depth=3
	v_and_b32_e32 v81, 0xffff, v29
	v_or_b32_e32 v82, 0x10000, v29
	s_delay_alu instid0(VALU_DEP_2) | instskip(NEXT) | instid1(VALU_DEP_2)
	v_cmp_eq_u32_e32 vcc_lo, 0, v81
	v_cndmask_b32_e32 v81, v82, v29, vcc_lo
; %bb.4909:                             ;   in Loop: Header=BB12_4525 Depth=3
	s_or_b32 exec_lo, exec_lo, s41
	v_and_b32_e32 v29, 0xffff0000, v83
	s_delay_alu instid0(VALU_DEP_1) | instskip(NEXT) | instid1(VALU_DEP_1)
	v_mul_f32_e32 v82, v30, v29
	v_and_b32_e32 v29, 0x7f800000, v82
	s_delay_alu instid0(VALU_DEP_1) | instskip(SKIP_1) | instid1(SALU_CYCLE_1)
	v_cmp_ne_u32_e32 vcc_lo, 0x7f800000, v29
                                        ; implicit-def: $vgpr29
	s_and_saveexec_b32 s41, vcc_lo
	s_xor_b32 s41, exec_lo, s41
; %bb.4910:                             ;   in Loop: Header=BB12_4525 Depth=3
	v_bfe_u32 v29, v82, 16, 1
	s_delay_alu instid0(VALU_DEP_1)
	v_add3_u32 v29, v82, v29, 0x7fff
                                        ; implicit-def: $vgpr82
; %bb.4911:                             ;   in Loop: Header=BB12_4525 Depth=3
	s_and_not1_saveexec_b32 s41, s41
; %bb.4912:                             ;   in Loop: Header=BB12_4525 Depth=3
	v_and_b32_e32 v29, 0xffff, v82
	v_or_b32_e32 v83, 0x10000, v82
	s_delay_alu instid0(VALU_DEP_2) | instskip(NEXT) | instid1(VALU_DEP_2)
	v_cmp_eq_u32_e32 vcc_lo, 0, v29
	v_cndmask_b32_e32 v29, v83, v82, vcc_lo
; %bb.4913:                             ;   in Loop: Header=BB12_4525 Depth=3
	s_or_b32 exec_lo, exec_lo, s41
	v_and_b32_e32 v1, 0xffff0000, v1
	s_wait_loadcnt 0x3
	v_lshlrev_b32_e32 v82, 16, v64
	s_delay_alu instid0(VALU_DEP_1) | instskip(NEXT) | instid1(VALU_DEP_1)
	v_add_f32_e32 v82, v82, v1
	v_and_b32_e32 v1, 0x7f800000, v82
	s_delay_alu instid0(VALU_DEP_1) | instskip(SKIP_1) | instid1(SALU_CYCLE_1)
	v_cmp_ne_u32_e32 vcc_lo, 0x7f800000, v1
                                        ; implicit-def: $vgpr1
	s_and_saveexec_b32 s41, vcc_lo
	s_xor_b32 s41, exec_lo, s41
; %bb.4914:                             ;   in Loop: Header=BB12_4525 Depth=3
	v_bfe_u32 v1, v82, 16, 1
	s_delay_alu instid0(VALU_DEP_1)
	v_add3_u32 v1, v82, v1, 0x7fff
                                        ; implicit-def: $vgpr82
; %bb.4915:                             ;   in Loop: Header=BB12_4525 Depth=3
	s_and_not1_saveexec_b32 s41, s41
; %bb.4916:                             ;   in Loop: Header=BB12_4525 Depth=3
	v_and_b32_e32 v1, 0xffff, v82
	v_or_b32_e32 v83, 0x10000, v82
	s_delay_alu instid0(VALU_DEP_2) | instskip(NEXT) | instid1(VALU_DEP_2)
	v_cmp_eq_u32_e32 vcc_lo, 0, v1
	v_cndmask_b32_e32 v1, v83, v82, vcc_lo
; %bb.4917:                             ;   in Loop: Header=BB12_4525 Depth=3
	s_or_b32 exec_lo, exec_lo, s41
	v_and_b32_e32 v64, 0xffff0000, v64
	v_and_b32_e32 v0, 0xffff0000, v0
	s_delay_alu instid0(VALU_DEP_1) | instskip(NEXT) | instid1(VALU_DEP_1)
	v_add_f32_e32 v0, v64, v0
	v_and_b32_e32 v64, 0x7f800000, v0
	s_delay_alu instid0(VALU_DEP_1) | instskip(SKIP_1) | instid1(SALU_CYCLE_1)
	v_cmp_ne_u32_e32 vcc_lo, 0x7f800000, v64
                                        ; implicit-def: $vgpr64
	s_and_saveexec_b32 s41, vcc_lo
	s_xor_b32 s41, exec_lo, s41
; %bb.4918:                             ;   in Loop: Header=BB12_4525 Depth=3
	v_bfe_u32 v64, v0, 16, 1
	s_delay_alu instid0(VALU_DEP_1)
	v_add3_u32 v64, v0, v64, 0x7fff
                                        ; implicit-def: $vgpr0
; %bb.4919:                             ;   in Loop: Header=BB12_4525 Depth=3
	s_and_not1_saveexec_b32 s41, s41
; %bb.4920:                             ;   in Loop: Header=BB12_4525 Depth=3
	v_and_b32_e32 v64, 0xffff, v0
	v_or_b32_e32 v82, 0x10000, v0
	s_delay_alu instid0(VALU_DEP_2) | instskip(NEXT) | instid1(VALU_DEP_2)
	v_cmp_eq_u32_e32 vcc_lo, 0, v64
	v_cndmask_b32_e32 v64, v82, v0, vcc_lo
; %bb.4921:                             ;   in Loop: Header=BB12_4525 Depth=3
	s_or_b32 exec_lo, exec_lo, s41
	v_and_b32_e32 v0, 0xffff0000, v107
	v_lshlrev_b32_e32 v82, 16, v65
	s_delay_alu instid0(VALU_DEP_1) | instskip(NEXT) | instid1(VALU_DEP_1)
	v_add_f32_e32 v82, v82, v0
	v_and_b32_e32 v0, 0x7f800000, v82
	s_delay_alu instid0(VALU_DEP_1) | instskip(SKIP_1) | instid1(SALU_CYCLE_1)
	v_cmp_ne_u32_e32 vcc_lo, 0x7f800000, v0
                                        ; implicit-def: $vgpr0
	s_and_saveexec_b32 s41, vcc_lo
	s_xor_b32 s41, exec_lo, s41
; %bb.4922:                             ;   in Loop: Header=BB12_4525 Depth=3
	v_bfe_u32 v0, v82, 16, 1
	s_delay_alu instid0(VALU_DEP_1)
	v_add3_u32 v0, v82, v0, 0x7fff
                                        ; implicit-def: $vgpr82
; %bb.4923:                             ;   in Loop: Header=BB12_4525 Depth=3
	s_and_not1_saveexec_b32 s41, s41
; %bb.4924:                             ;   in Loop: Header=BB12_4525 Depth=3
	v_and_b32_e32 v0, 0xffff, v82
	v_or_b32_e32 v83, 0x10000, v82
	s_delay_alu instid0(VALU_DEP_2) | instskip(NEXT) | instid1(VALU_DEP_2)
	v_cmp_eq_u32_e32 vcc_lo, 0, v0
	v_cndmask_b32_e32 v0, v83, v82, vcc_lo
; %bb.4925:                             ;   in Loop: Header=BB12_4525 Depth=3
	s_or_b32 exec_lo, exec_lo, s41
	v_and_b32_e32 v65, 0xffff0000, v65
	v_and_b32_e32 v82, 0xffff0000, v44
	s_delay_alu instid0(VALU_DEP_1) | instskip(NEXT) | instid1(VALU_DEP_1)
	v_add_f32_e32 v82, v65, v82
	v_and_b32_e32 v65, 0x7f800000, v82
	s_delay_alu instid0(VALU_DEP_1) | instskip(SKIP_1) | instid1(SALU_CYCLE_1)
	v_cmp_ne_u32_e32 vcc_lo, 0x7f800000, v65
                                        ; implicit-def: $vgpr65
	s_and_saveexec_b32 s41, vcc_lo
	s_xor_b32 s41, exec_lo, s41
; %bb.4926:                             ;   in Loop: Header=BB12_4525 Depth=3
	v_bfe_u32 v65, v82, 16, 1
	s_delay_alu instid0(VALU_DEP_1)
	v_add3_u32 v65, v82, v65, 0x7fff
                                        ; implicit-def: $vgpr82
; %bb.4927:                             ;   in Loop: Header=BB12_4525 Depth=3
	s_and_not1_saveexec_b32 s41, s41
; %bb.4928:                             ;   in Loop: Header=BB12_4525 Depth=3
	v_and_b32_e32 v65, 0xffff, v82
	v_or_b32_e32 v83, 0x10000, v82
	s_delay_alu instid0(VALU_DEP_2) | instskip(NEXT) | instid1(VALU_DEP_2)
	v_cmp_eq_u32_e32 vcc_lo, 0, v65
	v_cndmask_b32_e32 v65, v83, v82, vcc_lo
; %bb.4929:                             ;   in Loop: Header=BB12_4525 Depth=3
	s_or_b32 exec_lo, exec_lo, s41
	v_and_b32_e32 v82, 0xffff0000, v45
	v_lshlrev_b32_e32 v83, 16, v66
	s_delay_alu instid0(VALU_DEP_1) | instskip(NEXT) | instid1(VALU_DEP_1)
	v_add_f32_e32 v83, v83, v82
	v_and_b32_e32 v82, 0x7f800000, v83
	s_delay_alu instid0(VALU_DEP_1) | instskip(SKIP_1) | instid1(SALU_CYCLE_1)
	v_cmp_ne_u32_e32 vcc_lo, 0x7f800000, v82
                                        ; implicit-def: $vgpr82
	s_and_saveexec_b32 s41, vcc_lo
	s_xor_b32 s41, exec_lo, s41
; %bb.4930:                             ;   in Loop: Header=BB12_4525 Depth=3
	v_bfe_u32 v82, v83, 16, 1
	s_delay_alu instid0(VALU_DEP_1)
	v_add3_u32 v82, v83, v82, 0x7fff
                                        ; implicit-def: $vgpr83
; %bb.4931:                             ;   in Loop: Header=BB12_4525 Depth=3
	s_and_not1_saveexec_b32 s41, s41
; %bb.4932:                             ;   in Loop: Header=BB12_4525 Depth=3
	v_and_b32_e32 v82, 0xffff, v83
	v_or_b32_e32 v44, 0x10000, v83
	s_delay_alu instid0(VALU_DEP_2) | instskip(NEXT) | instid1(VALU_DEP_2)
	v_cmp_eq_u32_e32 vcc_lo, 0, v82
	v_cndmask_b32_e32 v82, v44, v83, vcc_lo
; %bb.4933:                             ;   in Loop: Header=BB12_4525 Depth=3
	s_or_b32 exec_lo, exec_lo, s41
	v_and_b32_e32 v66, 0xffff0000, v66
	v_and_b32_e32 v6, 0xffff0000, v6
	s_delay_alu instid0(VALU_DEP_1) | instskip(NEXT) | instid1(VALU_DEP_1)
	v_add_f32_e32 v66, v66, v6
	v_and_b32_e32 v6, 0x7f800000, v66
	s_delay_alu instid0(VALU_DEP_1) | instskip(SKIP_1) | instid1(SALU_CYCLE_1)
	v_cmp_ne_u32_e32 vcc_lo, 0x7f800000, v6
                                        ; implicit-def: $vgpr6
	s_and_saveexec_b32 s41, vcc_lo
	s_xor_b32 s41, exec_lo, s41
; %bb.4934:                             ;   in Loop: Header=BB12_4525 Depth=3
	v_bfe_u32 v6, v66, 16, 1
	s_delay_alu instid0(VALU_DEP_1)
	v_add3_u32 v6, v66, v6, 0x7fff
                                        ; implicit-def: $vgpr66
; %bb.4935:                             ;   in Loop: Header=BB12_4525 Depth=3
	s_and_not1_saveexec_b32 s41, s41
; %bb.4936:                             ;   in Loop: Header=BB12_4525 Depth=3
	v_and_b32_e32 v6, 0xffff, v66
	v_or_b32_e32 v83, 0x10000, v66
	s_delay_alu instid0(VALU_DEP_2) | instskip(NEXT) | instid1(VALU_DEP_2)
	v_cmp_eq_u32_e32 vcc_lo, 0, v6
	v_cndmask_b32_e32 v6, v83, v66, vcc_lo
; %bb.4937:                             ;   in Loop: Header=BB12_4525 Depth=3
	s_or_b32 exec_lo, exec_lo, s41
	v_and_b32_e32 v7, 0xffff0000, v7
	v_lshlrev_b32_e32 v66, 16, v67
	s_delay_alu instid0(VALU_DEP_1) | instskip(NEXT) | instid1(VALU_DEP_1)
	v_add_f32_e32 v66, v66, v7
	v_and_b32_e32 v7, 0x7f800000, v66
	s_delay_alu instid0(VALU_DEP_1) | instskip(SKIP_1) | instid1(SALU_CYCLE_1)
	v_cmp_ne_u32_e32 vcc_lo, 0x7f800000, v7
                                        ; implicit-def: $vgpr7
	s_and_saveexec_b32 s41, vcc_lo
	s_xor_b32 s41, exec_lo, s41
; %bb.4938:                             ;   in Loop: Header=BB12_4525 Depth=3
	v_bfe_u32 v7, v66, 16, 1
	s_delay_alu instid0(VALU_DEP_1)
	v_add3_u32 v7, v66, v7, 0x7fff
                                        ; implicit-def: $vgpr66
; %bb.4939:                             ;   in Loop: Header=BB12_4525 Depth=3
	s_and_not1_saveexec_b32 s41, s41
; %bb.4940:                             ;   in Loop: Header=BB12_4525 Depth=3
	v_and_b32_e32 v7, 0xffff, v66
	v_or_b32_e32 v83, 0x10000, v66
	s_delay_alu instid0(VALU_DEP_2) | instskip(NEXT) | instid1(VALU_DEP_2)
	v_cmp_eq_u32_e32 vcc_lo, 0, v7
	v_cndmask_b32_e32 v7, v83, v66, vcc_lo
; %bb.4941:                             ;   in Loop: Header=BB12_4525 Depth=3
	s_or_b32 exec_lo, exec_lo, s41
	v_and_b32_e32 v66, 0xffff0000, v67
	v_and_b32_e32 v67, 0xffff0000, v46
	s_delay_alu instid0(VALU_DEP_1) | instskip(NEXT) | instid1(VALU_DEP_1)
	v_add_f32_e32 v67, v66, v67
	v_and_b32_e32 v66, 0x7f800000, v67
	s_delay_alu instid0(VALU_DEP_1) | instskip(SKIP_1) | instid1(SALU_CYCLE_1)
	v_cmp_ne_u32_e32 vcc_lo, 0x7f800000, v66
                                        ; implicit-def: $vgpr66
	s_and_saveexec_b32 s41, vcc_lo
	s_xor_b32 s41, exec_lo, s41
; %bb.4942:                             ;   in Loop: Header=BB12_4525 Depth=3
	v_bfe_u32 v66, v67, 16, 1
	s_delay_alu instid0(VALU_DEP_1)
	v_add3_u32 v66, v67, v66, 0x7fff
                                        ; implicit-def: $vgpr67
; %bb.4943:                             ;   in Loop: Header=BB12_4525 Depth=3
	s_and_not1_saveexec_b32 s41, s41
; %bb.4944:                             ;   in Loop: Header=BB12_4525 Depth=3
	v_and_b32_e32 v66, 0xffff, v67
	v_or_b32_e32 v83, 0x10000, v67
	s_delay_alu instid0(VALU_DEP_2) | instskip(NEXT) | instid1(VALU_DEP_2)
	v_cmp_eq_u32_e32 vcc_lo, 0, v66
	v_cndmask_b32_e32 v66, v83, v67, vcc_lo
; %bb.4945:                             ;   in Loop: Header=BB12_4525 Depth=3
	s_or_b32 exec_lo, exec_lo, s41
	v_and_b32_e32 v67, 0xffff0000, v47
	s_wait_loadcnt 0x2
	v_lshlrev_b32_e32 v83, 16, v52
	s_delay_alu instid0(VALU_DEP_1) | instskip(NEXT) | instid1(VALU_DEP_1)
	v_add_f32_e32 v83, v83, v67
	v_and_b32_e32 v67, 0x7f800000, v83
	s_delay_alu instid0(VALU_DEP_1) | instskip(SKIP_1) | instid1(SALU_CYCLE_1)
	v_cmp_ne_u32_e32 vcc_lo, 0x7f800000, v67
                                        ; implicit-def: $vgpr67
	s_and_saveexec_b32 s41, vcc_lo
	s_xor_b32 s41, exec_lo, s41
; %bb.4946:                             ;   in Loop: Header=BB12_4525 Depth=3
	v_bfe_u32 v67, v83, 16, 1
	s_delay_alu instid0(VALU_DEP_1)
	v_add3_u32 v67, v83, v67, 0x7fff
                                        ; implicit-def: $vgpr83
; %bb.4947:                             ;   in Loop: Header=BB12_4525 Depth=3
	s_and_not1_saveexec_b32 s41, s41
; %bb.4948:                             ;   in Loop: Header=BB12_4525 Depth=3
	v_and_b32_e32 v67, 0xffff, v83
	v_or_b32_e32 v44, 0x10000, v83
	s_delay_alu instid0(VALU_DEP_2) | instskip(NEXT) | instid1(VALU_DEP_2)
	v_cmp_eq_u32_e32 vcc_lo, 0, v67
	v_cndmask_b32_e32 v67, v44, v83, vcc_lo
; %bb.4949:                             ;   in Loop: Header=BB12_4525 Depth=3
	s_or_b32 exec_lo, exec_lo, s41
	v_and_b32_e32 v52, 0xffff0000, v52
	v_and_b32_e32 v83, 0xffff0000, v79
	s_delay_alu instid0(VALU_DEP_1) | instskip(NEXT) | instid1(VALU_DEP_1)
	v_add_f32_e32 v83, v52, v83
	v_and_b32_e32 v52, 0x7f800000, v83
	s_delay_alu instid0(VALU_DEP_1) | instskip(SKIP_1) | instid1(SALU_CYCLE_1)
	v_cmp_ne_u32_e32 vcc_lo, 0x7f800000, v52
                                        ; implicit-def: $vgpr52
	s_and_saveexec_b32 s41, vcc_lo
	s_xor_b32 s41, exec_lo, s41
; %bb.4950:                             ;   in Loop: Header=BB12_4525 Depth=3
	v_bfe_u32 v52, v83, 16, 1
	s_delay_alu instid0(VALU_DEP_1)
	v_add3_u32 v52, v83, v52, 0x7fff
                                        ; implicit-def: $vgpr83
; %bb.4951:                             ;   in Loop: Header=BB12_4525 Depth=3
	s_and_not1_saveexec_b32 s41, s41
; %bb.4952:                             ;   in Loop: Header=BB12_4525 Depth=3
	v_and_b32_e32 v52, 0xffff, v83
	v_or_b32_e32 v44, 0x10000, v83
	s_delay_alu instid0(VALU_DEP_2) | instskip(NEXT) | instid1(VALU_DEP_2)
	v_cmp_eq_u32_e32 vcc_lo, 0, v52
	v_cndmask_b32_e32 v52, v44, v83, vcc_lo
; %bb.4953:                             ;   in Loop: Header=BB12_4525 Depth=3
	s_or_b32 exec_lo, exec_lo, s41
	v_and_b32_e32 v83, 0xffff0000, v106
	v_lshlrev_b32_e32 v44, 16, v53
	s_delay_alu instid0(VALU_DEP_1) | instskip(NEXT) | instid1(VALU_DEP_1)
	v_add_f32_e32 v44, v44, v83
	v_and_b32_e32 v83, 0x7f800000, v44
	s_delay_alu instid0(VALU_DEP_1) | instskip(SKIP_1) | instid1(SALU_CYCLE_1)
	v_cmp_ne_u32_e32 vcc_lo, 0x7f800000, v83
                                        ; implicit-def: $vgpr83
	s_and_saveexec_b32 s41, vcc_lo
	s_xor_b32 s41, exec_lo, s41
; %bb.4954:                             ;   in Loop: Header=BB12_4525 Depth=3
	v_bfe_u32 v83, v44, 16, 1
	s_delay_alu instid0(VALU_DEP_1)
	v_add3_u32 v83, v44, v83, 0x7fff
                                        ; implicit-def: $vgpr44
; %bb.4955:                             ;   in Loop: Header=BB12_4525 Depth=3
	s_and_not1_saveexec_b32 s41, s41
; %bb.4956:                             ;   in Loop: Header=BB12_4525 Depth=3
	v_and_b32_e32 v83, 0xffff, v44
	v_or_b32_e32 v45, 0x10000, v44
	s_delay_alu instid0(VALU_DEP_2) | instskip(NEXT) | instid1(VALU_DEP_2)
	v_cmp_eq_u32_e32 vcc_lo, 0, v83
	v_cndmask_b32_e32 v83, v45, v44, vcc_lo
; %bb.4957:                             ;   in Loop: Header=BB12_4525 Depth=3
	s_or_b32 exec_lo, exec_lo, s41
	v_and_b32_e32 v53, 0xffff0000, v53
	v_and_b32_e32 v44, 0xffff0000, v77
	s_delay_alu instid0(VALU_DEP_1) | instskip(NEXT) | instid1(VALU_DEP_1)
	v_add_f32_e32 v44, v53, v44
	v_and_b32_e32 v53, 0x7f800000, v44
	s_delay_alu instid0(VALU_DEP_1) | instskip(SKIP_1) | instid1(SALU_CYCLE_1)
	v_cmp_ne_u32_e32 vcc_lo, 0x7f800000, v53
                                        ; implicit-def: $vgpr53
	s_and_saveexec_b32 s41, vcc_lo
	s_xor_b32 s41, exec_lo, s41
; %bb.4958:                             ;   in Loop: Header=BB12_4525 Depth=3
	v_bfe_u32 v53, v44, 16, 1
	s_delay_alu instid0(VALU_DEP_1)
	v_add3_u32 v53, v44, v53, 0x7fff
                                        ; implicit-def: $vgpr44
; %bb.4959:                             ;   in Loop: Header=BB12_4525 Depth=3
	s_and_not1_saveexec_b32 s41, s41
; %bb.4960:                             ;   in Loop: Header=BB12_4525 Depth=3
	v_and_b32_e32 v53, 0xffff, v44
	v_or_b32_e32 v45, 0x10000, v44
	s_delay_alu instid0(VALU_DEP_2) | instskip(NEXT) | instid1(VALU_DEP_2)
	v_cmp_eq_u32_e32 vcc_lo, 0, v53
	v_cndmask_b32_e32 v53, v45, v44, vcc_lo
; %bb.4961:                             ;   in Loop: Header=BB12_4525 Depth=3
	s_or_b32 exec_lo, exec_lo, s41
	v_and_b32_e32 v44, 0xffff0000, v78
	v_lshlrev_b32_e32 v45, 16, v54
	s_delay_alu instid0(VALU_DEP_1) | instskip(NEXT) | instid1(VALU_DEP_1)
	v_add_f32_e32 v45, v45, v44
	v_and_b32_e32 v44, 0x7f800000, v45
	s_delay_alu instid0(VALU_DEP_1) | instskip(SKIP_1) | instid1(SALU_CYCLE_1)
	v_cmp_ne_u32_e32 vcc_lo, 0x7f800000, v44
                                        ; implicit-def: $vgpr44
	s_and_saveexec_b32 s41, vcc_lo
	s_xor_b32 s41, exec_lo, s41
; %bb.4962:                             ;   in Loop: Header=BB12_4525 Depth=3
	v_bfe_u32 v44, v45, 16, 1
	s_delay_alu instid0(VALU_DEP_1)
	v_add3_u32 v44, v45, v44, 0x7fff
                                        ; implicit-def: $vgpr45
; %bb.4963:                             ;   in Loop: Header=BB12_4525 Depth=3
	s_and_not1_saveexec_b32 s41, s41
; %bb.4964:                             ;   in Loop: Header=BB12_4525 Depth=3
	v_and_b32_e32 v44, 0xffff, v45
	v_or_b32_e32 v46, 0x10000, v45
	s_delay_alu instid0(VALU_DEP_2) | instskip(NEXT) | instid1(VALU_DEP_2)
	v_cmp_eq_u32_e32 vcc_lo, 0, v44
	v_cndmask_b32_e32 v44, v46, v45, vcc_lo
; %bb.4965:                             ;   in Loop: Header=BB12_4525 Depth=3
	s_or_b32 exec_lo, exec_lo, s41
	v_and_b32_e32 v54, 0xffff0000, v54
	v_and_b32_e32 v45, 0xffff0000, v75
	s_delay_alu instid0(VALU_DEP_1) | instskip(NEXT) | instid1(VALU_DEP_1)
	v_add_f32_e32 v45, v54, v45
	v_and_b32_e32 v54, 0x7f800000, v45
	s_delay_alu instid0(VALU_DEP_1) | instskip(SKIP_1) | instid1(SALU_CYCLE_1)
	v_cmp_ne_u32_e32 vcc_lo, 0x7f800000, v54
                                        ; implicit-def: $vgpr54
	s_and_saveexec_b32 s41, vcc_lo
	s_xor_b32 s41, exec_lo, s41
; %bb.4966:                             ;   in Loop: Header=BB12_4525 Depth=3
	v_bfe_u32 v54, v45, 16, 1
	s_delay_alu instid0(VALU_DEP_1)
	v_add3_u32 v54, v45, v54, 0x7fff
                                        ; implicit-def: $vgpr45
; %bb.4967:                             ;   in Loop: Header=BB12_4525 Depth=3
	s_and_not1_saveexec_b32 s41, s41
; %bb.4968:                             ;   in Loop: Header=BB12_4525 Depth=3
	v_and_b32_e32 v54, 0xffff, v45
	v_or_b32_e32 v46, 0x10000, v45
	s_delay_alu instid0(VALU_DEP_2) | instskip(NEXT) | instid1(VALU_DEP_2)
	v_cmp_eq_u32_e32 vcc_lo, 0, v54
	v_cndmask_b32_e32 v54, v46, v45, vcc_lo
; %bb.4969:                             ;   in Loop: Header=BB12_4525 Depth=3
	s_or_b32 exec_lo, exec_lo, s41
	v_and_b32_e32 v45, 0xffff0000, v76
	v_lshlrev_b32_e32 v46, 16, v55
	s_delay_alu instid0(VALU_DEP_1) | instskip(NEXT) | instid1(VALU_DEP_1)
	v_add_f32_e32 v46, v46, v45
	v_and_b32_e32 v45, 0x7f800000, v46
	s_delay_alu instid0(VALU_DEP_1) | instskip(SKIP_1) | instid1(SALU_CYCLE_1)
	v_cmp_ne_u32_e32 vcc_lo, 0x7f800000, v45
                                        ; implicit-def: $vgpr45
	s_and_saveexec_b32 s41, vcc_lo
	s_xor_b32 s41, exec_lo, s41
; %bb.4970:                             ;   in Loop: Header=BB12_4525 Depth=3
	v_bfe_u32 v45, v46, 16, 1
	s_delay_alu instid0(VALU_DEP_1)
	v_add3_u32 v45, v46, v45, 0x7fff
                                        ; implicit-def: $vgpr46
; %bb.4971:                             ;   in Loop: Header=BB12_4525 Depth=3
	s_and_not1_saveexec_b32 s41, s41
; %bb.4972:                             ;   in Loop: Header=BB12_4525 Depth=3
	v_and_b32_e32 v45, 0xffff, v46
	v_or_b32_e32 v47, 0x10000, v46
	s_delay_alu instid0(VALU_DEP_2) | instskip(NEXT) | instid1(VALU_DEP_2)
	v_cmp_eq_u32_e32 vcc_lo, 0, v45
	v_cndmask_b32_e32 v45, v47, v46, vcc_lo
; %bb.4973:                             ;   in Loop: Header=BB12_4525 Depth=3
	s_or_b32 exec_lo, exec_lo, s41
	v_and_b32_e32 v55, 0xffff0000, v55
	v_and_b32_e32 v42, 0xffff0000, v42
	s_delay_alu instid0(VALU_DEP_1) | instskip(NEXT) | instid1(VALU_DEP_1)
	v_add_f32_e32 v42, v55, v42
	v_and_b32_e32 v55, 0x7f800000, v42
	s_delay_alu instid0(VALU_DEP_1) | instskip(SKIP_1) | instid1(SALU_CYCLE_1)
	v_cmp_ne_u32_e32 vcc_lo, 0x7f800000, v55
                                        ; implicit-def: $vgpr55
	s_and_saveexec_b32 s41, vcc_lo
	s_xor_b32 s41, exec_lo, s41
; %bb.4974:                             ;   in Loop: Header=BB12_4525 Depth=3
	v_bfe_u32 v55, v42, 16, 1
	s_delay_alu instid0(VALU_DEP_1)
	v_add3_u32 v55, v42, v55, 0x7fff
                                        ; implicit-def: $vgpr42
; %bb.4975:                             ;   in Loop: Header=BB12_4525 Depth=3
	s_and_not1_saveexec_b32 s41, s41
; %bb.4976:                             ;   in Loop: Header=BB12_4525 Depth=3
	v_and_b32_e32 v55, 0xffff, v42
	v_or_b32_e32 v46, 0x10000, v42
	s_delay_alu instid0(VALU_DEP_2) | instskip(NEXT) | instid1(VALU_DEP_2)
	v_cmp_eq_u32_e32 vcc_lo, 0, v55
	v_cndmask_b32_e32 v55, v46, v42, vcc_lo
; %bb.4977:                             ;   in Loop: Header=BB12_4525 Depth=3
	s_or_b32 exec_lo, exec_lo, s41
	v_and_b32_e32 v42, 0xffff0000, v43
	s_wait_loadcnt 0x1
	v_lshlrev_b32_e32 v43, 16, v36
	s_delay_alu instid0(VALU_DEP_1) | instskip(NEXT) | instid1(VALU_DEP_1)
	v_add_f32_e32 v43, v43, v42
	v_and_b32_e32 v42, 0x7f800000, v43
	s_delay_alu instid0(VALU_DEP_1) | instskip(SKIP_1) | instid1(SALU_CYCLE_1)
	v_cmp_ne_u32_e32 vcc_lo, 0x7f800000, v42
                                        ; implicit-def: $vgpr42
	s_and_saveexec_b32 s41, vcc_lo
	s_xor_b32 s41, exec_lo, s41
; %bb.4978:                             ;   in Loop: Header=BB12_4525 Depth=3
	v_bfe_u32 v42, v43, 16, 1
	s_delay_alu instid0(VALU_DEP_1)
	v_add3_u32 v42, v43, v42, 0x7fff
                                        ; implicit-def: $vgpr43
; %bb.4979:                             ;   in Loop: Header=BB12_4525 Depth=3
	s_and_not1_saveexec_b32 s41, s41
; %bb.4980:                             ;   in Loop: Header=BB12_4525 Depth=3
	v_and_b32_e32 v42, 0xffff, v43
	v_or_b32_e32 v46, 0x10000, v43
	s_delay_alu instid0(VALU_DEP_2) | instskip(NEXT) | instid1(VALU_DEP_2)
	v_cmp_eq_u32_e32 vcc_lo, 0, v42
	v_cndmask_b32_e32 v42, v46, v43, vcc_lo
; %bb.4981:                             ;   in Loop: Header=BB12_4525 Depth=3
	s_or_b32 exec_lo, exec_lo, s41
	v_and_b32_e32 v36, 0xffff0000, v36
	v_and_b32_e32 v114, 0xffff0000, v114
	s_delay_alu instid0(VALU_DEP_1) | instskip(NEXT) | instid1(VALU_DEP_1)
	v_add_f32_e32 v114, v36, v114
	v_and_b32_e32 v36, 0x7f800000, v114
	s_delay_alu instid0(VALU_DEP_1) | instskip(SKIP_1) | instid1(SALU_CYCLE_1)
	v_cmp_ne_u32_e32 vcc_lo, 0x7f800000, v36
                                        ; implicit-def: $vgpr36
	s_and_saveexec_b32 s41, vcc_lo
	s_xor_b32 s41, exec_lo, s41
; %bb.4982:                             ;   in Loop: Header=BB12_4525 Depth=3
	v_bfe_u32 v36, v114, 16, 1
	s_delay_alu instid0(VALU_DEP_1)
	v_add3_u32 v36, v114, v36, 0x7fff
                                        ; implicit-def: $vgpr114
; %bb.4983:                             ;   in Loop: Header=BB12_4525 Depth=3
	s_and_not1_saveexec_b32 s41, s41
; %bb.4984:                             ;   in Loop: Header=BB12_4525 Depth=3
	v_and_b32_e32 v36, 0xffff, v114
	v_or_b32_e32 v43, 0x10000, v114
	s_delay_alu instid0(VALU_DEP_2) | instskip(NEXT) | instid1(VALU_DEP_2)
	v_cmp_eq_u32_e32 vcc_lo, 0, v36
	v_cndmask_b32_e32 v36, v43, v114, vcc_lo
; %bb.4985:                             ;   in Loop: Header=BB12_4525 Depth=3
	s_or_b32 exec_lo, exec_lo, s41
	v_and_b32_e32 v114, 0xffff0000, v115
	v_lshlrev_b32_e32 v115, 16, v37
	s_delay_alu instid0(VALU_DEP_1) | instskip(NEXT) | instid1(VALU_DEP_1)
	v_add_f32_e32 v115, v115, v114
	v_and_b32_e32 v114, 0x7f800000, v115
	s_delay_alu instid0(VALU_DEP_1) | instskip(SKIP_1) | instid1(SALU_CYCLE_1)
	v_cmp_ne_u32_e32 vcc_lo, 0x7f800000, v114
                                        ; implicit-def: $vgpr114
	s_and_saveexec_b32 s41, vcc_lo
	s_xor_b32 s41, exec_lo, s41
; %bb.4986:                             ;   in Loop: Header=BB12_4525 Depth=3
	v_bfe_u32 v114, v115, 16, 1
	s_delay_alu instid0(VALU_DEP_1)
	v_add3_u32 v114, v115, v114, 0x7fff
                                        ; implicit-def: $vgpr115
; %bb.4987:                             ;   in Loop: Header=BB12_4525 Depth=3
	s_and_not1_saveexec_b32 s41, s41
; %bb.4988:                             ;   in Loop: Header=BB12_4525 Depth=3
	v_and_b32_e32 v114, 0xffff, v115
	v_or_b32_e32 v43, 0x10000, v115
	s_delay_alu instid0(VALU_DEP_2) | instskip(NEXT) | instid1(VALU_DEP_2)
	v_cmp_eq_u32_e32 vcc_lo, 0, v114
	v_cndmask_b32_e32 v114, v43, v115, vcc_lo
; %bb.4989:                             ;   in Loop: Header=BB12_4525 Depth=3
	s_or_b32 exec_lo, exec_lo, s41
	v_and_b32_e32 v37, 0xffff0000, v37
	v_and_b32_e32 v112, 0xffff0000, v112
	s_delay_alu instid0(VALU_DEP_1) | instskip(NEXT) | instid1(VALU_DEP_1)
	v_add_f32_e32 v112, v37, v112
	v_and_b32_e32 v37, 0x7f800000, v112
	s_delay_alu instid0(VALU_DEP_1) | instskip(SKIP_1) | instid1(SALU_CYCLE_1)
	v_cmp_ne_u32_e32 vcc_lo, 0x7f800000, v37
                                        ; implicit-def: $vgpr37
	s_and_saveexec_b32 s41, vcc_lo
	s_xor_b32 s41, exec_lo, s41
; %bb.4990:                             ;   in Loop: Header=BB12_4525 Depth=3
	v_bfe_u32 v37, v112, 16, 1
	s_delay_alu instid0(VALU_DEP_1)
	v_add3_u32 v37, v112, v37, 0x7fff
                                        ; implicit-def: $vgpr112
; %bb.4991:                             ;   in Loop: Header=BB12_4525 Depth=3
	s_and_not1_saveexec_b32 s41, s41
; %bb.4992:                             ;   in Loop: Header=BB12_4525 Depth=3
	v_and_b32_e32 v37, 0xffff, v112
	v_or_b32_e32 v115, 0x10000, v112
	s_delay_alu instid0(VALU_DEP_2) | instskip(NEXT) | instid1(VALU_DEP_2)
	v_cmp_eq_u32_e32 vcc_lo, 0, v37
	v_cndmask_b32_e32 v37, v115, v112, vcc_lo
; %bb.4993:                             ;   in Loop: Header=BB12_4525 Depth=3
	s_or_b32 exec_lo, exec_lo, s41
	v_and_b32_e32 v112, 0xffff0000, v113
	v_lshlrev_b32_e32 v113, 16, v38
	s_delay_alu instid0(VALU_DEP_1) | instskip(NEXT) | instid1(VALU_DEP_1)
	v_add_f32_e32 v113, v113, v112
	v_and_b32_e32 v112, 0x7f800000, v113
	s_delay_alu instid0(VALU_DEP_1) | instskip(SKIP_1) | instid1(SALU_CYCLE_1)
	v_cmp_ne_u32_e32 vcc_lo, 0x7f800000, v112
                                        ; implicit-def: $vgpr112
	s_and_saveexec_b32 s41, vcc_lo
	s_xor_b32 s41, exec_lo, s41
; %bb.4994:                             ;   in Loop: Header=BB12_4525 Depth=3
	v_bfe_u32 v112, v113, 16, 1
	s_delay_alu instid0(VALU_DEP_1)
	v_add3_u32 v112, v113, v112, 0x7fff
                                        ; implicit-def: $vgpr113
; %bb.4995:                             ;   in Loop: Header=BB12_4525 Depth=3
	s_and_not1_saveexec_b32 s41, s41
; %bb.4996:                             ;   in Loop: Header=BB12_4525 Depth=3
	v_and_b32_e32 v112, 0xffff, v113
	v_or_b32_e32 v115, 0x10000, v113
	s_delay_alu instid0(VALU_DEP_2) | instskip(NEXT) | instid1(VALU_DEP_2)
	v_cmp_eq_u32_e32 vcc_lo, 0, v112
	v_cndmask_b32_e32 v112, v115, v113, vcc_lo
; %bb.4997:                             ;   in Loop: Header=BB12_4525 Depth=3
	s_or_b32 exec_lo, exec_lo, s41
	v_and_b32_e32 v38, 0xffff0000, v38
	v_and_b32_e32 v102, 0xffff0000, v102
	s_delay_alu instid0(VALU_DEP_1) | instskip(NEXT) | instid1(VALU_DEP_1)
	v_add_f32_e32 v102, v38, v102
	v_and_b32_e32 v38, 0x7f800000, v102
	s_delay_alu instid0(VALU_DEP_1) | instskip(SKIP_1) | instid1(SALU_CYCLE_1)
	v_cmp_ne_u32_e32 vcc_lo, 0x7f800000, v38
                                        ; implicit-def: $vgpr38
	s_and_saveexec_b32 s41, vcc_lo
	s_xor_b32 s41, exec_lo, s41
; %bb.4998:                             ;   in Loop: Header=BB12_4525 Depth=3
	v_bfe_u32 v38, v102, 16, 1
	s_delay_alu instid0(VALU_DEP_1)
	v_add3_u32 v38, v102, v38, 0x7fff
                                        ; implicit-def: $vgpr102
; %bb.4999:                             ;   in Loop: Header=BB12_4525 Depth=3
	s_and_not1_saveexec_b32 s41, s41
; %bb.5000:                             ;   in Loop: Header=BB12_4525 Depth=3
	v_and_b32_e32 v38, 0xffff, v102
	v_or_b32_e32 v113, 0x10000, v102
	s_delay_alu instid0(VALU_DEP_2) | instskip(NEXT) | instid1(VALU_DEP_2)
	v_cmp_eq_u32_e32 vcc_lo, 0, v38
	v_cndmask_b32_e32 v38, v113, v102, vcc_lo
; %bb.5001:                             ;   in Loop: Header=BB12_4525 Depth=3
	s_or_b32 exec_lo, exec_lo, s41
	v_and_b32_e32 v102, 0xffff0000, v103
	v_lshlrev_b32_e32 v103, 16, v39
	s_delay_alu instid0(VALU_DEP_1) | instskip(NEXT) | instid1(VALU_DEP_1)
	v_add_f32_e32 v103, v103, v102
	v_and_b32_e32 v102, 0x7f800000, v103
	s_delay_alu instid0(VALU_DEP_1) | instskip(SKIP_1) | instid1(SALU_CYCLE_1)
	v_cmp_ne_u32_e32 vcc_lo, 0x7f800000, v102
                                        ; implicit-def: $vgpr102
	s_and_saveexec_b32 s41, vcc_lo
	s_xor_b32 s41, exec_lo, s41
; %bb.5002:                             ;   in Loop: Header=BB12_4525 Depth=3
	v_bfe_u32 v102, v103, 16, 1
	s_delay_alu instid0(VALU_DEP_1)
	v_add3_u32 v102, v103, v102, 0x7fff
                                        ; implicit-def: $vgpr103
; %bb.5003:                             ;   in Loop: Header=BB12_4525 Depth=3
	s_and_not1_saveexec_b32 s41, s41
; %bb.5004:                             ;   in Loop: Header=BB12_4525 Depth=3
	v_and_b32_e32 v102, 0xffff, v103
	v_or_b32_e32 v113, 0x10000, v103
	s_delay_alu instid0(VALU_DEP_2) | instskip(NEXT) | instid1(VALU_DEP_2)
	v_cmp_eq_u32_e32 vcc_lo, 0, v102
	v_cndmask_b32_e32 v102, v113, v103, vcc_lo
; %bb.5005:                             ;   in Loop: Header=BB12_4525 Depth=3
	s_or_b32 exec_lo, exec_lo, s41
	v_and_b32_e32 v39, 0xffff0000, v39
	v_and_b32_e32 v100, 0xffff0000, v100
	s_delay_alu instid0(VALU_DEP_1) | instskip(NEXT) | instid1(VALU_DEP_1)
	v_add_f32_e32 v100, v39, v100
	v_and_b32_e32 v39, 0x7f800000, v100
	s_delay_alu instid0(VALU_DEP_1) | instskip(SKIP_1) | instid1(SALU_CYCLE_1)
	v_cmp_ne_u32_e32 vcc_lo, 0x7f800000, v39
                                        ; implicit-def: $vgpr39
	s_and_saveexec_b32 s41, vcc_lo
	s_xor_b32 s41, exec_lo, s41
; %bb.5006:                             ;   in Loop: Header=BB12_4525 Depth=3
	v_bfe_u32 v39, v100, 16, 1
	s_delay_alu instid0(VALU_DEP_1)
	v_add3_u32 v39, v100, v39, 0x7fff
                                        ; implicit-def: $vgpr100
; %bb.5007:                             ;   in Loop: Header=BB12_4525 Depth=3
	s_and_not1_saveexec_b32 s41, s41
; %bb.5008:                             ;   in Loop: Header=BB12_4525 Depth=3
	v_and_b32_e32 v39, 0xffff, v100
	v_or_b32_e32 v103, 0x10000, v100
	s_delay_alu instid0(VALU_DEP_2) | instskip(NEXT) | instid1(VALU_DEP_2)
	v_cmp_eq_u32_e32 vcc_lo, 0, v39
	v_cndmask_b32_e32 v39, v103, v100, vcc_lo
; %bb.5009:                             ;   in Loop: Header=BB12_4525 Depth=3
	s_or_b32 exec_lo, exec_lo, s41
	v_and_b32_e32 v100, 0xffff0000, v101
	s_wait_loadcnt 0x0
	v_lshlrev_b32_e32 v101, 16, v32
	s_delay_alu instid0(VALU_DEP_1) | instskip(NEXT) | instid1(VALU_DEP_1)
	v_add_f32_e32 v101, v101, v100
	v_and_b32_e32 v100, 0x7f800000, v101
	s_delay_alu instid0(VALU_DEP_1) | instskip(SKIP_1) | instid1(SALU_CYCLE_1)
	v_cmp_ne_u32_e32 vcc_lo, 0x7f800000, v100
                                        ; implicit-def: $vgpr100
	s_and_saveexec_b32 s41, vcc_lo
	s_xor_b32 s41, exec_lo, s41
; %bb.5010:                             ;   in Loop: Header=BB12_4525 Depth=3
	v_bfe_u32 v100, v101, 16, 1
	s_delay_alu instid0(VALU_DEP_1)
	v_add3_u32 v100, v101, v100, 0x7fff
                                        ; implicit-def: $vgpr101
; %bb.5011:                             ;   in Loop: Header=BB12_4525 Depth=3
	s_and_not1_saveexec_b32 s41, s41
; %bb.5012:                             ;   in Loop: Header=BB12_4525 Depth=3
	v_and_b32_e32 v100, 0xffff, v101
	v_or_b32_e32 v103, 0x10000, v101
	s_delay_alu instid0(VALU_DEP_2) | instskip(NEXT) | instid1(VALU_DEP_2)
	v_cmp_eq_u32_e32 vcc_lo, 0, v100
	v_cndmask_b32_e32 v100, v103, v101, vcc_lo
; %bb.5013:                             ;   in Loop: Header=BB12_4525 Depth=3
	s_or_b32 exec_lo, exec_lo, s41
	v_and_b32_e32 v32, 0xffff0000, v32
	v_and_b32_e32 v86, 0xffff0000, v86
	s_delay_alu instid0(VALU_DEP_1) | instskip(NEXT) | instid1(VALU_DEP_1)
	v_add_f32_e32 v86, v32, v86
	v_and_b32_e32 v32, 0x7f800000, v86
	s_delay_alu instid0(VALU_DEP_1) | instskip(SKIP_1) | instid1(SALU_CYCLE_1)
	v_cmp_ne_u32_e32 vcc_lo, 0x7f800000, v32
                                        ; implicit-def: $vgpr32
	s_and_saveexec_b32 s41, vcc_lo
	s_xor_b32 s41, exec_lo, s41
; %bb.5014:                             ;   in Loop: Header=BB12_4525 Depth=3
	v_bfe_u32 v32, v86, 16, 1
	s_delay_alu instid0(VALU_DEP_1)
	v_add3_u32 v32, v86, v32, 0x7fff
                                        ; implicit-def: $vgpr86
; %bb.5015:                             ;   in Loop: Header=BB12_4525 Depth=3
	s_and_not1_saveexec_b32 s41, s41
; %bb.5016:                             ;   in Loop: Header=BB12_4525 Depth=3
	v_and_b32_e32 v32, 0xffff, v86
	v_or_b32_e32 v101, 0x10000, v86
	s_delay_alu instid0(VALU_DEP_2) | instskip(NEXT) | instid1(VALU_DEP_2)
	v_cmp_eq_u32_e32 vcc_lo, 0, v32
	v_cndmask_b32_e32 v32, v101, v86, vcc_lo
; %bb.5017:                             ;   in Loop: Header=BB12_4525 Depth=3
	s_or_b32 exec_lo, exec_lo, s41
	v_and_b32_e32 v86, 0xffff0000, v87
	v_lshlrev_b32_e32 v87, 16, v33
	s_delay_alu instid0(VALU_DEP_1) | instskip(NEXT) | instid1(VALU_DEP_1)
	v_add_f32_e32 v87, v87, v86
	v_and_b32_e32 v86, 0x7f800000, v87
	s_delay_alu instid0(VALU_DEP_1) | instskip(SKIP_1) | instid1(SALU_CYCLE_1)
	v_cmp_ne_u32_e32 vcc_lo, 0x7f800000, v86
                                        ; implicit-def: $vgpr86
	s_and_saveexec_b32 s41, vcc_lo
	s_xor_b32 s41, exec_lo, s41
; %bb.5018:                             ;   in Loop: Header=BB12_4525 Depth=3
	v_bfe_u32 v86, v87, 16, 1
	s_delay_alu instid0(VALU_DEP_1)
	v_add3_u32 v86, v87, v86, 0x7fff
                                        ; implicit-def: $vgpr87
; %bb.5019:                             ;   in Loop: Header=BB12_4525 Depth=3
	s_and_not1_saveexec_b32 s41, s41
; %bb.5020:                             ;   in Loop: Header=BB12_4525 Depth=3
	v_and_b32_e32 v86, 0xffff, v87
	v_or_b32_e32 v101, 0x10000, v87
	s_delay_alu instid0(VALU_DEP_2) | instskip(NEXT) | instid1(VALU_DEP_2)
	v_cmp_eq_u32_e32 vcc_lo, 0, v86
	v_cndmask_b32_e32 v86, v101, v87, vcc_lo
; %bb.5021:                             ;   in Loop: Header=BB12_4525 Depth=3
	s_or_b32 exec_lo, exec_lo, s41
	v_and_b32_e32 v33, 0xffff0000, v33
	v_and_b32_e32 v84, 0xffff0000, v84
	s_delay_alu instid0(VALU_DEP_1) | instskip(NEXT) | instid1(VALU_DEP_1)
	v_add_f32_e32 v84, v33, v84
	v_and_b32_e32 v33, 0x7f800000, v84
	s_delay_alu instid0(VALU_DEP_1) | instskip(SKIP_1) | instid1(SALU_CYCLE_1)
	v_cmp_ne_u32_e32 vcc_lo, 0x7f800000, v33
                                        ; implicit-def: $vgpr33
	s_and_saveexec_b32 s41, vcc_lo
	s_xor_b32 s41, exec_lo, s41
; %bb.5022:                             ;   in Loop: Header=BB12_4525 Depth=3
	v_bfe_u32 v33, v84, 16, 1
	s_delay_alu instid0(VALU_DEP_1)
	v_add3_u32 v33, v84, v33, 0x7fff
                                        ; implicit-def: $vgpr84
; %bb.5023:                             ;   in Loop: Header=BB12_4525 Depth=3
	s_and_not1_saveexec_b32 s41, s41
; %bb.5024:                             ;   in Loop: Header=BB12_4525 Depth=3
	v_and_b32_e32 v33, 0xffff, v84
	v_or_b32_e32 v87, 0x10000, v84
	s_delay_alu instid0(VALU_DEP_2) | instskip(NEXT) | instid1(VALU_DEP_2)
	v_cmp_eq_u32_e32 vcc_lo, 0, v33
	v_cndmask_b32_e32 v33, v87, v84, vcc_lo
; %bb.5025:                             ;   in Loop: Header=BB12_4525 Depth=3
	s_or_b32 exec_lo, exec_lo, s41
	v_and_b32_e32 v84, 0xffff0000, v85
	v_lshlrev_b32_e32 v85, 16, v34
	s_delay_alu instid0(VALU_DEP_1) | instskip(NEXT) | instid1(VALU_DEP_1)
	v_add_f32_e32 v85, v85, v84
	v_and_b32_e32 v84, 0x7f800000, v85
	s_delay_alu instid0(VALU_DEP_1) | instskip(SKIP_1) | instid1(SALU_CYCLE_1)
	v_cmp_ne_u32_e32 vcc_lo, 0x7f800000, v84
                                        ; implicit-def: $vgpr84
	s_and_saveexec_b32 s41, vcc_lo
	s_xor_b32 s41, exec_lo, s41
; %bb.5026:                             ;   in Loop: Header=BB12_4525 Depth=3
	v_bfe_u32 v84, v85, 16, 1
	s_delay_alu instid0(VALU_DEP_1)
	v_add3_u32 v84, v85, v84, 0x7fff
                                        ; implicit-def: $vgpr85
; %bb.5027:                             ;   in Loop: Header=BB12_4525 Depth=3
	s_and_not1_saveexec_b32 s41, s41
; %bb.5028:                             ;   in Loop: Header=BB12_4525 Depth=3
	v_and_b32_e32 v84, 0xffff, v85
	v_or_b32_e32 v87, 0x10000, v85
	s_delay_alu instid0(VALU_DEP_2) | instskip(NEXT) | instid1(VALU_DEP_2)
	v_cmp_eq_u32_e32 vcc_lo, 0, v84
	v_cndmask_b32_e32 v84, v87, v85, vcc_lo
; %bb.5029:                             ;   in Loop: Header=BB12_4525 Depth=3
	s_or_b32 exec_lo, exec_lo, s41
	v_and_b32_e32 v34, 0xffff0000, v34
	v_and_b32_e32 v80, 0xffff0000, v80
	s_delay_alu instid0(VALU_DEP_1) | instskip(NEXT) | instid1(VALU_DEP_1)
	v_add_f32_e32 v80, v34, v80
	v_and_b32_e32 v34, 0x7f800000, v80
	s_delay_alu instid0(VALU_DEP_1) | instskip(SKIP_1) | instid1(SALU_CYCLE_1)
	v_cmp_ne_u32_e32 vcc_lo, 0x7f800000, v34
                                        ; implicit-def: $vgpr34
	s_and_saveexec_b32 s41, vcc_lo
	s_xor_b32 s41, exec_lo, s41
; %bb.5030:                             ;   in Loop: Header=BB12_4525 Depth=3
	v_bfe_u32 v34, v80, 16, 1
	s_delay_alu instid0(VALU_DEP_1)
	v_add3_u32 v34, v80, v34, 0x7fff
                                        ; implicit-def: $vgpr80
; %bb.5031:                             ;   in Loop: Header=BB12_4525 Depth=3
	s_and_not1_saveexec_b32 s41, s41
; %bb.5032:                             ;   in Loop: Header=BB12_4525 Depth=3
	v_and_b32_e32 v34, 0xffff, v80
	v_or_b32_e32 v85, 0x10000, v80
	s_delay_alu instid0(VALU_DEP_2) | instskip(NEXT) | instid1(VALU_DEP_2)
	v_cmp_eq_u32_e32 vcc_lo, 0, v34
	v_cndmask_b32_e32 v34, v85, v80, vcc_lo
; %bb.5033:                             ;   in Loop: Header=BB12_4525 Depth=3
	s_or_b32 exec_lo, exec_lo, s41
	v_and_b32_e32 v80, 0xffff0000, v81
	v_lshlrev_b32_e32 v81, 16, v35
	s_delay_alu instid0(VALU_DEP_1) | instskip(NEXT) | instid1(VALU_DEP_1)
	v_add_f32_e32 v81, v81, v80
	v_and_b32_e32 v80, 0x7f800000, v81
	s_delay_alu instid0(VALU_DEP_1) | instskip(SKIP_1) | instid1(SALU_CYCLE_1)
	v_cmp_ne_u32_e32 vcc_lo, 0x7f800000, v80
                                        ; implicit-def: $vgpr80
	s_and_saveexec_b32 s41, vcc_lo
	s_xor_b32 s41, exec_lo, s41
; %bb.5034:                             ;   in Loop: Header=BB12_4525 Depth=3
	v_bfe_u32 v80, v81, 16, 1
	s_delay_alu instid0(VALU_DEP_1)
	v_add3_u32 v80, v81, v80, 0x7fff
                                        ; implicit-def: $vgpr81
; %bb.5035:                             ;   in Loop: Header=BB12_4525 Depth=3
	s_and_not1_saveexec_b32 s41, s41
; %bb.5036:                             ;   in Loop: Header=BB12_4525 Depth=3
	v_and_b32_e32 v80, 0xffff, v81
	v_or_b32_e32 v85, 0x10000, v81
	s_delay_alu instid0(VALU_DEP_2) | instskip(NEXT) | instid1(VALU_DEP_2)
	v_cmp_eq_u32_e32 vcc_lo, 0, v80
	v_cndmask_b32_e32 v80, v85, v81, vcc_lo
; %bb.5037:                             ;   in Loop: Header=BB12_4525 Depth=3
	s_or_b32 exec_lo, exec_lo, s41
	v_and_b32_e32 v35, 0xffff0000, v35
	v_and_b32_e32 v29, 0xffff0000, v29
	s_delay_alu instid0(VALU_DEP_1) | instskip(NEXT) | instid1(VALU_DEP_1)
	v_add_f32_e32 v35, v35, v29
	v_and_b32_e32 v29, 0x7f800000, v35
	s_delay_alu instid0(VALU_DEP_1) | instskip(SKIP_1) | instid1(SALU_CYCLE_1)
	v_cmp_ne_u32_e32 vcc_lo, 0x7f800000, v29
                                        ; implicit-def: $vgpr29
	s_and_saveexec_b32 s41, vcc_lo
	s_xor_b32 s41, exec_lo, s41
; %bb.5038:                             ;   in Loop: Header=BB12_4525 Depth=3
	v_bfe_u32 v29, v35, 16, 1
	s_delay_alu instid0(VALU_DEP_1)
	v_add3_u32 v29, v35, v29, 0x7fff
                                        ; implicit-def: $vgpr35
; %bb.5039:                             ;   in Loop: Header=BB12_4525 Depth=3
	s_and_not1_saveexec_b32 s41, s41
	s_cbranch_execz .LBB12_4524
; %bb.5040:                             ;   in Loop: Header=BB12_4525 Depth=3
	v_and_b32_e32 v29, 0xffff, v35
	v_or_b32_e32 v81, 0x10000, v35
	s_delay_alu instid0(VALU_DEP_2) | instskip(NEXT) | instid1(VALU_DEP_2)
	v_cmp_eq_u32_e32 vcc_lo, 0, v29
	v_cndmask_b32_e32 v29, v81, v35, vcc_lo
	s_branch .LBB12_4524
.LBB12_5041:                            ;   in Loop: Header=BB12_2999 Depth=2
	v_cmp_lt_i32_e64 s13, 0, v110
	s_wait_xcnt 0x0
	s_and_saveexec_b32 s14, s2
	s_cbranch_execnz .LBB12_5947
	s_branch .LBB12_5965
.LBB12_5042:                            ;   in Loop: Header=BB12_2999 Depth=2
	s_mov_b32 s76, 0
	v_mov_b32_e32 v2, 0
	s_and_not1_b32 vcc_lo, exec_lo, s13
	s_cbranch_vccz .LBB12_4522
.LBB12_5043:                            ;   in Loop: Header=BB12_2999 Depth=2
	scratch_load_b32 v0, off, s33 offset:356 ; 4-byte Folded Reload
	s_wait_loadcnt 0x1
	scratch_load_b32 v16, off, s33 offset:328 ; 4-byte Folded Reload
	s_wait_xcnt 0x0
	s_and_saveexec_b32 s15, s76
	s_cbranch_execnz .LBB12_5515
	s_branch .LBB12_5946
.LBB12_5044:                            ;   in Loop: Header=BB12_2999 Depth=2
	s_or_b32 exec_lo, exec_lo, s14
	s_delay_alu instid0(SALU_CYCLE_1)
	s_and_b32 s14, s15, exec_lo
.LBB12_5045:                            ;   in Loop: Header=BB12_2999 Depth=2
	s_or_b32 exec_lo, exec_lo, s13
	s_and_saveexec_b32 s13, s14
	s_cbranch_execz .LBB12_5303
; %bb.5046:                             ;   in Loop: Header=BB12_2999 Depth=2
	s_trap 2
	ds_load_b32 v0, v0
	s_mov_b32 s14, exec_lo
	s_wait_dscnt 0x0
	v_lshlrev_b32_e32 v33, 16, v0
	s_delay_alu instid0(VALU_DEP_1) | instskip(NEXT) | instid1(VALU_DEP_1)
	v_dual_lshlrev_b32 v32, 16, v96 :: v_dual_mov_b32 v0, v33
	v_pk_mul_f32 v[34:35], v[0:1], v[32:33]
                                        ; implicit-def: $vgpr1
	s_delay_alu instid0(VALU_DEP_1) | instskip(NEXT) | instid1(VALU_DEP_1)
	v_and_b32_e32 v0, 0x7f800000, v34
	v_cmpx_ne_u32_e32 0x7f800000, v0
	s_xor_b32 s14, exec_lo, s14
; %bb.5047:                             ;   in Loop: Header=BB12_2999 Depth=2
	v_bfe_u32 v0, v34, 16, 1
	s_delay_alu instid0(VALU_DEP_1)
	v_add3_u32 v1, v34, v0, 0x7fff
                                        ; implicit-def: $vgpr34_vgpr35
; %bb.5048:                             ;   in Loop: Header=BB12_2999 Depth=2
	s_and_not1_saveexec_b32 s14, s14
; %bb.5049:                             ;   in Loop: Header=BB12_2999 Depth=2
	v_and_b32_e32 v0, 0xffff, v34
	v_or_b32_e32 v1, 0x10000, v34
	s_delay_alu instid0(VALU_DEP_2) | instskip(NEXT) | instid1(VALU_DEP_2)
	v_cmp_eq_u32_e32 vcc_lo, 0, v0
	v_cndmask_b32_e32 v1, v1, v34, vcc_lo
; %bb.5050:                             ;   in Loop: Header=BB12_2999 Depth=2
	s_or_b32 exec_lo, exec_lo, s14
	v_and_b32_e32 v0, 0xffff0000, v96
	s_delay_alu instid0(VALU_DEP_1) | instskip(NEXT) | instid1(VALU_DEP_1)
	v_mul_f32_e32 v6, v33, v0
	v_and_b32_e32 v0, 0x7f800000, v6
	s_delay_alu instid0(VALU_DEP_1) | instskip(SKIP_1) | instid1(SALU_CYCLE_1)
	v_cmp_ne_u32_e32 vcc_lo, 0x7f800000, v0
                                        ; implicit-def: $vgpr0
	s_and_saveexec_b32 s14, vcc_lo
	s_xor_b32 s14, exec_lo, s14
; %bb.5051:                             ;   in Loop: Header=BB12_2999 Depth=2
	v_bfe_u32 v0, v6, 16, 1
	s_delay_alu instid0(VALU_DEP_1)
	v_add3_u32 v0, v6, v0, 0x7fff
                                        ; implicit-def: $vgpr6
; %bb.5052:                             ;   in Loop: Header=BB12_2999 Depth=2
	s_and_not1_saveexec_b32 s14, s14
; %bb.5053:                             ;   in Loop: Header=BB12_2999 Depth=2
	v_and_b32_e32 v0, 0xffff, v6
	v_or_b32_e32 v7, 0x10000, v6
	s_delay_alu instid0(VALU_DEP_2) | instskip(NEXT) | instid1(VALU_DEP_2)
	v_cmp_eq_u32_e32 vcc_lo, 0, v0
	v_cndmask_b32_e32 v0, v7, v6, vcc_lo
; %bb.5054:                             ;   in Loop: Header=BB12_2999 Depth=2
	s_or_b32 exec_lo, exec_lo, s14
	v_lshlrev_b32_e32 v6, 16, v97
	s_mov_b32 s14, exec_lo
                                        ; implicit-def: $vgpr85
	s_delay_alu instid0(VALU_DEP_1) | instskip(NEXT) | instid1(VALU_DEP_1)
	v_mul_f32_e32 v6, v33, v6
	v_and_b32_e32 v7, 0x7f800000, v6
	s_delay_alu instid0(VALU_DEP_1)
	v_cmpx_ne_u32_e32 0x7f800000, v7
	s_xor_b32 s14, exec_lo, s14
; %bb.5055:                             ;   in Loop: Header=BB12_2999 Depth=2
	v_bfe_u32 v7, v6, 16, 1
	s_delay_alu instid0(VALU_DEP_1)
	v_add3_u32 v85, v6, v7, 0x7fff
                                        ; implicit-def: $vgpr6
; %bb.5056:                             ;   in Loop: Header=BB12_2999 Depth=2
	s_and_not1_saveexec_b32 s14, s14
; %bb.5057:                             ;   in Loop: Header=BB12_2999 Depth=2
	v_and_b32_e32 v7, 0xffff, v6
	v_or_b32_e32 v29, 0x10000, v6
	s_delay_alu instid0(VALU_DEP_2) | instskip(NEXT) | instid1(VALU_DEP_2)
	v_cmp_eq_u32_e32 vcc_lo, 0, v7
	v_cndmask_b32_e32 v85, v29, v6, vcc_lo
; %bb.5058:                             ;   in Loop: Header=BB12_2999 Depth=2
	s_or_b32 exec_lo, exec_lo, s14
	v_and_b32_e32 v6, 0xffff0000, v97
	s_mov_b32 s14, exec_lo
                                        ; implicit-def: $vgpr83
	s_delay_alu instid0(VALU_DEP_1) | instskip(NEXT) | instid1(VALU_DEP_1)
	v_mul_f32_e32 v6, v33, v6
	v_and_b32_e32 v7, 0x7f800000, v6
	s_delay_alu instid0(VALU_DEP_1)
	v_cmpx_ne_u32_e32 0x7f800000, v7
	s_xor_b32 s14, exec_lo, s14
; %bb.5059:                             ;   in Loop: Header=BB12_2999 Depth=2
	v_bfe_u32 v7, v6, 16, 1
	s_delay_alu instid0(VALU_DEP_1)
	v_add3_u32 v83, v6, v7, 0x7fff
                                        ; implicit-def: $vgpr6
; %bb.5060:                             ;   in Loop: Header=BB12_2999 Depth=2
	s_and_not1_saveexec_b32 s14, s14
; %bb.5061:                             ;   in Loop: Header=BB12_2999 Depth=2
	v_and_b32_e32 v7, 0xffff, v6
	v_or_b32_e32 v29, 0x10000, v6
	s_delay_alu instid0(VALU_DEP_2) | instskip(NEXT) | instid1(VALU_DEP_2)
	v_cmp_eq_u32_e32 vcc_lo, 0, v7
	v_cndmask_b32_e32 v83, v29, v6, vcc_lo
; %bb.5062:                             ;   in Loop: Header=BB12_2999 Depth=2
	s_or_b32 exec_lo, exec_lo, s14
	v_lshlrev_b32_e32 v6, 16, v98
	s_mov_b32 s14, exec_lo
                                        ; implicit-def: $vgpr84
	s_delay_alu instid0(VALU_DEP_1) | instskip(NEXT) | instid1(VALU_DEP_1)
	v_mul_f32_e32 v6, v33, v6
	v_and_b32_e32 v7, 0x7f800000, v6
	s_delay_alu instid0(VALU_DEP_1)
	v_cmpx_ne_u32_e32 0x7f800000, v7
	s_xor_b32 s14, exec_lo, s14
; %bb.5063:                             ;   in Loop: Header=BB12_2999 Depth=2
	v_bfe_u32 v7, v6, 16, 1
	s_delay_alu instid0(VALU_DEP_1)
	v_add3_u32 v84, v6, v7, 0x7fff
                                        ; implicit-def: $vgpr6
; %bb.5064:                             ;   in Loop: Header=BB12_2999 Depth=2
	s_and_not1_saveexec_b32 s14, s14
; %bb.5065:                             ;   in Loop: Header=BB12_2999 Depth=2
	v_and_b32_e32 v7, 0xffff, v6
	v_or_b32_e32 v29, 0x10000, v6
	s_delay_alu instid0(VALU_DEP_2) | instskip(NEXT) | instid1(VALU_DEP_2)
	v_cmp_eq_u32_e32 vcc_lo, 0, v7
	v_cndmask_b32_e32 v84, v29, v6, vcc_lo
; %bb.5066:                             ;   in Loop: Header=BB12_2999 Depth=2
	s_or_b32 exec_lo, exec_lo, s14
	v_and_b32_e32 v6, 0xffff0000, v98
	s_delay_alu instid0(VALU_DEP_1) | instskip(NEXT) | instid1(VALU_DEP_1)
	v_mul_f32_e32 v7, v33, v6
	v_and_b32_e32 v6, 0x7f800000, v7
	s_delay_alu instid0(VALU_DEP_1) | instskip(SKIP_1) | instid1(SALU_CYCLE_1)
	v_cmp_ne_u32_e32 vcc_lo, 0x7f800000, v6
                                        ; implicit-def: $vgpr6
	s_and_saveexec_b32 s14, vcc_lo
	s_xor_b32 s14, exec_lo, s14
; %bb.5067:                             ;   in Loop: Header=BB12_2999 Depth=2
	v_bfe_u32 v6, v7, 16, 1
	s_delay_alu instid0(VALU_DEP_1)
	v_add3_u32 v6, v7, v6, 0x7fff
                                        ; implicit-def: $vgpr7
; %bb.5068:                             ;   in Loop: Header=BB12_2999 Depth=2
	s_and_not1_saveexec_b32 s14, s14
; %bb.5069:                             ;   in Loop: Header=BB12_2999 Depth=2
	v_and_b32_e32 v6, 0xffff, v7
	v_or_b32_e32 v29, 0x10000, v7
	s_delay_alu instid0(VALU_DEP_2) | instskip(NEXT) | instid1(VALU_DEP_2)
	v_cmp_eq_u32_e32 vcc_lo, 0, v6
	v_cndmask_b32_e32 v6, v29, v7, vcc_lo
; %bb.5070:                             ;   in Loop: Header=BB12_2999 Depth=2
	s_or_b32 exec_lo, exec_lo, s14
	v_lshlrev_b32_e32 v7, 16, v99
	s_delay_alu instid0(VALU_DEP_1) | instskip(NEXT) | instid1(VALU_DEP_1)
	v_mul_f32_e32 v29, v33, v7
	v_and_b32_e32 v7, 0x7f800000, v29
	s_delay_alu instid0(VALU_DEP_1) | instskip(SKIP_1) | instid1(SALU_CYCLE_1)
	v_cmp_ne_u32_e32 vcc_lo, 0x7f800000, v7
                                        ; implicit-def: $vgpr7
	s_and_saveexec_b32 s14, vcc_lo
	s_xor_b32 s14, exec_lo, s14
; %bb.5071:                             ;   in Loop: Header=BB12_2999 Depth=2
	v_bfe_u32 v7, v29, 16, 1
	s_delay_alu instid0(VALU_DEP_1)
	v_add3_u32 v7, v29, v7, 0x7fff
                                        ; implicit-def: $vgpr29
; %bb.5072:                             ;   in Loop: Header=BB12_2999 Depth=2
	s_and_not1_saveexec_b32 s14, s14
; %bb.5073:                             ;   in Loop: Header=BB12_2999 Depth=2
	v_and_b32_e32 v7, 0xffff, v29
	v_or_b32_e32 v30, 0x10000, v29
	s_delay_alu instid0(VALU_DEP_2) | instskip(NEXT) | instid1(VALU_DEP_2)
	v_cmp_eq_u32_e32 vcc_lo, 0, v7
	v_cndmask_b32_e32 v7, v30, v29, vcc_lo
; %bb.5074:                             ;   in Loop: Header=BB12_2999 Depth=2
	s_or_b32 exec_lo, exec_lo, s14
	v_and_b32_e32 v29, 0xffff0000, v99
	s_mov_b32 s14, exec_lo
                                        ; implicit-def: $vgpr81
	s_delay_alu instid0(VALU_DEP_1) | instskip(NEXT) | instid1(VALU_DEP_1)
	v_mul_f32_e32 v29, v33, v29
	v_and_b32_e32 v30, 0x7f800000, v29
	s_delay_alu instid0(VALU_DEP_1)
	v_cmpx_ne_u32_e32 0x7f800000, v30
	s_xor_b32 s14, exec_lo, s14
; %bb.5075:                             ;   in Loop: Header=BB12_2999 Depth=2
	v_bfe_u32 v30, v29, 16, 1
	s_delay_alu instid0(VALU_DEP_1)
	v_add3_u32 v81, v29, v30, 0x7fff
                                        ; implicit-def: $vgpr29
; %bb.5076:                             ;   in Loop: Header=BB12_2999 Depth=2
	s_and_not1_saveexec_b32 s14, s14
; %bb.5077:                             ;   in Loop: Header=BB12_2999 Depth=2
	v_and_b32_e32 v30, 0xffff, v29
	v_or_b32_e32 v32, 0x10000, v29
	s_delay_alu instid0(VALU_DEP_2) | instskip(NEXT) | instid1(VALU_DEP_2)
	v_cmp_eq_u32_e32 vcc_lo, 0, v30
	v_cndmask_b32_e32 v81, v32, v29, vcc_lo
; %bb.5078:                             ;   in Loop: Header=BB12_2999 Depth=2
	s_or_b32 exec_lo, exec_lo, s14
	v_lshlrev_b32_e32 v29, 16, v68
	s_mov_b32 s14, exec_lo
                                        ; implicit-def: $vgpr82
	s_delay_alu instid0(VALU_DEP_1) | instskip(NEXT) | instid1(VALU_DEP_1)
	v_mul_f32_e32 v29, v33, v29
	v_and_b32_e32 v30, 0x7f800000, v29
	s_delay_alu instid0(VALU_DEP_1)
	v_cmpx_ne_u32_e32 0x7f800000, v30
	s_xor_b32 s14, exec_lo, s14
; %bb.5079:                             ;   in Loop: Header=BB12_2999 Depth=2
	v_bfe_u32 v30, v29, 16, 1
	s_delay_alu instid0(VALU_DEP_1)
	v_add3_u32 v82, v29, v30, 0x7fff
                                        ; implicit-def: $vgpr29
; %bb.5080:                             ;   in Loop: Header=BB12_2999 Depth=2
	s_and_not1_saveexec_b32 s14, s14
; %bb.5081:                             ;   in Loop: Header=BB12_2999 Depth=2
	v_and_b32_e32 v30, 0xffff, v29
	v_or_b32_e32 v32, 0x10000, v29
	s_delay_alu instid0(VALU_DEP_2) | instskip(NEXT) | instid1(VALU_DEP_2)
	v_cmp_eq_u32_e32 vcc_lo, 0, v30
	v_cndmask_b32_e32 v82, v32, v29, vcc_lo
; %bb.5082:                             ;   in Loop: Header=BB12_2999 Depth=2
	s_or_b32 exec_lo, exec_lo, s14
	v_and_b32_e32 v29, 0xffff0000, v68
	s_mov_b32 s14, exec_lo
                                        ; implicit-def: $vgpr68
	s_delay_alu instid0(VALU_DEP_1) | instskip(NEXT) | instid1(VALU_DEP_1)
	v_mul_f32_e32 v29, v33, v29
	v_and_b32_e32 v30, 0x7f800000, v29
	s_delay_alu instid0(VALU_DEP_1)
	v_cmpx_ne_u32_e32 0x7f800000, v30
	s_xor_b32 s14, exec_lo, s14
; %bb.5083:                             ;   in Loop: Header=BB12_2999 Depth=2
	v_bfe_u32 v30, v29, 16, 1
	s_delay_alu instid0(VALU_DEP_1)
	v_add3_u32 v68, v29, v30, 0x7fff
                                        ; implicit-def: $vgpr29
; %bb.5084:                             ;   in Loop: Header=BB12_2999 Depth=2
	s_and_not1_saveexec_b32 s14, s14
; %bb.5085:                             ;   in Loop: Header=BB12_2999 Depth=2
	v_and_b32_e32 v30, 0xffff, v29
	v_or_b32_e32 v32, 0x10000, v29
	s_delay_alu instid0(VALU_DEP_2) | instskip(NEXT) | instid1(VALU_DEP_2)
	v_cmp_eq_u32_e32 vcc_lo, 0, v30
	v_cndmask_b32_e32 v68, v32, v29, vcc_lo
; %bb.5086:                             ;   in Loop: Header=BB12_2999 Depth=2
	s_or_b32 exec_lo, exec_lo, s14
	v_lshlrev_b32_e32 v29, 16, v69
	s_mov_b32 s14, exec_lo
                                        ; implicit-def: $vgpr80
	s_delay_alu instid0(VALU_DEP_1) | instskip(NEXT) | instid1(VALU_DEP_1)
	v_mul_f32_e32 v29, v33, v29
	v_and_b32_e32 v30, 0x7f800000, v29
	s_delay_alu instid0(VALU_DEP_1)
	v_cmpx_ne_u32_e32 0x7f800000, v30
	s_xor_b32 s14, exec_lo, s14
; %bb.5087:                             ;   in Loop: Header=BB12_2999 Depth=2
	v_bfe_u32 v30, v29, 16, 1
	s_delay_alu instid0(VALU_DEP_1)
	v_add3_u32 v80, v29, v30, 0x7fff
                                        ; implicit-def: $vgpr29
; %bb.5088:                             ;   in Loop: Header=BB12_2999 Depth=2
	s_and_not1_saveexec_b32 s14, s14
; %bb.5089:                             ;   in Loop: Header=BB12_2999 Depth=2
	v_and_b32_e32 v30, 0xffff, v29
	v_or_b32_e32 v32, 0x10000, v29
	s_delay_alu instid0(VALU_DEP_2) | instskip(NEXT) | instid1(VALU_DEP_2)
	v_cmp_eq_u32_e32 vcc_lo, 0, v30
	v_cndmask_b32_e32 v80, v32, v29, vcc_lo
; %bb.5090:                             ;   in Loop: Header=BB12_2999 Depth=2
	s_or_b32 exec_lo, exec_lo, s14
	v_and_b32_e32 v29, 0xffff0000, v69
	s_mov_b32 s14, exec_lo
                                        ; implicit-def: $vgpr66
	s_delay_alu instid0(VALU_DEP_1) | instskip(NEXT) | instid1(VALU_DEP_1)
	v_mul_f32_e32 v29, v33, v29
	v_and_b32_e32 v30, 0x7f800000, v29
	s_delay_alu instid0(VALU_DEP_1)
	v_cmpx_ne_u32_e32 0x7f800000, v30
	s_xor_b32 s14, exec_lo, s14
; %bb.5091:                             ;   in Loop: Header=BB12_2999 Depth=2
	v_bfe_u32 v30, v29, 16, 1
	s_delay_alu instid0(VALU_DEP_1)
	v_add3_u32 v66, v29, v30, 0x7fff
                                        ; implicit-def: $vgpr29
; %bb.5092:                             ;   in Loop: Header=BB12_2999 Depth=2
	s_and_not1_saveexec_b32 s14, s14
; %bb.5093:                             ;   in Loop: Header=BB12_2999 Depth=2
	v_and_b32_e32 v30, 0xffff, v29
	v_or_b32_e32 v32, 0x10000, v29
	s_delay_alu instid0(VALU_DEP_2) | instskip(NEXT) | instid1(VALU_DEP_2)
	v_cmp_eq_u32_e32 vcc_lo, 0, v30
	v_cndmask_b32_e32 v66, v32, v29, vcc_lo
; %bb.5094:                             ;   in Loop: Header=BB12_2999 Depth=2
	s_or_b32 exec_lo, exec_lo, s14
	v_lshlrev_b32_e32 v29, 16, v70
	s_mov_b32 s14, exec_lo
                                        ; implicit-def: $vgpr67
	s_delay_alu instid0(VALU_DEP_1) | instskip(NEXT) | instid1(VALU_DEP_1)
	v_mul_f32_e32 v29, v33, v29
	v_and_b32_e32 v30, 0x7f800000, v29
	s_delay_alu instid0(VALU_DEP_1)
	v_cmpx_ne_u32_e32 0x7f800000, v30
	s_xor_b32 s14, exec_lo, s14
; %bb.5095:                             ;   in Loop: Header=BB12_2999 Depth=2
	v_bfe_u32 v30, v29, 16, 1
	s_delay_alu instid0(VALU_DEP_1)
	v_add3_u32 v67, v29, v30, 0x7fff
                                        ; implicit-def: $vgpr29
; %bb.5096:                             ;   in Loop: Header=BB12_2999 Depth=2
	s_and_not1_saveexec_b32 s14, s14
; %bb.5097:                             ;   in Loop: Header=BB12_2999 Depth=2
	v_and_b32_e32 v30, 0xffff, v29
	v_or_b32_e32 v32, 0x10000, v29
	s_delay_alu instid0(VALU_DEP_2) | instskip(NEXT) | instid1(VALU_DEP_2)
	v_cmp_eq_u32_e32 vcc_lo, 0, v30
	v_cndmask_b32_e32 v67, v32, v29, vcc_lo
; %bb.5098:                             ;   in Loop: Header=BB12_2999 Depth=2
	s_or_b32 exec_lo, exec_lo, s14
	v_and_b32_e32 v29, 0xffff0000, v70
	s_mov_b32 s14, exec_lo
                                        ; implicit-def: $vgpr64
	s_delay_alu instid0(VALU_DEP_1) | instskip(NEXT) | instid1(VALU_DEP_1)
	v_mul_f32_e32 v29, v33, v29
	v_and_b32_e32 v30, 0x7f800000, v29
	s_delay_alu instid0(VALU_DEP_1)
	v_cmpx_ne_u32_e32 0x7f800000, v30
	s_xor_b32 s14, exec_lo, s14
; %bb.5099:                             ;   in Loop: Header=BB12_2999 Depth=2
	v_bfe_u32 v30, v29, 16, 1
	s_delay_alu instid0(VALU_DEP_1)
	v_add3_u32 v64, v29, v30, 0x7fff
                                        ; implicit-def: $vgpr29
; %bb.5100:                             ;   in Loop: Header=BB12_2999 Depth=2
	s_and_not1_saveexec_b32 s14, s14
; %bb.5101:                             ;   in Loop: Header=BB12_2999 Depth=2
	v_and_b32_e32 v30, 0xffff, v29
	v_or_b32_e32 v32, 0x10000, v29
	s_delay_alu instid0(VALU_DEP_2) | instskip(NEXT) | instid1(VALU_DEP_2)
	v_cmp_eq_u32_e32 vcc_lo, 0, v30
	v_cndmask_b32_e32 v64, v32, v29, vcc_lo
; %bb.5102:                             ;   in Loop: Header=BB12_2999 Depth=2
	s_or_b32 exec_lo, exec_lo, s14
	v_lshlrev_b32_e32 v29, 16, v71
	s_mov_b32 s14, exec_lo
                                        ; implicit-def: $vgpr65
	s_delay_alu instid0(VALU_DEP_1) | instskip(NEXT) | instid1(VALU_DEP_1)
	v_mul_f32_e32 v29, v33, v29
	v_and_b32_e32 v30, 0x7f800000, v29
	s_delay_alu instid0(VALU_DEP_1)
	v_cmpx_ne_u32_e32 0x7f800000, v30
	s_xor_b32 s14, exec_lo, s14
; %bb.5103:                             ;   in Loop: Header=BB12_2999 Depth=2
	v_bfe_u32 v30, v29, 16, 1
	s_delay_alu instid0(VALU_DEP_1)
	v_add3_u32 v65, v29, v30, 0x7fff
                                        ; implicit-def: $vgpr29
; %bb.5104:                             ;   in Loop: Header=BB12_2999 Depth=2
	s_and_not1_saveexec_b32 s14, s14
; %bb.5105:                             ;   in Loop: Header=BB12_2999 Depth=2
	v_and_b32_e32 v30, 0xffff, v29
	v_or_b32_e32 v32, 0x10000, v29
	s_delay_alu instid0(VALU_DEP_2) | instskip(NEXT) | instid1(VALU_DEP_2)
	v_cmp_eq_u32_e32 vcc_lo, 0, v30
	v_cndmask_b32_e32 v65, v32, v29, vcc_lo
; %bb.5106:                             ;   in Loop: Header=BB12_2999 Depth=2
	s_or_b32 exec_lo, exec_lo, s14
	v_and_b32_e32 v29, 0xffff0000, v71
	s_mov_b32 s14, exec_lo
                                        ; implicit-def: $vgpr54
	s_delay_alu instid0(VALU_DEP_1) | instskip(NEXT) | instid1(VALU_DEP_1)
	v_mul_f32_e32 v29, v33, v29
	v_and_b32_e32 v30, 0x7f800000, v29
	s_delay_alu instid0(VALU_DEP_1)
	v_cmpx_ne_u32_e32 0x7f800000, v30
	s_xor_b32 s14, exec_lo, s14
; %bb.5107:                             ;   in Loop: Header=BB12_2999 Depth=2
	v_bfe_u32 v30, v29, 16, 1
	s_delay_alu instid0(VALU_DEP_1)
	v_add3_u32 v54, v29, v30, 0x7fff
                                        ; implicit-def: $vgpr29
; %bb.5108:                             ;   in Loop: Header=BB12_2999 Depth=2
	s_and_not1_saveexec_b32 s14, s14
; %bb.5109:                             ;   in Loop: Header=BB12_2999 Depth=2
	v_and_b32_e32 v30, 0xffff, v29
	v_or_b32_e32 v32, 0x10000, v29
	s_delay_alu instid0(VALU_DEP_2) | instskip(NEXT) | instid1(VALU_DEP_2)
	v_cmp_eq_u32_e32 vcc_lo, 0, v30
	v_cndmask_b32_e32 v54, v32, v29, vcc_lo
; %bb.5110:                             ;   in Loop: Header=BB12_2999 Depth=2
	s_or_b32 exec_lo, exec_lo, s14
	v_lshlrev_b32_e32 v29, 16, v48
	s_mov_b32 s14, exec_lo
                                        ; implicit-def: $vgpr55
	s_delay_alu instid0(VALU_DEP_1) | instskip(NEXT) | instid1(VALU_DEP_1)
	v_mul_f32_e32 v29, v33, v29
	v_and_b32_e32 v30, 0x7f800000, v29
	s_delay_alu instid0(VALU_DEP_1)
	v_cmpx_ne_u32_e32 0x7f800000, v30
	s_xor_b32 s14, exec_lo, s14
; %bb.5111:                             ;   in Loop: Header=BB12_2999 Depth=2
	v_bfe_u32 v30, v29, 16, 1
	s_delay_alu instid0(VALU_DEP_1)
	v_add3_u32 v55, v29, v30, 0x7fff
                                        ; implicit-def: $vgpr29
; %bb.5112:                             ;   in Loop: Header=BB12_2999 Depth=2
	s_and_not1_saveexec_b32 s14, s14
; %bb.5113:                             ;   in Loop: Header=BB12_2999 Depth=2
	v_and_b32_e32 v30, 0xffff, v29
	v_or_b32_e32 v32, 0x10000, v29
	s_delay_alu instid0(VALU_DEP_2) | instskip(NEXT) | instid1(VALU_DEP_2)
	v_cmp_eq_u32_e32 vcc_lo, 0, v30
	v_cndmask_b32_e32 v55, v32, v29, vcc_lo
; %bb.5114:                             ;   in Loop: Header=BB12_2999 Depth=2
	s_or_b32 exec_lo, exec_lo, s14
	v_and_b32_e32 v29, 0xffff0000, v48
	s_mov_b32 s14, exec_lo
                                        ; implicit-def: $vgpr52
	s_delay_alu instid0(VALU_DEP_1) | instskip(NEXT) | instid1(VALU_DEP_1)
	v_mul_f32_e32 v29, v33, v29
	v_and_b32_e32 v30, 0x7f800000, v29
	s_delay_alu instid0(VALU_DEP_1)
	v_cmpx_ne_u32_e32 0x7f800000, v30
	s_xor_b32 s14, exec_lo, s14
; %bb.5115:                             ;   in Loop: Header=BB12_2999 Depth=2
	v_bfe_u32 v30, v29, 16, 1
	s_delay_alu instid0(VALU_DEP_1)
	v_add3_u32 v52, v29, v30, 0x7fff
                                        ; implicit-def: $vgpr29
; %bb.5116:                             ;   in Loop: Header=BB12_2999 Depth=2
	s_and_not1_saveexec_b32 s14, s14
; %bb.5117:                             ;   in Loop: Header=BB12_2999 Depth=2
	v_and_b32_e32 v30, 0xffff, v29
	v_or_b32_e32 v32, 0x10000, v29
	s_delay_alu instid0(VALU_DEP_2) | instskip(NEXT) | instid1(VALU_DEP_2)
	v_cmp_eq_u32_e32 vcc_lo, 0, v30
	v_cndmask_b32_e32 v52, v32, v29, vcc_lo
; %bb.5118:                             ;   in Loop: Header=BB12_2999 Depth=2
	s_or_b32 exec_lo, exec_lo, s14
	v_lshlrev_b32_e32 v29, 16, v49
	s_mov_b32 s14, exec_lo
                                        ; implicit-def: $vgpr53
	s_delay_alu instid0(VALU_DEP_1) | instskip(NEXT) | instid1(VALU_DEP_1)
	v_mul_f32_e32 v29, v33, v29
	v_and_b32_e32 v30, 0x7f800000, v29
	s_delay_alu instid0(VALU_DEP_1)
	v_cmpx_ne_u32_e32 0x7f800000, v30
	s_xor_b32 s14, exec_lo, s14
; %bb.5119:                             ;   in Loop: Header=BB12_2999 Depth=2
	v_bfe_u32 v30, v29, 16, 1
	s_delay_alu instid0(VALU_DEP_1)
	v_add3_u32 v53, v29, v30, 0x7fff
                                        ; implicit-def: $vgpr29
; %bb.5120:                             ;   in Loop: Header=BB12_2999 Depth=2
	s_and_not1_saveexec_b32 s14, s14
; %bb.5121:                             ;   in Loop: Header=BB12_2999 Depth=2
	v_and_b32_e32 v30, 0xffff, v29
	v_or_b32_e32 v32, 0x10000, v29
	s_delay_alu instid0(VALU_DEP_2) | instskip(NEXT) | instid1(VALU_DEP_2)
	v_cmp_eq_u32_e32 vcc_lo, 0, v30
	v_cndmask_b32_e32 v53, v32, v29, vcc_lo
; %bb.5122:                             ;   in Loop: Header=BB12_2999 Depth=2
	s_or_b32 exec_lo, exec_lo, s14
	v_and_b32_e32 v29, 0xffff0000, v49
	s_mov_b32 s14, exec_lo
                                        ; implicit-def: $vgpr39
	s_delay_alu instid0(VALU_DEP_1) | instskip(NEXT) | instid1(VALU_DEP_1)
	v_mul_f32_e32 v29, v33, v29
	v_and_b32_e32 v30, 0x7f800000, v29
	s_delay_alu instid0(VALU_DEP_1)
	v_cmpx_ne_u32_e32 0x7f800000, v30
	s_xor_b32 s14, exec_lo, s14
; %bb.5123:                             ;   in Loop: Header=BB12_2999 Depth=2
	v_bfe_u32 v30, v29, 16, 1
	s_delay_alu instid0(VALU_DEP_1)
	v_add3_u32 v39, v29, v30, 0x7fff
                                        ; implicit-def: $vgpr29
; %bb.5124:                             ;   in Loop: Header=BB12_2999 Depth=2
	s_and_not1_saveexec_b32 s14, s14
; %bb.5125:                             ;   in Loop: Header=BB12_2999 Depth=2
	v_and_b32_e32 v30, 0xffff, v29
	v_or_b32_e32 v32, 0x10000, v29
	s_delay_alu instid0(VALU_DEP_2) | instskip(NEXT) | instid1(VALU_DEP_2)
	v_cmp_eq_u32_e32 vcc_lo, 0, v30
	v_cndmask_b32_e32 v39, v32, v29, vcc_lo
; %bb.5126:                             ;   in Loop: Header=BB12_2999 Depth=2
	s_or_b32 exec_lo, exec_lo, s14
	v_lshlrev_b32_e32 v29, 16, v50
	s_mov_b32 s14, exec_lo
                                        ; implicit-def: $vgpr48
	s_delay_alu instid0(VALU_DEP_1) | instskip(NEXT) | instid1(VALU_DEP_1)
	v_mul_f32_e32 v29, v33, v29
	v_and_b32_e32 v30, 0x7f800000, v29
	s_delay_alu instid0(VALU_DEP_1)
	v_cmpx_ne_u32_e32 0x7f800000, v30
	s_xor_b32 s14, exec_lo, s14
; %bb.5127:                             ;   in Loop: Header=BB12_2999 Depth=2
	v_bfe_u32 v30, v29, 16, 1
	s_delay_alu instid0(VALU_DEP_1)
	v_add3_u32 v48, v29, v30, 0x7fff
                                        ; implicit-def: $vgpr29
; %bb.5128:                             ;   in Loop: Header=BB12_2999 Depth=2
	s_and_not1_saveexec_b32 s14, s14
; %bb.5129:                             ;   in Loop: Header=BB12_2999 Depth=2
	v_and_b32_e32 v30, 0xffff, v29
	v_or_b32_e32 v32, 0x10000, v29
	s_delay_alu instid0(VALU_DEP_2) | instskip(NEXT) | instid1(VALU_DEP_2)
	v_cmp_eq_u32_e32 vcc_lo, 0, v30
	v_cndmask_b32_e32 v48, v32, v29, vcc_lo
; %bb.5130:                             ;   in Loop: Header=BB12_2999 Depth=2
	s_or_b32 exec_lo, exec_lo, s14
	v_and_b32_e32 v29, 0xffff0000, v50
	s_mov_b32 s14, exec_lo
                                        ; implicit-def: $vgpr37
	s_delay_alu instid0(VALU_DEP_1) | instskip(NEXT) | instid1(VALU_DEP_1)
	v_mul_f32_e32 v29, v33, v29
	v_and_b32_e32 v30, 0x7f800000, v29
	s_delay_alu instid0(VALU_DEP_1)
	v_cmpx_ne_u32_e32 0x7f800000, v30
	s_xor_b32 s14, exec_lo, s14
; %bb.5131:                             ;   in Loop: Header=BB12_2999 Depth=2
	v_bfe_u32 v30, v29, 16, 1
	s_delay_alu instid0(VALU_DEP_1)
	v_add3_u32 v37, v29, v30, 0x7fff
                                        ; implicit-def: $vgpr29
; %bb.5132:                             ;   in Loop: Header=BB12_2999 Depth=2
	s_and_not1_saveexec_b32 s14, s14
; %bb.5133:                             ;   in Loop: Header=BB12_2999 Depth=2
	v_and_b32_e32 v30, 0xffff, v29
	v_or_b32_e32 v32, 0x10000, v29
	s_delay_alu instid0(VALU_DEP_2) | instskip(NEXT) | instid1(VALU_DEP_2)
	v_cmp_eq_u32_e32 vcc_lo, 0, v30
	v_cndmask_b32_e32 v37, v32, v29, vcc_lo
; %bb.5134:                             ;   in Loop: Header=BB12_2999 Depth=2
	s_or_b32 exec_lo, exec_lo, s14
	v_lshlrev_b32_e32 v29, 16, v51
	s_mov_b32 s14, exec_lo
                                        ; implicit-def: $vgpr38
	s_delay_alu instid0(VALU_DEP_1) | instskip(NEXT) | instid1(VALU_DEP_1)
	v_mul_f32_e32 v29, v33, v29
	v_and_b32_e32 v30, 0x7f800000, v29
	s_delay_alu instid0(VALU_DEP_1)
	v_cmpx_ne_u32_e32 0x7f800000, v30
	s_xor_b32 s14, exec_lo, s14
; %bb.5135:                             ;   in Loop: Header=BB12_2999 Depth=2
	v_bfe_u32 v30, v29, 16, 1
	s_delay_alu instid0(VALU_DEP_1)
	v_add3_u32 v38, v29, v30, 0x7fff
                                        ; implicit-def: $vgpr29
; %bb.5136:                             ;   in Loop: Header=BB12_2999 Depth=2
	s_and_not1_saveexec_b32 s14, s14
; %bb.5137:                             ;   in Loop: Header=BB12_2999 Depth=2
	v_and_b32_e32 v30, 0xffff, v29
	v_or_b32_e32 v32, 0x10000, v29
	s_delay_alu instid0(VALU_DEP_2) | instskip(NEXT) | instid1(VALU_DEP_2)
	v_cmp_eq_u32_e32 vcc_lo, 0, v30
	v_cndmask_b32_e32 v38, v32, v29, vcc_lo
; %bb.5138:                             ;   in Loop: Header=BB12_2999 Depth=2
	s_or_b32 exec_lo, exec_lo, s14
	v_and_b32_e32 v29, 0xffff0000, v51
	s_mov_b32 s14, exec_lo
                                        ; implicit-def: $vgpr35
	s_delay_alu instid0(VALU_DEP_1) | instskip(NEXT) | instid1(VALU_DEP_1)
	v_mul_f32_e32 v29, v33, v29
	v_and_b32_e32 v30, 0x7f800000, v29
	s_delay_alu instid0(VALU_DEP_1)
	v_cmpx_ne_u32_e32 0x7f800000, v30
	s_xor_b32 s14, exec_lo, s14
; %bb.5139:                             ;   in Loop: Header=BB12_2999 Depth=2
	v_bfe_u32 v30, v29, 16, 1
	s_delay_alu instid0(VALU_DEP_1)
	v_add3_u32 v35, v29, v30, 0x7fff
                                        ; implicit-def: $vgpr29
; %bb.5140:                             ;   in Loop: Header=BB12_2999 Depth=2
	s_and_not1_saveexec_b32 s14, s14
; %bb.5141:                             ;   in Loop: Header=BB12_2999 Depth=2
	v_and_b32_e32 v30, 0xffff, v29
	v_or_b32_e32 v32, 0x10000, v29
	s_delay_alu instid0(VALU_DEP_2) | instskip(NEXT) | instid1(VALU_DEP_2)
	v_cmp_eq_u32_e32 vcc_lo, 0, v30
	v_cndmask_b32_e32 v35, v32, v29, vcc_lo
; %bb.5142:                             ;   in Loop: Header=BB12_2999 Depth=2
	s_or_b32 exec_lo, exec_lo, s14
	v_lshlrev_b32_e32 v29, 16, v24
	s_mov_b32 s14, exec_lo
                                        ; implicit-def: $vgpr36
	s_delay_alu instid0(VALU_DEP_1) | instskip(NEXT) | instid1(VALU_DEP_1)
	v_mul_f32_e32 v29, v33, v29
	v_and_b32_e32 v30, 0x7f800000, v29
	s_delay_alu instid0(VALU_DEP_1)
	v_cmpx_ne_u32_e32 0x7f800000, v30
	s_xor_b32 s14, exec_lo, s14
; %bb.5143:                             ;   in Loop: Header=BB12_2999 Depth=2
	v_bfe_u32 v30, v29, 16, 1
	s_delay_alu instid0(VALU_DEP_1)
	v_add3_u32 v36, v29, v30, 0x7fff
                                        ; implicit-def: $vgpr29
; %bb.5144:                             ;   in Loop: Header=BB12_2999 Depth=2
	s_and_not1_saveexec_b32 s14, s14
; %bb.5145:                             ;   in Loop: Header=BB12_2999 Depth=2
	v_and_b32_e32 v30, 0xffff, v29
	v_or_b32_e32 v32, 0x10000, v29
	s_delay_alu instid0(VALU_DEP_2) | instskip(NEXT) | instid1(VALU_DEP_2)
	v_cmp_eq_u32_e32 vcc_lo, 0, v30
	v_cndmask_b32_e32 v36, v32, v29, vcc_lo
; %bb.5146:                             ;   in Loop: Header=BB12_2999 Depth=2
	s_or_b32 exec_lo, exec_lo, s14
	v_and_b32_e32 v24, 0xffff0000, v24
	s_mov_b32 s14, exec_lo
                                        ; implicit-def: $vgpr32
	s_delay_alu instid0(VALU_DEP_1) | instskip(NEXT) | instid1(VALU_DEP_1)
	v_mul_f32_e32 v24, v33, v24
	v_and_b32_e32 v29, 0x7f800000, v24
	s_delay_alu instid0(VALU_DEP_1)
	v_cmpx_ne_u32_e32 0x7f800000, v29
	s_xor_b32 s14, exec_lo, s14
; %bb.5147:                             ;   in Loop: Header=BB12_2999 Depth=2
	v_bfe_u32 v29, v24, 16, 1
	s_delay_alu instid0(VALU_DEP_1)
	v_add3_u32 v32, v24, v29, 0x7fff
                                        ; implicit-def: $vgpr24
; %bb.5148:                             ;   in Loop: Header=BB12_2999 Depth=2
	s_and_not1_saveexec_b32 s14, s14
; %bb.5149:                             ;   in Loop: Header=BB12_2999 Depth=2
	v_and_b32_e32 v29, 0xffff, v24
	v_or_b32_e32 v30, 0x10000, v24
	s_delay_alu instid0(VALU_DEP_2) | instskip(NEXT) | instid1(VALU_DEP_2)
	v_cmp_eq_u32_e32 vcc_lo, 0, v29
	v_cndmask_b32_e32 v32, v30, v24, vcc_lo
; %bb.5150:                             ;   in Loop: Header=BB12_2999 Depth=2
	s_or_b32 exec_lo, exec_lo, s14
	v_lshlrev_b32_e32 v24, 16, v25
	s_mov_b32 s14, exec_lo
                                        ; implicit-def: $vgpr34
	s_delay_alu instid0(VALU_DEP_1) | instskip(NEXT) | instid1(VALU_DEP_1)
	v_mul_f32_e32 v24, v33, v24
	v_and_b32_e32 v29, 0x7f800000, v24
	s_delay_alu instid0(VALU_DEP_1)
	v_cmpx_ne_u32_e32 0x7f800000, v29
	s_xor_b32 s14, exec_lo, s14
; %bb.5151:                             ;   in Loop: Header=BB12_2999 Depth=2
	v_bfe_u32 v29, v24, 16, 1
	s_delay_alu instid0(VALU_DEP_1)
	v_add3_u32 v34, v24, v29, 0x7fff
                                        ; implicit-def: $vgpr24
; %bb.5152:                             ;   in Loop: Header=BB12_2999 Depth=2
	s_and_not1_saveexec_b32 s14, s14
; %bb.5153:                             ;   in Loop: Header=BB12_2999 Depth=2
	v_and_b32_e32 v29, 0xffff, v24
	v_or_b32_e32 v30, 0x10000, v24
	s_delay_alu instid0(VALU_DEP_2) | instskip(NEXT) | instid1(VALU_DEP_2)
	v_cmp_eq_u32_e32 vcc_lo, 0, v29
	v_cndmask_b32_e32 v34, v30, v24, vcc_lo
; %bb.5154:                             ;   in Loop: Header=BB12_2999 Depth=2
	s_or_b32 exec_lo, exec_lo, s14
	v_and_b32_e32 v24, 0xffff0000, v25
	s_mov_b32 s14, exec_lo
                                        ; implicit-def: $vgpr29
	s_delay_alu instid0(VALU_DEP_1) | instskip(NEXT) | instid1(VALU_DEP_1)
	v_mul_f32_e32 v24, v33, v24
	v_and_b32_e32 v25, 0x7f800000, v24
	s_delay_alu instid0(VALU_DEP_1)
	v_cmpx_ne_u32_e32 0x7f800000, v25
	s_xor_b32 s14, exec_lo, s14
; %bb.5155:                             ;   in Loop: Header=BB12_2999 Depth=2
	v_bfe_u32 v25, v24, 16, 1
	s_delay_alu instid0(VALU_DEP_1)
	v_add3_u32 v29, v24, v25, 0x7fff
                                        ; implicit-def: $vgpr24
; %bb.5156:                             ;   in Loop: Header=BB12_2999 Depth=2
	s_and_not1_saveexec_b32 s14, s14
; %bb.5157:                             ;   in Loop: Header=BB12_2999 Depth=2
	v_and_b32_e32 v25, 0xffff, v24
	v_or_b32_e32 v29, 0x10000, v24
	s_delay_alu instid0(VALU_DEP_2) | instskip(NEXT) | instid1(VALU_DEP_2)
	v_cmp_eq_u32_e32 vcc_lo, 0, v25
	v_cndmask_b32_e32 v29, v29, v24, vcc_lo
; %bb.5158:                             ;   in Loop: Header=BB12_2999 Depth=2
	s_or_b32 exec_lo, exec_lo, s14
	v_lshlrev_b32_e32 v24, 16, v26
	s_mov_b32 s14, exec_lo
                                        ; implicit-def: $vgpr30
	s_delay_alu instid0(VALU_DEP_1) | instskip(NEXT) | instid1(VALU_DEP_1)
	v_mul_f32_e32 v24, v33, v24
	v_and_b32_e32 v25, 0x7f800000, v24
	s_delay_alu instid0(VALU_DEP_1)
	v_cmpx_ne_u32_e32 0x7f800000, v25
	s_xor_b32 s14, exec_lo, s14
; %bb.5159:                             ;   in Loop: Header=BB12_2999 Depth=2
	v_bfe_u32 v25, v24, 16, 1
	s_delay_alu instid0(VALU_DEP_1)
	v_add3_u32 v30, v24, v25, 0x7fff
                                        ; implicit-def: $vgpr24
; %bb.5160:                             ;   in Loop: Header=BB12_2999 Depth=2
	s_and_not1_saveexec_b32 s14, s14
; %bb.5161:                             ;   in Loop: Header=BB12_2999 Depth=2
	v_and_b32_e32 v25, 0xffff, v24
	v_or_b32_e32 v30, 0x10000, v24
	s_delay_alu instid0(VALU_DEP_2) | instskip(NEXT) | instid1(VALU_DEP_2)
	v_cmp_eq_u32_e32 vcc_lo, 0, v25
	v_cndmask_b32_e32 v30, v30, v24, vcc_lo
; %bb.5162:                             ;   in Loop: Header=BB12_2999 Depth=2
	s_or_b32 exec_lo, exec_lo, s14
	v_and_b32_e32 v24, 0xffff0000, v26
	s_delay_alu instid0(VALU_DEP_1) | instskip(NEXT) | instid1(VALU_DEP_1)
	v_mul_f32_e32 v24, v33, v24
	v_and_b32_e32 v25, 0x7f800000, v24
	s_delay_alu instid0(VALU_DEP_1) | instskip(SKIP_1) | instid1(SALU_CYCLE_1)
	v_cmp_ne_u32_e32 vcc_lo, 0x7f800000, v25
                                        ; implicit-def: $vgpr25
	s_and_saveexec_b32 s14, vcc_lo
	s_xor_b32 s14, exec_lo, s14
; %bb.5163:                             ;   in Loop: Header=BB12_2999 Depth=2
	v_bfe_u32 v25, v24, 16, 1
	s_delay_alu instid0(VALU_DEP_1)
	v_add3_u32 v25, v24, v25, 0x7fff
                                        ; implicit-def: $vgpr24
; %bb.5164:                             ;   in Loop: Header=BB12_2999 Depth=2
	s_and_not1_saveexec_b32 s14, s14
; %bb.5165:                             ;   in Loop: Header=BB12_2999 Depth=2
	v_and_b32_e32 v25, 0xffff, v24
	v_or_b32_e32 v26, 0x10000, v24
	s_delay_alu instid0(VALU_DEP_2) | instskip(NEXT) | instid1(VALU_DEP_2)
	v_cmp_eq_u32_e32 vcc_lo, 0, v25
	v_cndmask_b32_e32 v25, v26, v24, vcc_lo
; %bb.5166:                             ;   in Loop: Header=BB12_2999 Depth=2
	s_or_b32 exec_lo, exec_lo, s14
	v_lshlrev_b32_e32 v24, 16, v27
	s_delay_alu instid0(VALU_DEP_1) | instskip(NEXT) | instid1(VALU_DEP_1)
	v_mul_f32_e32 v24, v33, v24
	v_and_b32_e32 v26, 0x7f800000, v24
	s_delay_alu instid0(VALU_DEP_1) | instskip(SKIP_1) | instid1(SALU_CYCLE_1)
	v_cmp_ne_u32_e32 vcc_lo, 0x7f800000, v26
                                        ; implicit-def: $vgpr26
	s_and_saveexec_b32 s14, vcc_lo
	s_xor_b32 s14, exec_lo, s14
; %bb.5167:                             ;   in Loop: Header=BB12_2999 Depth=2
	v_bfe_u32 v26, v24, 16, 1
	s_delay_alu instid0(VALU_DEP_1)
	v_add3_u32 v26, v24, v26, 0x7fff
                                        ; implicit-def: $vgpr24
; %bb.5168:                             ;   in Loop: Header=BB12_2999 Depth=2
	s_and_not1_saveexec_b32 s14, s14
; %bb.5169:                             ;   in Loop: Header=BB12_2999 Depth=2
	v_and_b32_e32 v26, 0xffff, v24
	v_or_b32_e32 v49, 0x10000, v24
	s_delay_alu instid0(VALU_DEP_2) | instskip(NEXT) | instid1(VALU_DEP_2)
	v_cmp_eq_u32_e32 vcc_lo, 0, v26
	v_cndmask_b32_e32 v26, v49, v24, vcc_lo
; %bb.5170:                             ;   in Loop: Header=BB12_2999 Depth=2
	s_or_b32 exec_lo, exec_lo, s14
	v_and_b32_e32 v24, 0xffff0000, v27
	s_delay_alu instid0(VALU_DEP_1) | instskip(NEXT) | instid1(VALU_DEP_1)
	v_mul_f32_e32 v27, v33, v24
	v_and_b32_e32 v24, 0x7f800000, v27
	s_delay_alu instid0(VALU_DEP_1) | instskip(SKIP_1) | instid1(SALU_CYCLE_1)
	v_cmp_ne_u32_e32 vcc_lo, 0x7f800000, v24
                                        ; implicit-def: $vgpr24
	s_and_saveexec_b32 s14, vcc_lo
	s_xor_b32 s14, exec_lo, s14
; %bb.5171:                             ;   in Loop: Header=BB12_2999 Depth=2
	v_bfe_u32 v24, v27, 16, 1
	s_delay_alu instid0(VALU_DEP_1)
	v_add3_u32 v24, v27, v24, 0x7fff
                                        ; implicit-def: $vgpr27
; %bb.5172:                             ;   in Loop: Header=BB12_2999 Depth=2
	s_and_not1_saveexec_b32 s14, s14
; %bb.5173:                             ;   in Loop: Header=BB12_2999 Depth=2
	v_and_b32_e32 v24, 0xffff, v27
	v_or_b32_e32 v33, 0x10000, v27
	s_delay_alu instid0(VALU_DEP_2) | instskip(NEXT) | instid1(VALU_DEP_2)
	v_cmp_eq_u32_e32 vcc_lo, 0, v24
	v_cndmask_b32_e32 v24, v33, v27, vcc_lo
; %bb.5174:                             ;   in Loop: Header=BB12_2999 Depth=2
	s_or_b32 exec_lo, exec_lo, s14
	v_and_b32_e32 v1, 0xffff0000, v1
	v_lshlrev_b32_e32 v27, 16, v20
	s_delay_alu instid0(VALU_DEP_1) | instskip(NEXT) | instid1(VALU_DEP_1)
	v_add_f32_e32 v27, v27, v1
	v_and_b32_e32 v1, 0x7f800000, v27
	s_delay_alu instid0(VALU_DEP_1) | instskip(SKIP_1) | instid1(SALU_CYCLE_1)
	v_cmp_ne_u32_e32 vcc_lo, 0x7f800000, v1
                                        ; implicit-def: $vgpr1
	s_and_saveexec_b32 s14, vcc_lo
	s_xor_b32 s14, exec_lo, s14
; %bb.5175:                             ;   in Loop: Header=BB12_2999 Depth=2
	v_bfe_u32 v1, v27, 16, 1
	s_delay_alu instid0(VALU_DEP_1)
	v_add3_u32 v1, v27, v1, 0x7fff
                                        ; implicit-def: $vgpr27
; %bb.5176:                             ;   in Loop: Header=BB12_2999 Depth=2
	s_and_not1_saveexec_b32 s14, s14
; %bb.5177:                             ;   in Loop: Header=BB12_2999 Depth=2
	v_and_b32_e32 v1, 0xffff, v27
	v_or_b32_e32 v33, 0x10000, v27
	s_delay_alu instid0(VALU_DEP_2) | instskip(NEXT) | instid1(VALU_DEP_2)
	v_cmp_eq_u32_e32 vcc_lo, 0, v1
	v_cndmask_b32_e32 v1, v33, v27, vcc_lo
; %bb.5178:                             ;   in Loop: Header=BB12_2999 Depth=2
	s_or_b32 exec_lo, exec_lo, s14
	v_and_b32_e32 v20, 0xffff0000, v20
	v_and_b32_e32 v0, 0xffff0000, v0
	s_delay_alu instid0(VALU_DEP_1) | instskip(NEXT) | instid1(VALU_DEP_1)
	v_add_f32_e32 v0, v20, v0
	v_and_b32_e32 v20, 0x7f800000, v0
	s_delay_alu instid0(VALU_DEP_1) | instskip(SKIP_1) | instid1(SALU_CYCLE_1)
	v_cmp_ne_u32_e32 vcc_lo, 0x7f800000, v20
                                        ; implicit-def: $vgpr20
	s_and_saveexec_b32 s14, vcc_lo
	s_xor_b32 s14, exec_lo, s14
; %bb.5179:                             ;   in Loop: Header=BB12_2999 Depth=2
	v_bfe_u32 v20, v0, 16, 1
	s_delay_alu instid0(VALU_DEP_1)
	v_add3_u32 v20, v0, v20, 0x7fff
                                        ; implicit-def: $vgpr0
; %bb.5180:                             ;   in Loop: Header=BB12_2999 Depth=2
	s_and_not1_saveexec_b32 s14, s14
; %bb.5181:                             ;   in Loop: Header=BB12_2999 Depth=2
	v_and_b32_e32 v20, 0xffff, v0
	v_or_b32_e32 v27, 0x10000, v0
	s_delay_alu instid0(VALU_DEP_2) | instskip(NEXT) | instid1(VALU_DEP_2)
	v_cmp_eq_u32_e32 vcc_lo, 0, v20
	v_cndmask_b32_e32 v20, v27, v0, vcc_lo
; %bb.5182:                             ;   in Loop: Header=BB12_2999 Depth=2
	s_or_b32 exec_lo, exec_lo, s14
	v_and_b32_e32 v0, 0xffff0000, v85
	v_lshlrev_b32_e32 v27, 16, v21
	s_delay_alu instid0(VALU_DEP_1) | instskip(NEXT) | instid1(VALU_DEP_1)
	v_add_f32_e32 v27, v27, v0
	v_and_b32_e32 v0, 0x7f800000, v27
	s_delay_alu instid0(VALU_DEP_1) | instskip(SKIP_1) | instid1(SALU_CYCLE_1)
	v_cmp_ne_u32_e32 vcc_lo, 0x7f800000, v0
                                        ; implicit-def: $vgpr0
	s_and_saveexec_b32 s14, vcc_lo
	s_xor_b32 s14, exec_lo, s14
; %bb.5183:                             ;   in Loop: Header=BB12_2999 Depth=2
	v_bfe_u32 v0, v27, 16, 1
	s_delay_alu instid0(VALU_DEP_1)
	v_add3_u32 v0, v27, v0, 0x7fff
                                        ; implicit-def: $vgpr27
; %bb.5184:                             ;   in Loop: Header=BB12_2999 Depth=2
	s_and_not1_saveexec_b32 s14, s14
; %bb.5185:                             ;   in Loop: Header=BB12_2999 Depth=2
	v_and_b32_e32 v0, 0xffff, v27
	v_or_b32_e32 v33, 0x10000, v27
	s_delay_alu instid0(VALU_DEP_2) | instskip(NEXT) | instid1(VALU_DEP_2)
	v_cmp_eq_u32_e32 vcc_lo, 0, v0
	v_cndmask_b32_e32 v0, v33, v27, vcc_lo
; %bb.5186:                             ;   in Loop: Header=BB12_2999 Depth=2
	s_or_b32 exec_lo, exec_lo, s14
	v_and_b32_e32 v21, 0xffff0000, v21
	v_and_b32_e32 v27, 0xffff0000, v83
	s_delay_alu instid0(VALU_DEP_1) | instskip(NEXT) | instid1(VALU_DEP_1)
	v_add_f32_e32 v27, v21, v27
	v_and_b32_e32 v21, 0x7f800000, v27
	s_delay_alu instid0(VALU_DEP_1) | instskip(SKIP_1) | instid1(SALU_CYCLE_1)
	v_cmp_ne_u32_e32 vcc_lo, 0x7f800000, v21
                                        ; implicit-def: $vgpr21
	s_and_saveexec_b32 s14, vcc_lo
	s_xor_b32 s14, exec_lo, s14
; %bb.5187:                             ;   in Loop: Header=BB12_2999 Depth=2
	v_bfe_u32 v21, v27, 16, 1
	s_delay_alu instid0(VALU_DEP_1)
	v_add3_u32 v21, v27, v21, 0x7fff
                                        ; implicit-def: $vgpr27
; %bb.5188:                             ;   in Loop: Header=BB12_2999 Depth=2
	s_and_not1_saveexec_b32 s14, s14
; %bb.5189:                             ;   in Loop: Header=BB12_2999 Depth=2
	v_and_b32_e32 v21, 0xffff, v27
	v_or_b32_e32 v33, 0x10000, v27
	s_delay_alu instid0(VALU_DEP_2) | instskip(NEXT) | instid1(VALU_DEP_2)
	v_cmp_eq_u32_e32 vcc_lo, 0, v21
	v_cndmask_b32_e32 v21, v33, v27, vcc_lo
; %bb.5190:                             ;   in Loop: Header=BB12_2999 Depth=2
	s_or_b32 exec_lo, exec_lo, s14
	v_and_b32_e32 v27, 0xffff0000, v84
	v_lshlrev_b32_e32 v33, 16, v22
	s_delay_alu instid0(VALU_DEP_1) | instskip(NEXT) | instid1(VALU_DEP_1)
	v_add_f32_e32 v33, v33, v27
	v_and_b32_e32 v27, 0x7f800000, v33
	s_delay_alu instid0(VALU_DEP_1) | instskip(SKIP_1) | instid1(SALU_CYCLE_1)
	v_cmp_ne_u32_e32 vcc_lo, 0x7f800000, v27
                                        ; implicit-def: $vgpr27
	s_and_saveexec_b32 s14, vcc_lo
	s_xor_b32 s14, exec_lo, s14
; %bb.5191:                             ;   in Loop: Header=BB12_2999 Depth=2
	v_bfe_u32 v27, v33, 16, 1
	s_delay_alu instid0(VALU_DEP_1)
	v_add3_u32 v27, v33, v27, 0x7fff
                                        ; implicit-def: $vgpr33
; %bb.5192:                             ;   in Loop: Header=BB12_2999 Depth=2
	s_and_not1_saveexec_b32 s14, s14
; %bb.5193:                             ;   in Loop: Header=BB12_2999 Depth=2
	v_and_b32_e32 v27, 0xffff, v33
	v_or_b32_e32 v49, 0x10000, v33
	s_delay_alu instid0(VALU_DEP_2) | instskip(NEXT) | instid1(VALU_DEP_2)
	v_cmp_eq_u32_e32 vcc_lo, 0, v27
	v_cndmask_b32_e32 v27, v49, v33, vcc_lo
; %bb.5194:                             ;   in Loop: Header=BB12_2999 Depth=2
	s_or_b32 exec_lo, exec_lo, s14
	v_and_b32_e32 v22, 0xffff0000, v22
	v_and_b32_e32 v6, 0xffff0000, v6
	s_delay_alu instid0(VALU_DEP_1) | instskip(NEXT) | instid1(VALU_DEP_1)
	v_add_f32_e32 v22, v22, v6
	v_and_b32_e32 v6, 0x7f800000, v22
	s_delay_alu instid0(VALU_DEP_1) | instskip(SKIP_1) | instid1(SALU_CYCLE_1)
	v_cmp_ne_u32_e32 vcc_lo, 0x7f800000, v6
                                        ; implicit-def: $vgpr6
	s_and_saveexec_b32 s14, vcc_lo
	s_xor_b32 s14, exec_lo, s14
; %bb.5195:                             ;   in Loop: Header=BB12_2999 Depth=2
	v_bfe_u32 v6, v22, 16, 1
	s_delay_alu instid0(VALU_DEP_1)
	v_add3_u32 v6, v22, v6, 0x7fff
                                        ; implicit-def: $vgpr22
; %bb.5196:                             ;   in Loop: Header=BB12_2999 Depth=2
	s_and_not1_saveexec_b32 s14, s14
; %bb.5197:                             ;   in Loop: Header=BB12_2999 Depth=2
	v_and_b32_e32 v6, 0xffff, v22
	v_or_b32_e32 v33, 0x10000, v22
	s_delay_alu instid0(VALU_DEP_2) | instskip(NEXT) | instid1(VALU_DEP_2)
	v_cmp_eq_u32_e32 vcc_lo, 0, v6
	v_cndmask_b32_e32 v6, v33, v22, vcc_lo
; %bb.5198:                             ;   in Loop: Header=BB12_2999 Depth=2
	s_or_b32 exec_lo, exec_lo, s14
	v_and_b32_e32 v7, 0xffff0000, v7
	v_lshlrev_b32_e32 v22, 16, v23
	s_delay_alu instid0(VALU_DEP_1) | instskip(NEXT) | instid1(VALU_DEP_1)
	v_add_f32_e32 v22, v22, v7
	v_and_b32_e32 v7, 0x7f800000, v22
	s_delay_alu instid0(VALU_DEP_1) | instskip(SKIP_1) | instid1(SALU_CYCLE_1)
	v_cmp_ne_u32_e32 vcc_lo, 0x7f800000, v7
                                        ; implicit-def: $vgpr7
	s_and_saveexec_b32 s14, vcc_lo
	s_xor_b32 s14, exec_lo, s14
; %bb.5199:                             ;   in Loop: Header=BB12_2999 Depth=2
	v_bfe_u32 v7, v22, 16, 1
	s_delay_alu instid0(VALU_DEP_1)
	v_add3_u32 v7, v22, v7, 0x7fff
                                        ; implicit-def: $vgpr22
; %bb.5200:                             ;   in Loop: Header=BB12_2999 Depth=2
	s_and_not1_saveexec_b32 s14, s14
; %bb.5201:                             ;   in Loop: Header=BB12_2999 Depth=2
	v_and_b32_e32 v7, 0xffff, v22
	v_or_b32_e32 v33, 0x10000, v22
	s_delay_alu instid0(VALU_DEP_2) | instskip(NEXT) | instid1(VALU_DEP_2)
	v_cmp_eq_u32_e32 vcc_lo, 0, v7
	v_cndmask_b32_e32 v7, v33, v22, vcc_lo
; %bb.5202:                             ;   in Loop: Header=BB12_2999 Depth=2
	s_or_b32 exec_lo, exec_lo, s14
	v_and_b32_e32 v22, 0xffff0000, v23
	v_and_b32_e32 v23, 0xffff0000, v81
	s_delay_alu instid0(VALU_DEP_1) | instskip(NEXT) | instid1(VALU_DEP_1)
	v_add_f32_e32 v23, v22, v23
	v_and_b32_e32 v22, 0x7f800000, v23
	s_delay_alu instid0(VALU_DEP_1) | instskip(SKIP_1) | instid1(SALU_CYCLE_1)
	v_cmp_ne_u32_e32 vcc_lo, 0x7f800000, v22
                                        ; implicit-def: $vgpr22
	s_and_saveexec_b32 s14, vcc_lo
	s_xor_b32 s14, exec_lo, s14
; %bb.5203:                             ;   in Loop: Header=BB12_2999 Depth=2
	v_bfe_u32 v22, v23, 16, 1
	s_delay_alu instid0(VALU_DEP_1)
	v_add3_u32 v22, v23, v22, 0x7fff
                                        ; implicit-def: $vgpr23
; %bb.5204:                             ;   in Loop: Header=BB12_2999 Depth=2
	s_and_not1_saveexec_b32 s14, s14
; %bb.5205:                             ;   in Loop: Header=BB12_2999 Depth=2
	v_and_b32_e32 v22, 0xffff, v23
	v_or_b32_e32 v33, 0x10000, v23
	s_delay_alu instid0(VALU_DEP_2) | instskip(NEXT) | instid1(VALU_DEP_2)
	v_cmp_eq_u32_e32 vcc_lo, 0, v22
	v_cndmask_b32_e32 v22, v33, v23, vcc_lo
; %bb.5206:                             ;   in Loop: Header=BB12_2999 Depth=2
	s_or_b32 exec_lo, exec_lo, s14
	v_and_b32_e32 v23, 0xffff0000, v82
	v_lshlrev_b32_e32 v33, 16, v16
	s_delay_alu instid0(VALU_DEP_1) | instskip(NEXT) | instid1(VALU_DEP_1)
	v_add_f32_e32 v33, v33, v23
	v_and_b32_e32 v23, 0x7f800000, v33
	s_delay_alu instid0(VALU_DEP_1) | instskip(SKIP_1) | instid1(SALU_CYCLE_1)
	v_cmp_ne_u32_e32 vcc_lo, 0x7f800000, v23
                                        ; implicit-def: $vgpr23
	s_and_saveexec_b32 s14, vcc_lo
	s_xor_b32 s14, exec_lo, s14
; %bb.5207:                             ;   in Loop: Header=BB12_2999 Depth=2
	v_bfe_u32 v23, v33, 16, 1
	s_delay_alu instid0(VALU_DEP_1)
	v_add3_u32 v23, v33, v23, 0x7fff
                                        ; implicit-def: $vgpr33
; %bb.5208:                             ;   in Loop: Header=BB12_2999 Depth=2
	s_and_not1_saveexec_b32 s14, s14
; %bb.5209:                             ;   in Loop: Header=BB12_2999 Depth=2
	v_and_b32_e32 v23, 0xffff, v33
	v_or_b32_e32 v49, 0x10000, v33
	s_delay_alu instid0(VALU_DEP_2) | instskip(NEXT) | instid1(VALU_DEP_2)
	v_cmp_eq_u32_e32 vcc_lo, 0, v23
	v_cndmask_b32_e32 v23, v49, v33, vcc_lo
; %bb.5210:                             ;   in Loop: Header=BB12_2999 Depth=2
	s_or_b32 exec_lo, exec_lo, s14
	v_and_b32_e32 v16, 0xffff0000, v16
	v_and_b32_e32 v33, 0xffff0000, v68
	s_delay_alu instid0(VALU_DEP_1) | instskip(NEXT) | instid1(VALU_DEP_1)
	v_add_f32_e32 v33, v16, v33
	v_and_b32_e32 v16, 0x7f800000, v33
	s_delay_alu instid0(VALU_DEP_1) | instskip(SKIP_1) | instid1(SALU_CYCLE_1)
	v_cmp_ne_u32_e32 vcc_lo, 0x7f800000, v16
                                        ; implicit-def: $vgpr16
	s_and_saveexec_b32 s14, vcc_lo
	s_xor_b32 s14, exec_lo, s14
; %bb.5211:                             ;   in Loop: Header=BB12_2999 Depth=2
	v_bfe_u32 v16, v33, 16, 1
	s_delay_alu instid0(VALU_DEP_1)
	v_add3_u32 v16, v33, v16, 0x7fff
                                        ; implicit-def: $vgpr33
; %bb.5212:                             ;   in Loop: Header=BB12_2999 Depth=2
	s_and_not1_saveexec_b32 s14, s14
; %bb.5213:                             ;   in Loop: Header=BB12_2999 Depth=2
	v_and_b32_e32 v16, 0xffff, v33
	v_or_b32_e32 v49, 0x10000, v33
	s_delay_alu instid0(VALU_DEP_2) | instskip(NEXT) | instid1(VALU_DEP_2)
	v_cmp_eq_u32_e32 vcc_lo, 0, v16
	v_cndmask_b32_e32 v16, v49, v33, vcc_lo
; %bb.5214:                             ;   in Loop: Header=BB12_2999 Depth=2
	s_or_b32 exec_lo, exec_lo, s14
	v_and_b32_e32 v33, 0xffff0000, v80
	v_lshlrev_b32_e32 v49, 16, v17
	s_delay_alu instid0(VALU_DEP_1) | instskip(NEXT) | instid1(VALU_DEP_1)
	v_add_f32_e32 v49, v49, v33
	v_and_b32_e32 v33, 0x7f800000, v49
	s_delay_alu instid0(VALU_DEP_1) | instskip(SKIP_1) | instid1(SALU_CYCLE_1)
	v_cmp_ne_u32_e32 vcc_lo, 0x7f800000, v33
                                        ; implicit-def: $vgpr33
	s_and_saveexec_b32 s14, vcc_lo
	s_xor_b32 s14, exec_lo, s14
; %bb.5215:                             ;   in Loop: Header=BB12_2999 Depth=2
	v_bfe_u32 v33, v49, 16, 1
	s_delay_alu instid0(VALU_DEP_1)
	v_add3_u32 v33, v49, v33, 0x7fff
                                        ; implicit-def: $vgpr49
; %bb.5216:                             ;   in Loop: Header=BB12_2999 Depth=2
	s_and_not1_saveexec_b32 s14, s14
; %bb.5217:                             ;   in Loop: Header=BB12_2999 Depth=2
	v_and_b32_e32 v33, 0xffff, v49
	v_or_b32_e32 v50, 0x10000, v49
	s_delay_alu instid0(VALU_DEP_2) | instskip(NEXT) | instid1(VALU_DEP_2)
	v_cmp_eq_u32_e32 vcc_lo, 0, v33
	v_cndmask_b32_e32 v33, v50, v49, vcc_lo
; %bb.5218:                             ;   in Loop: Header=BB12_2999 Depth=2
	s_or_b32 exec_lo, exec_lo, s14
	v_and_b32_e32 v17, 0xffff0000, v17
	v_and_b32_e32 v49, 0xffff0000, v66
	s_delay_alu instid0(VALU_DEP_1) | instskip(NEXT) | instid1(VALU_DEP_1)
	v_add_f32_e32 v49, v17, v49
	v_and_b32_e32 v17, 0x7f800000, v49
	s_delay_alu instid0(VALU_DEP_1) | instskip(SKIP_1) | instid1(SALU_CYCLE_1)
	v_cmp_ne_u32_e32 vcc_lo, 0x7f800000, v17
                                        ; implicit-def: $vgpr17
	s_and_saveexec_b32 s14, vcc_lo
	s_xor_b32 s14, exec_lo, s14
; %bb.5219:                             ;   in Loop: Header=BB12_2999 Depth=2
	v_bfe_u32 v17, v49, 16, 1
	s_delay_alu instid0(VALU_DEP_1)
	v_add3_u32 v17, v49, v17, 0x7fff
                                        ; implicit-def: $vgpr49
; %bb.5220:                             ;   in Loop: Header=BB12_2999 Depth=2
	s_and_not1_saveexec_b32 s14, s14
; %bb.5221:                             ;   in Loop: Header=BB12_2999 Depth=2
	v_and_b32_e32 v17, 0xffff, v49
	v_or_b32_e32 v50, 0x10000, v49
	s_delay_alu instid0(VALU_DEP_2) | instskip(NEXT) | instid1(VALU_DEP_2)
	v_cmp_eq_u32_e32 vcc_lo, 0, v17
	v_cndmask_b32_e32 v17, v50, v49, vcc_lo
; %bb.5222:                             ;   in Loop: Header=BB12_2999 Depth=2
	s_or_b32 exec_lo, exec_lo, s14
	v_and_b32_e32 v49, 0xffff0000, v67
	v_lshlrev_b32_e32 v50, 16, v18
	s_delay_alu instid0(VALU_DEP_1) | instskip(NEXT) | instid1(VALU_DEP_1)
	v_add_f32_e32 v50, v50, v49
	v_and_b32_e32 v49, 0x7f800000, v50
	s_delay_alu instid0(VALU_DEP_1) | instskip(SKIP_1) | instid1(SALU_CYCLE_1)
	v_cmp_ne_u32_e32 vcc_lo, 0x7f800000, v49
                                        ; implicit-def: $vgpr49
	s_and_saveexec_b32 s14, vcc_lo
	s_xor_b32 s14, exec_lo, s14
; %bb.5223:                             ;   in Loop: Header=BB12_2999 Depth=2
	v_bfe_u32 v49, v50, 16, 1
	s_delay_alu instid0(VALU_DEP_1)
	v_add3_u32 v49, v50, v49, 0x7fff
                                        ; implicit-def: $vgpr50
; %bb.5224:                             ;   in Loop: Header=BB12_2999 Depth=2
	s_and_not1_saveexec_b32 s14, s14
; %bb.5225:                             ;   in Loop: Header=BB12_2999 Depth=2
	v_and_b32_e32 v49, 0xffff, v50
	v_or_b32_e32 v51, 0x10000, v50
	s_delay_alu instid0(VALU_DEP_2) | instskip(NEXT) | instid1(VALU_DEP_2)
	v_cmp_eq_u32_e32 vcc_lo, 0, v49
	v_cndmask_b32_e32 v49, v51, v50, vcc_lo
; %bb.5226:                             ;   in Loop: Header=BB12_2999 Depth=2
	s_or_b32 exec_lo, exec_lo, s14
	v_and_b32_e32 v18, 0xffff0000, v18
	v_and_b32_e32 v50, 0xffff0000, v64
	s_delay_alu instid0(VALU_DEP_1) | instskip(NEXT) | instid1(VALU_DEP_1)
	v_add_f32_e32 v50, v18, v50
	v_and_b32_e32 v18, 0x7f800000, v50
	s_delay_alu instid0(VALU_DEP_1) | instskip(SKIP_1) | instid1(SALU_CYCLE_1)
	v_cmp_ne_u32_e32 vcc_lo, 0x7f800000, v18
                                        ; implicit-def: $vgpr18
	s_and_saveexec_b32 s14, vcc_lo
	s_xor_b32 s14, exec_lo, s14
; %bb.5227:                             ;   in Loop: Header=BB12_2999 Depth=2
	v_bfe_u32 v18, v50, 16, 1
	s_delay_alu instid0(VALU_DEP_1)
	v_add3_u32 v18, v50, v18, 0x7fff
                                        ; implicit-def: $vgpr50
; %bb.5228:                             ;   in Loop: Header=BB12_2999 Depth=2
	s_and_not1_saveexec_b32 s14, s14
; %bb.5229:                             ;   in Loop: Header=BB12_2999 Depth=2
	v_and_b32_e32 v18, 0xffff, v50
	v_or_b32_e32 v51, 0x10000, v50
	s_delay_alu instid0(VALU_DEP_2) | instskip(NEXT) | instid1(VALU_DEP_2)
	v_cmp_eq_u32_e32 vcc_lo, 0, v18
	v_cndmask_b32_e32 v18, v51, v50, vcc_lo
; %bb.5230:                             ;   in Loop: Header=BB12_2999 Depth=2
	s_or_b32 exec_lo, exec_lo, s14
	v_and_b32_e32 v50, 0xffff0000, v65
	v_lshlrev_b32_e32 v51, 16, v19
	s_delay_alu instid0(VALU_DEP_1) | instskip(NEXT) | instid1(VALU_DEP_1)
	v_add_f32_e32 v51, v51, v50
	v_and_b32_e32 v50, 0x7f800000, v51
	s_delay_alu instid0(VALU_DEP_1) | instskip(SKIP_1) | instid1(SALU_CYCLE_1)
	v_cmp_ne_u32_e32 vcc_lo, 0x7f800000, v50
                                        ; implicit-def: $vgpr50
	s_and_saveexec_b32 s14, vcc_lo
	s_xor_b32 s14, exec_lo, s14
; %bb.5231:                             ;   in Loop: Header=BB12_2999 Depth=2
	v_bfe_u32 v50, v51, 16, 1
	s_delay_alu instid0(VALU_DEP_1)
	v_add3_u32 v50, v51, v50, 0x7fff
                                        ; implicit-def: $vgpr51
; %bb.5232:                             ;   in Loop: Header=BB12_2999 Depth=2
	s_and_not1_saveexec_b32 s14, s14
; %bb.5233:                             ;   in Loop: Header=BB12_2999 Depth=2
	v_and_b32_e32 v50, 0xffff, v51
	v_or_b32_e32 v64, 0x10000, v51
	s_delay_alu instid0(VALU_DEP_2) | instskip(NEXT) | instid1(VALU_DEP_2)
	v_cmp_eq_u32_e32 vcc_lo, 0, v50
	v_cndmask_b32_e32 v50, v64, v51, vcc_lo
; %bb.5234:                             ;   in Loop: Header=BB12_2999 Depth=2
	s_or_b32 exec_lo, exec_lo, s14
	v_and_b32_e32 v19, 0xffff0000, v19
	v_and_b32_e32 v51, 0xffff0000, v54
	s_delay_alu instid0(VALU_DEP_1) | instskip(NEXT) | instid1(VALU_DEP_1)
	v_add_f32_e32 v51, v19, v51
	v_and_b32_e32 v19, 0x7f800000, v51
	s_delay_alu instid0(VALU_DEP_1) | instskip(SKIP_1) | instid1(SALU_CYCLE_1)
	v_cmp_ne_u32_e32 vcc_lo, 0x7f800000, v19
                                        ; implicit-def: $vgpr19
	s_and_saveexec_b32 s14, vcc_lo
	s_xor_b32 s14, exec_lo, s14
; %bb.5235:                             ;   in Loop: Header=BB12_2999 Depth=2
	v_bfe_u32 v19, v51, 16, 1
	s_delay_alu instid0(VALU_DEP_1)
	v_add3_u32 v19, v51, v19, 0x7fff
                                        ; implicit-def: $vgpr51
; %bb.5236:                             ;   in Loop: Header=BB12_2999 Depth=2
	s_and_not1_saveexec_b32 s14, s14
; %bb.5237:                             ;   in Loop: Header=BB12_2999 Depth=2
	v_and_b32_e32 v19, 0xffff, v51
	v_or_b32_e32 v54, 0x10000, v51
	s_delay_alu instid0(VALU_DEP_2) | instskip(NEXT) | instid1(VALU_DEP_2)
	v_cmp_eq_u32_e32 vcc_lo, 0, v19
	v_cndmask_b32_e32 v19, v54, v51, vcc_lo
; %bb.5238:                             ;   in Loop: Header=BB12_2999 Depth=2
	s_or_b32 exec_lo, exec_lo, s14
	v_and_b32_e32 v51, 0xffff0000, v55
	v_lshlrev_b32_e32 v54, 16, v12
	s_delay_alu instid0(VALU_DEP_1) | instskip(NEXT) | instid1(VALU_DEP_1)
	v_add_f32_e32 v54, v54, v51
	v_and_b32_e32 v51, 0x7f800000, v54
	s_delay_alu instid0(VALU_DEP_1) | instskip(SKIP_1) | instid1(SALU_CYCLE_1)
	v_cmp_ne_u32_e32 vcc_lo, 0x7f800000, v51
                                        ; implicit-def: $vgpr51
	s_and_saveexec_b32 s14, vcc_lo
	s_xor_b32 s14, exec_lo, s14
; %bb.5239:                             ;   in Loop: Header=BB12_2999 Depth=2
	v_bfe_u32 v51, v54, 16, 1
	s_delay_alu instid0(VALU_DEP_1)
	v_add3_u32 v51, v54, v51, 0x7fff
                                        ; implicit-def: $vgpr54
; %bb.5240:                             ;   in Loop: Header=BB12_2999 Depth=2
	s_and_not1_saveexec_b32 s14, s14
; %bb.5241:                             ;   in Loop: Header=BB12_2999 Depth=2
	v_and_b32_e32 v51, 0xffff, v54
	v_or_b32_e32 v55, 0x10000, v54
	s_delay_alu instid0(VALU_DEP_2) | instskip(NEXT) | instid1(VALU_DEP_2)
	v_cmp_eq_u32_e32 vcc_lo, 0, v51
	v_cndmask_b32_e32 v51, v55, v54, vcc_lo
; %bb.5242:                             ;   in Loop: Header=BB12_2999 Depth=2
	s_or_b32 exec_lo, exec_lo, s14
	v_and_b32_e32 v12, 0xffff0000, v12
	v_and_b32_e32 v52, 0xffff0000, v52
	s_delay_alu instid0(VALU_DEP_1) | instskip(NEXT) | instid1(VALU_DEP_1)
	v_add_f32_e32 v52, v12, v52
	v_and_b32_e32 v12, 0x7f800000, v52
	s_delay_alu instid0(VALU_DEP_1) | instskip(SKIP_1) | instid1(SALU_CYCLE_1)
	v_cmp_ne_u32_e32 vcc_lo, 0x7f800000, v12
                                        ; implicit-def: $vgpr12
	s_and_saveexec_b32 s14, vcc_lo
	s_xor_b32 s14, exec_lo, s14
; %bb.5243:                             ;   in Loop: Header=BB12_2999 Depth=2
	v_bfe_u32 v12, v52, 16, 1
	s_delay_alu instid0(VALU_DEP_1)
	v_add3_u32 v12, v52, v12, 0x7fff
                                        ; implicit-def: $vgpr52
; %bb.5244:                             ;   in Loop: Header=BB12_2999 Depth=2
	s_and_not1_saveexec_b32 s14, s14
; %bb.5245:                             ;   in Loop: Header=BB12_2999 Depth=2
	v_and_b32_e32 v12, 0xffff, v52
	v_or_b32_e32 v54, 0x10000, v52
	s_delay_alu instid0(VALU_DEP_2) | instskip(NEXT) | instid1(VALU_DEP_2)
	v_cmp_eq_u32_e32 vcc_lo, 0, v12
	v_cndmask_b32_e32 v12, v54, v52, vcc_lo
; %bb.5246:                             ;   in Loop: Header=BB12_2999 Depth=2
	s_or_b32 exec_lo, exec_lo, s14
	v_and_b32_e32 v52, 0xffff0000, v53
	v_lshlrev_b32_e32 v53, 16, v13
	s_delay_alu instid0(VALU_DEP_1) | instskip(NEXT) | instid1(VALU_DEP_1)
	v_add_f32_e32 v53, v53, v52
	v_and_b32_e32 v52, 0x7f800000, v53
	s_delay_alu instid0(VALU_DEP_1) | instskip(SKIP_1) | instid1(SALU_CYCLE_1)
	v_cmp_ne_u32_e32 vcc_lo, 0x7f800000, v52
                                        ; implicit-def: $vgpr52
	s_and_saveexec_b32 s14, vcc_lo
	s_xor_b32 s14, exec_lo, s14
; %bb.5247:                             ;   in Loop: Header=BB12_2999 Depth=2
	v_bfe_u32 v52, v53, 16, 1
	s_delay_alu instid0(VALU_DEP_1)
	v_add3_u32 v52, v53, v52, 0x7fff
                                        ; implicit-def: $vgpr53
; %bb.5248:                             ;   in Loop: Header=BB12_2999 Depth=2
	s_and_not1_saveexec_b32 s14, s14
; %bb.5249:                             ;   in Loop: Header=BB12_2999 Depth=2
	v_and_b32_e32 v52, 0xffff, v53
	v_or_b32_e32 v54, 0x10000, v53
	s_delay_alu instid0(VALU_DEP_2) | instskip(NEXT) | instid1(VALU_DEP_2)
	v_cmp_eq_u32_e32 vcc_lo, 0, v52
	v_cndmask_b32_e32 v52, v54, v53, vcc_lo
; %bb.5250:                             ;   in Loop: Header=BB12_2999 Depth=2
	s_or_b32 exec_lo, exec_lo, s14
	v_and_b32_e32 v13, 0xffff0000, v13
	v_and_b32_e32 v39, 0xffff0000, v39
	s_delay_alu instid0(VALU_DEP_1) | instskip(NEXT) | instid1(VALU_DEP_1)
	v_add_f32_e32 v39, v13, v39
	v_and_b32_e32 v13, 0x7f800000, v39
	s_delay_alu instid0(VALU_DEP_1) | instskip(SKIP_1) | instid1(SALU_CYCLE_1)
	v_cmp_ne_u32_e32 vcc_lo, 0x7f800000, v13
                                        ; implicit-def: $vgpr13
	s_and_saveexec_b32 s14, vcc_lo
	s_xor_b32 s14, exec_lo, s14
; %bb.5251:                             ;   in Loop: Header=BB12_2999 Depth=2
	v_bfe_u32 v13, v39, 16, 1
	s_delay_alu instid0(VALU_DEP_1)
	v_add3_u32 v13, v39, v13, 0x7fff
                                        ; implicit-def: $vgpr39
; %bb.5252:                             ;   in Loop: Header=BB12_2999 Depth=2
	s_and_not1_saveexec_b32 s14, s14
; %bb.5253:                             ;   in Loop: Header=BB12_2999 Depth=2
	v_and_b32_e32 v13, 0xffff, v39
	v_or_b32_e32 v53, 0x10000, v39
	s_delay_alu instid0(VALU_DEP_2) | instskip(NEXT) | instid1(VALU_DEP_2)
	v_cmp_eq_u32_e32 vcc_lo, 0, v13
	v_cndmask_b32_e32 v13, v53, v39, vcc_lo
; %bb.5254:                             ;   in Loop: Header=BB12_2999 Depth=2
	s_or_b32 exec_lo, exec_lo, s14
	v_and_b32_e32 v39, 0xffff0000, v48
	v_lshlrev_b32_e32 v48, 16, v14
	s_delay_alu instid0(VALU_DEP_1) | instskip(NEXT) | instid1(VALU_DEP_1)
	v_add_f32_e32 v48, v48, v39
	v_and_b32_e32 v39, 0x7f800000, v48
	s_delay_alu instid0(VALU_DEP_1) | instskip(SKIP_1) | instid1(SALU_CYCLE_1)
	v_cmp_ne_u32_e32 vcc_lo, 0x7f800000, v39
                                        ; implicit-def: $vgpr39
	s_and_saveexec_b32 s14, vcc_lo
	s_xor_b32 s14, exec_lo, s14
; %bb.5255:                             ;   in Loop: Header=BB12_2999 Depth=2
	v_bfe_u32 v39, v48, 16, 1
	s_delay_alu instid0(VALU_DEP_1)
	v_add3_u32 v39, v48, v39, 0x7fff
                                        ; implicit-def: $vgpr48
; %bb.5256:                             ;   in Loop: Header=BB12_2999 Depth=2
	s_and_not1_saveexec_b32 s14, s14
; %bb.5257:                             ;   in Loop: Header=BB12_2999 Depth=2
	v_and_b32_e32 v39, 0xffff, v48
	v_or_b32_e32 v53, 0x10000, v48
	s_delay_alu instid0(VALU_DEP_2) | instskip(NEXT) | instid1(VALU_DEP_2)
	v_cmp_eq_u32_e32 vcc_lo, 0, v39
	v_cndmask_b32_e32 v39, v53, v48, vcc_lo
; %bb.5258:                             ;   in Loop: Header=BB12_2999 Depth=2
	s_or_b32 exec_lo, exec_lo, s14
	v_and_b32_e32 v14, 0xffff0000, v14
	v_and_b32_e32 v37, 0xffff0000, v37
	s_delay_alu instid0(VALU_DEP_1) | instskip(NEXT) | instid1(VALU_DEP_1)
	v_add_f32_e32 v37, v14, v37
	v_and_b32_e32 v14, 0x7f800000, v37
	s_delay_alu instid0(VALU_DEP_1) | instskip(SKIP_1) | instid1(SALU_CYCLE_1)
	v_cmp_ne_u32_e32 vcc_lo, 0x7f800000, v14
                                        ; implicit-def: $vgpr14
	s_and_saveexec_b32 s14, vcc_lo
	s_xor_b32 s14, exec_lo, s14
; %bb.5259:                             ;   in Loop: Header=BB12_2999 Depth=2
	v_bfe_u32 v14, v37, 16, 1
	s_delay_alu instid0(VALU_DEP_1)
	v_add3_u32 v14, v37, v14, 0x7fff
                                        ; implicit-def: $vgpr37
; %bb.5260:                             ;   in Loop: Header=BB12_2999 Depth=2
	s_and_not1_saveexec_b32 s14, s14
; %bb.5261:                             ;   in Loop: Header=BB12_2999 Depth=2
	v_and_b32_e32 v14, 0xffff, v37
	v_or_b32_e32 v48, 0x10000, v37
	s_delay_alu instid0(VALU_DEP_2) | instskip(NEXT) | instid1(VALU_DEP_2)
	v_cmp_eq_u32_e32 vcc_lo, 0, v14
	v_cndmask_b32_e32 v14, v48, v37, vcc_lo
; %bb.5262:                             ;   in Loop: Header=BB12_2999 Depth=2
	s_or_b32 exec_lo, exec_lo, s14
	v_and_b32_e32 v37, 0xffff0000, v38
	v_lshlrev_b32_e32 v38, 16, v15
	s_delay_alu instid0(VALU_DEP_1) | instskip(NEXT) | instid1(VALU_DEP_1)
	v_add_f32_e32 v38, v38, v37
	v_and_b32_e32 v37, 0x7f800000, v38
	s_delay_alu instid0(VALU_DEP_1) | instskip(SKIP_1) | instid1(SALU_CYCLE_1)
	v_cmp_ne_u32_e32 vcc_lo, 0x7f800000, v37
                                        ; implicit-def: $vgpr37
	s_and_saveexec_b32 s14, vcc_lo
	s_xor_b32 s14, exec_lo, s14
; %bb.5263:                             ;   in Loop: Header=BB12_2999 Depth=2
	v_bfe_u32 v37, v38, 16, 1
	s_delay_alu instid0(VALU_DEP_1)
	v_add3_u32 v37, v38, v37, 0x7fff
                                        ; implicit-def: $vgpr38
; %bb.5264:                             ;   in Loop: Header=BB12_2999 Depth=2
	s_and_not1_saveexec_b32 s14, s14
; %bb.5265:                             ;   in Loop: Header=BB12_2999 Depth=2
	v_and_b32_e32 v37, 0xffff, v38
	v_or_b32_e32 v48, 0x10000, v38
	s_delay_alu instid0(VALU_DEP_2) | instskip(NEXT) | instid1(VALU_DEP_2)
	v_cmp_eq_u32_e32 vcc_lo, 0, v37
	v_cndmask_b32_e32 v37, v48, v38, vcc_lo
; %bb.5266:                             ;   in Loop: Header=BB12_2999 Depth=2
	s_or_b32 exec_lo, exec_lo, s14
	v_and_b32_e32 v15, 0xffff0000, v15
	v_and_b32_e32 v35, 0xffff0000, v35
	s_delay_alu instid0(VALU_DEP_1) | instskip(NEXT) | instid1(VALU_DEP_1)
	v_add_f32_e32 v35, v15, v35
	v_and_b32_e32 v15, 0x7f800000, v35
	s_delay_alu instid0(VALU_DEP_1) | instskip(SKIP_1) | instid1(SALU_CYCLE_1)
	v_cmp_ne_u32_e32 vcc_lo, 0x7f800000, v15
                                        ; implicit-def: $vgpr15
	s_and_saveexec_b32 s14, vcc_lo
	s_xor_b32 s14, exec_lo, s14
; %bb.5267:                             ;   in Loop: Header=BB12_2999 Depth=2
	v_bfe_u32 v15, v35, 16, 1
	s_delay_alu instid0(VALU_DEP_1)
	v_add3_u32 v15, v35, v15, 0x7fff
                                        ; implicit-def: $vgpr35
; %bb.5268:                             ;   in Loop: Header=BB12_2999 Depth=2
	s_and_not1_saveexec_b32 s14, s14
; %bb.5269:                             ;   in Loop: Header=BB12_2999 Depth=2
	v_and_b32_e32 v15, 0xffff, v35
	v_or_b32_e32 v38, 0x10000, v35
	s_delay_alu instid0(VALU_DEP_2) | instskip(NEXT) | instid1(VALU_DEP_2)
	v_cmp_eq_u32_e32 vcc_lo, 0, v15
	v_cndmask_b32_e32 v15, v38, v35, vcc_lo
; %bb.5270:                             ;   in Loop: Header=BB12_2999 Depth=2
	s_or_b32 exec_lo, exec_lo, s14
	v_and_b32_e32 v35, 0xffff0000, v36
	v_lshlrev_b32_e32 v36, 16, v8
	s_delay_alu instid0(VALU_DEP_1) | instskip(NEXT) | instid1(VALU_DEP_1)
	v_add_f32_e32 v36, v36, v35
	v_and_b32_e32 v35, 0x7f800000, v36
	s_delay_alu instid0(VALU_DEP_1) | instskip(SKIP_1) | instid1(SALU_CYCLE_1)
	v_cmp_ne_u32_e32 vcc_lo, 0x7f800000, v35
                                        ; implicit-def: $vgpr35
	s_and_saveexec_b32 s14, vcc_lo
	s_xor_b32 s14, exec_lo, s14
; %bb.5271:                             ;   in Loop: Header=BB12_2999 Depth=2
	v_bfe_u32 v35, v36, 16, 1
	s_delay_alu instid0(VALU_DEP_1)
	v_add3_u32 v35, v36, v35, 0x7fff
                                        ; implicit-def: $vgpr36
; %bb.5272:                             ;   in Loop: Header=BB12_2999 Depth=2
	s_and_not1_saveexec_b32 s14, s14
; %bb.5273:                             ;   in Loop: Header=BB12_2999 Depth=2
	v_and_b32_e32 v35, 0xffff, v36
	v_or_b32_e32 v38, 0x10000, v36
	s_delay_alu instid0(VALU_DEP_2) | instskip(NEXT) | instid1(VALU_DEP_2)
	v_cmp_eq_u32_e32 vcc_lo, 0, v35
	v_cndmask_b32_e32 v35, v38, v36, vcc_lo
; %bb.5274:                             ;   in Loop: Header=BB12_2999 Depth=2
	s_or_b32 exec_lo, exec_lo, s14
	v_and_b32_e32 v8, 0xffff0000, v8
	v_and_b32_e32 v32, 0xffff0000, v32
	s_delay_alu instid0(VALU_DEP_1) | instskip(NEXT) | instid1(VALU_DEP_1)
	v_add_f32_e32 v32, v8, v32
	v_and_b32_e32 v8, 0x7f800000, v32
	s_delay_alu instid0(VALU_DEP_1) | instskip(SKIP_1) | instid1(SALU_CYCLE_1)
	v_cmp_ne_u32_e32 vcc_lo, 0x7f800000, v8
                                        ; implicit-def: $vgpr8
	s_and_saveexec_b32 s14, vcc_lo
	s_xor_b32 s14, exec_lo, s14
; %bb.5275:                             ;   in Loop: Header=BB12_2999 Depth=2
	v_bfe_u32 v8, v32, 16, 1
	s_delay_alu instid0(VALU_DEP_1)
	v_add3_u32 v8, v32, v8, 0x7fff
                                        ; implicit-def: $vgpr32
; %bb.5276:                             ;   in Loop: Header=BB12_2999 Depth=2
	s_and_not1_saveexec_b32 s14, s14
; %bb.5277:                             ;   in Loop: Header=BB12_2999 Depth=2
	v_and_b32_e32 v8, 0xffff, v32
	v_or_b32_e32 v36, 0x10000, v32
	s_delay_alu instid0(VALU_DEP_2) | instskip(NEXT) | instid1(VALU_DEP_2)
	v_cmp_eq_u32_e32 vcc_lo, 0, v8
	v_cndmask_b32_e32 v8, v36, v32, vcc_lo
; %bb.5278:                             ;   in Loop: Header=BB12_2999 Depth=2
	s_or_b32 exec_lo, exec_lo, s14
	v_and_b32_e32 v32, 0xffff0000, v34
	v_lshlrev_b32_e32 v34, 16, v9
	s_delay_alu instid0(VALU_DEP_1) | instskip(NEXT) | instid1(VALU_DEP_1)
	v_add_f32_e32 v34, v34, v32
	v_and_b32_e32 v32, 0x7f800000, v34
	s_delay_alu instid0(VALU_DEP_1) | instskip(SKIP_1) | instid1(SALU_CYCLE_1)
	v_cmp_ne_u32_e32 vcc_lo, 0x7f800000, v32
                                        ; implicit-def: $vgpr32
	s_and_saveexec_b32 s14, vcc_lo
	s_xor_b32 s14, exec_lo, s14
; %bb.5279:                             ;   in Loop: Header=BB12_2999 Depth=2
	v_bfe_u32 v32, v34, 16, 1
	s_delay_alu instid0(VALU_DEP_1)
	v_add3_u32 v32, v34, v32, 0x7fff
                                        ; implicit-def: $vgpr34
; %bb.5280:                             ;   in Loop: Header=BB12_2999 Depth=2
	s_and_not1_saveexec_b32 s14, s14
; %bb.5281:                             ;   in Loop: Header=BB12_2999 Depth=2
	v_and_b32_e32 v32, 0xffff, v34
	v_or_b32_e32 v36, 0x10000, v34
	s_delay_alu instid0(VALU_DEP_2) | instskip(NEXT) | instid1(VALU_DEP_2)
	v_cmp_eq_u32_e32 vcc_lo, 0, v32
	v_cndmask_b32_e32 v32, v36, v34, vcc_lo
; %bb.5282:                             ;   in Loop: Header=BB12_2999 Depth=2
	s_or_b32 exec_lo, exec_lo, s14
	v_and_b32_e32 v9, 0xffff0000, v9
	v_and_b32_e32 v29, 0xffff0000, v29
	s_delay_alu instid0(VALU_DEP_1) | instskip(NEXT) | instid1(VALU_DEP_1)
	v_add_f32_e32 v29, v9, v29
	v_and_b32_e32 v9, 0x7f800000, v29
	s_delay_alu instid0(VALU_DEP_1) | instskip(SKIP_1) | instid1(SALU_CYCLE_1)
	v_cmp_ne_u32_e32 vcc_lo, 0x7f800000, v9
                                        ; implicit-def: $vgpr9
	s_and_saveexec_b32 s14, vcc_lo
	s_xor_b32 s14, exec_lo, s14
; %bb.5283:                             ;   in Loop: Header=BB12_2999 Depth=2
	v_bfe_u32 v9, v29, 16, 1
	s_delay_alu instid0(VALU_DEP_1)
	v_add3_u32 v9, v29, v9, 0x7fff
                                        ; implicit-def: $vgpr29
; %bb.5284:                             ;   in Loop: Header=BB12_2999 Depth=2
	s_and_not1_saveexec_b32 s14, s14
; %bb.5285:                             ;   in Loop: Header=BB12_2999 Depth=2
	v_and_b32_e32 v9, 0xffff, v29
	v_or_b32_e32 v34, 0x10000, v29
	s_delay_alu instid0(VALU_DEP_2) | instskip(NEXT) | instid1(VALU_DEP_2)
	v_cmp_eq_u32_e32 vcc_lo, 0, v9
	v_cndmask_b32_e32 v9, v34, v29, vcc_lo
; %bb.5286:                             ;   in Loop: Header=BB12_2999 Depth=2
	s_or_b32 exec_lo, exec_lo, s14
	v_and_b32_e32 v29, 0xffff0000, v30
	v_lshlrev_b32_e32 v30, 16, v10
	s_delay_alu instid0(VALU_DEP_1) | instskip(NEXT) | instid1(VALU_DEP_1)
	v_add_f32_e32 v30, v30, v29
	v_and_b32_e32 v29, 0x7f800000, v30
	s_delay_alu instid0(VALU_DEP_1) | instskip(SKIP_1) | instid1(SALU_CYCLE_1)
	v_cmp_ne_u32_e32 vcc_lo, 0x7f800000, v29
                                        ; implicit-def: $vgpr29
	s_and_saveexec_b32 s14, vcc_lo
	s_xor_b32 s14, exec_lo, s14
; %bb.5287:                             ;   in Loop: Header=BB12_2999 Depth=2
	v_bfe_u32 v29, v30, 16, 1
	s_delay_alu instid0(VALU_DEP_1)
	v_add3_u32 v29, v30, v29, 0x7fff
                                        ; implicit-def: $vgpr30
; %bb.5288:                             ;   in Loop: Header=BB12_2999 Depth=2
	s_and_not1_saveexec_b32 s14, s14
; %bb.5289:                             ;   in Loop: Header=BB12_2999 Depth=2
	v_and_b32_e32 v29, 0xffff, v30
	v_or_b32_e32 v34, 0x10000, v30
	s_delay_alu instid0(VALU_DEP_2) | instskip(NEXT) | instid1(VALU_DEP_2)
	v_cmp_eq_u32_e32 vcc_lo, 0, v29
	v_cndmask_b32_e32 v29, v34, v30, vcc_lo
; %bb.5290:                             ;   in Loop: Header=BB12_2999 Depth=2
	s_or_b32 exec_lo, exec_lo, s14
	v_and_b32_e32 v10, 0xffff0000, v10
	v_and_b32_e32 v25, 0xffff0000, v25
	s_delay_alu instid0(VALU_DEP_1) | instskip(NEXT) | instid1(VALU_DEP_1)
	v_add_f32_e32 v25, v10, v25
	v_and_b32_e32 v10, 0x7f800000, v25
	s_delay_alu instid0(VALU_DEP_1) | instskip(SKIP_1) | instid1(SALU_CYCLE_1)
	v_cmp_ne_u32_e32 vcc_lo, 0x7f800000, v10
                                        ; implicit-def: $vgpr10
	s_and_saveexec_b32 s14, vcc_lo
	s_xor_b32 s14, exec_lo, s14
; %bb.5291:                             ;   in Loop: Header=BB12_2999 Depth=2
	v_bfe_u32 v10, v25, 16, 1
	s_delay_alu instid0(VALU_DEP_1)
	v_add3_u32 v10, v25, v10, 0x7fff
                                        ; implicit-def: $vgpr25
; %bb.5292:                             ;   in Loop: Header=BB12_2999 Depth=2
	s_and_not1_saveexec_b32 s14, s14
; %bb.5293:                             ;   in Loop: Header=BB12_2999 Depth=2
	v_and_b32_e32 v10, 0xffff, v25
	v_or_b32_e32 v30, 0x10000, v25
	s_delay_alu instid0(VALU_DEP_2) | instskip(NEXT) | instid1(VALU_DEP_2)
	v_cmp_eq_u32_e32 vcc_lo, 0, v10
	v_cndmask_b32_e32 v10, v30, v25, vcc_lo
; %bb.5294:                             ;   in Loop: Header=BB12_2999 Depth=2
	s_or_b32 exec_lo, exec_lo, s14
	v_and_b32_e32 v25, 0xffff0000, v26
	v_lshlrev_b32_e32 v26, 16, v11
	s_delay_alu instid0(VALU_DEP_1) | instskip(NEXT) | instid1(VALU_DEP_1)
	v_add_f32_e32 v26, v26, v25
	v_and_b32_e32 v25, 0x7f800000, v26
	s_delay_alu instid0(VALU_DEP_1) | instskip(SKIP_1) | instid1(SALU_CYCLE_1)
	v_cmp_ne_u32_e32 vcc_lo, 0x7f800000, v25
                                        ; implicit-def: $vgpr25
	s_and_saveexec_b32 s14, vcc_lo
	s_xor_b32 s14, exec_lo, s14
; %bb.5295:                             ;   in Loop: Header=BB12_2999 Depth=2
	v_bfe_u32 v25, v26, 16, 1
	s_delay_alu instid0(VALU_DEP_1)
	v_add3_u32 v25, v26, v25, 0x7fff
                                        ; implicit-def: $vgpr26
; %bb.5296:                             ;   in Loop: Header=BB12_2999 Depth=2
	s_and_not1_saveexec_b32 s14, s14
; %bb.5297:                             ;   in Loop: Header=BB12_2999 Depth=2
	v_and_b32_e32 v25, 0xffff, v26
	v_or_b32_e32 v30, 0x10000, v26
	s_delay_alu instid0(VALU_DEP_2) | instskip(NEXT) | instid1(VALU_DEP_2)
	v_cmp_eq_u32_e32 vcc_lo, 0, v25
	v_cndmask_b32_e32 v25, v30, v26, vcc_lo
; %bb.5298:                             ;   in Loop: Header=BB12_2999 Depth=2
	s_or_b32 exec_lo, exec_lo, s14
	v_and_b32_e32 v11, 0xffff0000, v11
	v_and_b32_e32 v24, 0xffff0000, v24
	s_delay_alu instid0(VALU_DEP_1) | instskip(NEXT) | instid1(VALU_DEP_1)
	v_add_f32_e32 v24, v11, v24
	v_and_b32_e32 v11, 0x7f800000, v24
	s_delay_alu instid0(VALU_DEP_1) | instskip(SKIP_1) | instid1(SALU_CYCLE_1)
	v_cmp_ne_u32_e32 vcc_lo, 0x7f800000, v11
                                        ; implicit-def: $vgpr11
	s_and_saveexec_b32 s14, vcc_lo
	s_xor_b32 s14, exec_lo, s14
; %bb.5299:                             ;   in Loop: Header=BB12_2999 Depth=2
	v_bfe_u32 v11, v24, 16, 1
	s_delay_alu instid0(VALU_DEP_1)
	v_add3_u32 v11, v24, v11, 0x7fff
                                        ; implicit-def: $vgpr24
; %bb.5300:                             ;   in Loop: Header=BB12_2999 Depth=2
	s_and_not1_saveexec_b32 s14, s14
; %bb.5301:                             ;   in Loop: Header=BB12_2999 Depth=2
	v_and_b32_e32 v11, 0xffff, v24
	v_or_b32_e32 v26, 0x10000, v24
	s_delay_alu instid0(VALU_DEP_2) | instskip(NEXT) | instid1(VALU_DEP_2)
	v_cmp_eq_u32_e32 vcc_lo, 0, v11
	v_cndmask_b32_e32 v11, v26, v24, vcc_lo
; %bb.5302:                             ;   in Loop: Header=BB12_2999 Depth=2
	s_or_b32 exec_lo, exec_lo, s14
	v_dual_lshrrev_b32 v24, 16, v52 :: v_dual_lshrrev_b32 v26, 16, v51
	v_dual_lshrrev_b32 v0, 16, v0 :: v_dual_lshrrev_b32 v1, 16, v1
	v_dual_lshrrev_b32 v33, 16, v33 :: v_dual_lshrrev_b32 v23, 16, v23
	s_delay_alu instid0(VALU_DEP_3)
	v_and_or_b32 v12, 0xffff0000, v12, v26
	v_lshrrev_b32_e32 v26, 16, v27
	v_dual_lshrrev_b32 v30, 16, v39 :: v_dual_lshrrev_b32 v34, 16, v37
	v_and_or_b32 v37, 0xffff0000, v21, v0
	v_lshrrev_b32_e32 v0, 16, v7
	v_and_or_b32 v13, 0xffff0000, v13, v24
	v_and_or_b32 v16, 0xffff0000, v16, v23
	v_dual_lshrrev_b32 v23, 16, v49 :: v_dual_lshrrev_b32 v24, 16, v50
	v_and_or_b32 v36, 0xffff0000, v20, v1
	v_lshrrev_b32_e32 v1, 16, v32
	v_and_or_b32 v38, 0xffff0000, v6, v26
	v_dual_lshrrev_b32 v6, 16, v35 :: v_dual_lshrrev_b32 v21, 16, v25
	v_lshrrev_b32_e32 v20, 16, v29
	v_and_or_b32 v39, 0xffff0000, v22, v0
	v_and_or_b32 v17, 0xffff0000, v17, v33
	;; [unrolled: 1-line block ×10, first 2 shown]
	s_clause 0x3
	global_store_b128 v[4:5], v[36:39], off th:TH_STORE_NT
	global_store_b128 v[4:5], v[16:19], off offset:512 th:TH_STORE_NT
	global_store_b128 v[4:5], v[12:15], off offset:1024 th:TH_STORE_NT
	;; [unrolled: 1-line block ×3, first 2 shown]
.LBB12_5303:                            ;   in Loop: Header=BB12_2999 Depth=2
	s_wait_xcnt 0x0
	s_or_b32 exec_lo, exec_lo, s13
	v_lshlrev_b32_e32 v18, 11, v2
	s_mov_b32 s77, exec_lo
                                        ; implicit-def: $vgpr2
                                        ; implicit-def: $vgpr0
                                        ; implicit-def: $vgpr16
	s_delay_alu instid0(VALU_DEP_1)
	v_cmpx_ne_u32_e64 v123, v18
	s_cbranch_execz .LBB12_5514
; %bb.5304:                             ;   in Loop: Header=BB12_2999 Depth=2
	scratch_load_b32 v1, off, s33 offset:328 ; 4-byte Folded Reload
	v_lshlrev_b32_e32 v0, 5, v31
	s_mov_b32 s15, 0
	s_mov_b32 s78, exec_lo
	v_sub_nc_u32_e32 v2, v123, v18
	s_wait_loadcnt 0x0
	s_delay_alu instid0(VALU_DEP_1) | instskip(NEXT) | instid1(VALU_DEP_1)
	v_dual_ashrrev_i32 v5, 31, v2 :: v_dual_sub_nc_u32 v0, v1, v0
	v_ashrrev_i32_e32 v1, 31, v0
	s_delay_alu instid0(VALU_DEP_1) | instskip(NEXT) | instid1(VALU_DEP_1)
	v_lshrrev_b32_e32 v1, 27, v1
	v_add_nc_u32_e32 v1, v0, v1
	s_delay_alu instid0(VALU_DEP_1) | instskip(NEXT) | instid1(VALU_DEP_1)
	v_and_b32_e32 v4, 0xffffffe0, v1
	v_dual_sub_nc_u32 v19, v0, v4 :: v_dual_lshrrev_b32 v0, 23, v5
	scratch_load_b64 v[4:5], off, s33 offset:340 ; 8-byte Folded Reload
	v_dual_ashrrev_i32 v6, 5, v1 :: v_dual_lshlrev_b32 v1, 4, v19
	v_add_nc_u32_e32 v0, v2, v0
	s_delay_alu instid0(VALU_DEP_2) | instskip(NEXT) | instid1(VALU_DEP_2)
	v_lshl_add_u32 v1, v6, 9, v1
	v_and_b32_e32 v20, 0xfffffe00, v0
	s_delay_alu instid0(VALU_DEP_2) | instskip(NEXT) | instid1(VALU_DEP_2)
	v_dual_ashrrev_i32 v0, 9, v0 :: v_dual_add_nc_u32 v8, v1, v18
	v_dual_sub_nc_u32 v21, v2, v20 :: v_dual_sub_nc_u32 v1, v2, v1
	s_delay_alu instid0(VALU_DEP_1) | instskip(NEXT) | instid1(VALU_DEP_1)
	v_cmp_lt_i32_e64 s13, 15, v21
	v_add_co_ci_u32_e64 v0, null, 0, v0, s13
	s_delay_alu instid0(VALU_DEP_1) | instskip(SKIP_1) | instid1(VALU_DEP_1)
	v_dual_ashrrev_i32 v9, 31, v8 :: v_dual_sub_nc_u32 v22, v0, v6
	s_wait_loadcnt 0x0
	v_add_nc_u64_e32 v[4:5], v[8:9], v[4:5]
	s_wait_xcnt 0x0
	v_cmpx_lt_i32_e32 15, v1
	s_cbranch_execz .LBB12_5445
; %bb.5305:                             ;   in Loop: Header=BB12_2999 Depth=2
	s_trap 2
	ds_load_b64 v[6:7], v0
	ds_load_b32 v0, v0
	v_add_nc_u64_e32 v[12:13], v[8:9], v[72:73]
	s_mov_b32 s89, 0
	s_mov_b32 s79, 0
                                        ; implicit-def: $sgpr88
	s_wait_dscnt 0x1
	v_add_nc_u64_e32 v[14:15], v[6:7], v[8:9]
	s_wait_dscnt 0x0
	v_lshlrev_b32_e32 v2, 16, v0
	s_branch .LBB12_5307
.LBB12_5306:                            ;   in Loop: Header=BB12_5307 Depth=3
	s_wait_xcnt 0x0
	s_or_b32 exec_lo, exec_lo, s14
	v_cmp_gt_i32_e32 vcc_lo, 16, v1
	s_or_b32 s79, vcc_lo, s79
	s_and_not1_b32 s14, s88, exec_lo
	s_and_b32 s15, s89, exec_lo
	s_delay_alu instid0(SALU_CYCLE_1)
	s_or_b32 s88, s14, s15
	s_and_not1_b32 exec_lo, exec_lo, s79
	s_cbranch_execz .LBB12_5444
.LBB12_5307:                            ;   Parent Loop BB12_47 Depth=1
                                        ;     Parent Loop BB12_2999 Depth=2
                                        ; =>    This Loop Header: Depth=3
                                        ;         Child Loop BB12_5308 Depth 4
                                        ;         Child Loop BB12_5377 Depth 4
	s_add_co_i32 s14, s33, 0xc0
	s_mov_b64 s[40:41], 0
	s_mov_b32 s90, s14
	s_mov_b32 s91, -1
.LBB12_5308:                            ;   Parent Loop BB12_47 Depth=1
                                        ;     Parent Loop BB12_2999 Depth=2
                                        ;       Parent Loop BB12_5307 Depth=3
                                        ; =>      This Inner Loop Header: Depth=4
	s_cmp_eq_u32 s40, 1
	s_cselect_b32 vcc_lo, -1, 0
	s_cmp_eq_u32 s40, 0
	v_dual_cndmask_b32 v11, v13, v15 :: v_dual_cndmask_b32 v10, v12, v14
	s_cselect_b32 s14, -1, 0
	s_and_b32 s15, exec_lo, s91
	s_mov_b64 s[40:41], 1
	s_mov_b32 s91, 0
	global_load_b128 v[6:9], v[10:11], off th:TH_LOAD_NT
	s_wait_xcnt 0x0
	v_add_nc_u64_e32 v[10:11], 0x200, v[10:11]
	s_delay_alu instid0(VALU_DEP_1)
	v_dual_cndmask_b32 v13, v13, v11, s14 :: v_dual_cndmask_b32 v12, v12, v10, s14
	v_dual_cndmask_b32 v15, v15, v11 :: v_dual_cndmask_b32 v14, v14, v10
	s_mov_b32 vcc_lo, s15
	s_wait_loadcnt 0x0
	scratch_store_b128 off, v[6:9], s90
	s_wait_xcnt 0x0
	s_mov_b32 s90, s60
	s_cbranch_vccnz .LBB12_5308
; %bb.5309:                             ;   in Loop: Header=BB12_5307 Depth=3
	s_and_saveexec_b32 s14, s89
	s_cbranch_execz .LBB12_5375
; %bb.5310:                             ;   in Loop: Header=BB12_5307 Depth=3
	scratch_load_b128 v[8:11], off, s33 offset:224
	s_wait_loadcnt 0x0
	v_lshlrev_b32_e32 v0, 16, v8
	s_delay_alu instid0(VALU_DEP_1) | instskip(NEXT) | instid1(VALU_DEP_1)
	v_mul_f32_e32 v0, v2, v0
	v_and_b32_e32 v6, 0x7f800000, v0
	s_delay_alu instid0(VALU_DEP_1) | instskip(SKIP_2) | instid1(SALU_CYCLE_1)
	v_cmp_ne_u32_e32 vcc_lo, 0x7f800000, v6
                                        ; implicit-def: $vgpr6
	s_wait_xcnt 0x0
	s_and_saveexec_b32 s15, vcc_lo
	s_xor_b32 s15, exec_lo, s15
; %bb.5311:                             ;   in Loop: Header=BB12_5307 Depth=3
	v_bfe_u32 v6, v0, 16, 1
	s_delay_alu instid0(VALU_DEP_1)
	v_add3_u32 v6, v0, v6, 0x7fff
                                        ; implicit-def: $vgpr0
; %bb.5312:                             ;   in Loop: Header=BB12_5307 Depth=3
	s_and_not1_saveexec_b32 s15, s15
; %bb.5313:                             ;   in Loop: Header=BB12_5307 Depth=3
	v_and_b32_e32 v6, 0xffff, v0
	v_or_b32_e32 v7, 0x10000, v0
	s_delay_alu instid0(VALU_DEP_2) | instskip(NEXT) | instid1(VALU_DEP_2)
	v_cmp_eq_u32_e32 vcc_lo, 0, v6
	v_cndmask_b32_e32 v6, v7, v0, vcc_lo
; %bb.5314:                             ;   in Loop: Header=BB12_5307 Depth=3
	s_or_b32 exec_lo, exec_lo, s15
	v_and_b32_e32 v0, 0xffff0000, v8
	s_mov_b32 s15, exec_lo
                                        ; implicit-def: $vgpr16
	s_delay_alu instid0(VALU_DEP_1) | instskip(NEXT) | instid1(VALU_DEP_1)
	v_mul_f32_e32 v0, v2, v0
	v_and_b32_e32 v7, 0x7f800000, v0
	s_delay_alu instid0(VALU_DEP_1)
	v_cmpx_ne_u32_e32 0x7f800000, v7
	s_xor_b32 s15, exec_lo, s15
; %bb.5315:                             ;   in Loop: Header=BB12_5307 Depth=3
	v_bfe_u32 v7, v0, 16, 1
	s_delay_alu instid0(VALU_DEP_1)
	v_add3_u32 v16, v0, v7, 0x7fff
                                        ; implicit-def: $vgpr0
; %bb.5316:                             ;   in Loop: Header=BB12_5307 Depth=3
	s_and_not1_saveexec_b32 s15, s15
; %bb.5317:                             ;   in Loop: Header=BB12_5307 Depth=3
	v_and_b32_e32 v7, 0xffff, v0
	v_or_b32_e32 v8, 0x10000, v0
	s_delay_alu instid0(VALU_DEP_2) | instskip(NEXT) | instid1(VALU_DEP_2)
	v_cmp_eq_u32_e32 vcc_lo, 0, v7
	v_cndmask_b32_e32 v16, v8, v0, vcc_lo
; %bb.5318:                             ;   in Loop: Header=BB12_5307 Depth=3
	s_or_b32 exec_lo, exec_lo, s15
	v_lshlrev_b32_e32 v0, 16, v9
	s_mov_b32 s15, exec_lo
                                        ; implicit-def: $vgpr26
	s_delay_alu instid0(VALU_DEP_1) | instskip(NEXT) | instid1(VALU_DEP_1)
	v_mul_f32_e32 v0, v2, v0
	v_and_b32_e32 v7, 0x7f800000, v0
	s_delay_alu instid0(VALU_DEP_1)
	v_cmpx_ne_u32_e32 0x7f800000, v7
	s_xor_b32 s15, exec_lo, s15
; %bb.5319:                             ;   in Loop: Header=BB12_5307 Depth=3
	v_bfe_u32 v7, v0, 16, 1
	s_delay_alu instid0(VALU_DEP_1)
	v_add3_u32 v26, v0, v7, 0x7fff
                                        ; implicit-def: $vgpr0
; %bb.5320:                             ;   in Loop: Header=BB12_5307 Depth=3
	s_and_not1_saveexec_b32 s15, s15
; %bb.5321:                             ;   in Loop: Header=BB12_5307 Depth=3
	v_and_b32_e32 v7, 0xffff, v0
	v_or_b32_e32 v8, 0x10000, v0
	s_delay_alu instid0(VALU_DEP_2) | instskip(NEXT) | instid1(VALU_DEP_2)
	v_cmp_eq_u32_e32 vcc_lo, 0, v7
	v_cndmask_b32_e32 v26, v8, v0, vcc_lo
; %bb.5322:                             ;   in Loop: Header=BB12_5307 Depth=3
	s_or_b32 exec_lo, exec_lo, s15
	v_and_b32_e32 v0, 0xffff0000, v9
	s_mov_b32 s15, exec_lo
                                        ; implicit-def: $vgpr24
	s_delay_alu instid0(VALU_DEP_1) | instskip(NEXT) | instid1(VALU_DEP_1)
	v_mul_f32_e32 v0, v2, v0
	v_and_b32_e32 v7, 0x7f800000, v0
	s_delay_alu instid0(VALU_DEP_1)
	v_cmpx_ne_u32_e32 0x7f800000, v7
	s_xor_b32 s15, exec_lo, s15
; %bb.5323:                             ;   in Loop: Header=BB12_5307 Depth=3
	v_bfe_u32 v7, v0, 16, 1
	s_delay_alu instid0(VALU_DEP_1)
	v_add3_u32 v24, v0, v7, 0x7fff
                                        ; implicit-def: $vgpr0
; %bb.5324:                             ;   in Loop: Header=BB12_5307 Depth=3
	s_and_not1_saveexec_b32 s15, s15
; %bb.5325:                             ;   in Loop: Header=BB12_5307 Depth=3
	v_and_b32_e32 v7, 0xffff, v0
	v_or_b32_e32 v8, 0x10000, v0
	s_delay_alu instid0(VALU_DEP_2) | instskip(NEXT) | instid1(VALU_DEP_2)
	v_cmp_eq_u32_e32 vcc_lo, 0, v7
	v_cndmask_b32_e32 v24, v8, v0, vcc_lo
; %bb.5326:                             ;   in Loop: Header=BB12_5307 Depth=3
	s_or_b32 exec_lo, exec_lo, s15
	v_lshlrev_b32_e32 v0, 16, v10
	s_mov_b32 s15, exec_lo
                                        ; implicit-def: $vgpr25
	s_delay_alu instid0(VALU_DEP_1) | instskip(NEXT) | instid1(VALU_DEP_1)
	v_mul_f32_e32 v0, v2, v0
	v_and_b32_e32 v7, 0x7f800000, v0
	s_delay_alu instid0(VALU_DEP_1)
	v_cmpx_ne_u32_e32 0x7f800000, v7
	s_xor_b32 s15, exec_lo, s15
; %bb.5327:                             ;   in Loop: Header=BB12_5307 Depth=3
	v_bfe_u32 v7, v0, 16, 1
	s_delay_alu instid0(VALU_DEP_1)
	v_add3_u32 v25, v0, v7, 0x7fff
                                        ; implicit-def: $vgpr0
; %bb.5328:                             ;   in Loop: Header=BB12_5307 Depth=3
	s_and_not1_saveexec_b32 s15, s15
; %bb.5329:                             ;   in Loop: Header=BB12_5307 Depth=3
	v_and_b32_e32 v7, 0xffff, v0
	v_or_b32_e32 v8, 0x10000, v0
	s_delay_alu instid0(VALU_DEP_2) | instskip(NEXT) | instid1(VALU_DEP_2)
	v_cmp_eq_u32_e32 vcc_lo, 0, v7
	v_cndmask_b32_e32 v25, v8, v0, vcc_lo
; %bb.5330:                             ;   in Loop: Header=BB12_5307 Depth=3
	s_or_b32 exec_lo, exec_lo, s15
	v_and_b32_e32 v0, 0xffff0000, v10
	s_delay_alu instid0(VALU_DEP_1) | instskip(NEXT) | instid1(VALU_DEP_1)
	v_mul_f32_e32 v0, v2, v0
	v_and_b32_e32 v7, 0x7f800000, v0
	s_delay_alu instid0(VALU_DEP_1) | instskip(SKIP_1) | instid1(SALU_CYCLE_1)
	v_cmp_ne_u32_e32 vcc_lo, 0x7f800000, v7
                                        ; implicit-def: $vgpr7
	s_and_saveexec_b32 s15, vcc_lo
	s_xor_b32 s15, exec_lo, s15
; %bb.5331:                             ;   in Loop: Header=BB12_5307 Depth=3
	v_bfe_u32 v7, v0, 16, 1
	s_delay_alu instid0(VALU_DEP_1)
	v_add3_u32 v7, v0, v7, 0x7fff
                                        ; implicit-def: $vgpr0
; %bb.5332:                             ;   in Loop: Header=BB12_5307 Depth=3
	s_and_not1_saveexec_b32 s15, s15
; %bb.5333:                             ;   in Loop: Header=BB12_5307 Depth=3
	v_and_b32_e32 v7, 0xffff, v0
	v_or_b32_e32 v8, 0x10000, v0
	s_delay_alu instid0(VALU_DEP_2) | instskip(NEXT) | instid1(VALU_DEP_2)
	v_cmp_eq_u32_e32 vcc_lo, 0, v7
	v_cndmask_b32_e32 v7, v8, v0, vcc_lo
; %bb.5334:                             ;   in Loop: Header=BB12_5307 Depth=3
	s_or_b32 exec_lo, exec_lo, s15
	v_lshlrev_b32_e32 v0, 16, v11
	s_mov_b32 s15, exec_lo
                                        ; implicit-def: $vgpr23
	s_delay_alu instid0(VALU_DEP_1) | instskip(NEXT) | instid1(VALU_DEP_1)
	v_mul_f32_e32 v0, v2, v0
	v_and_b32_e32 v8, 0x7f800000, v0
	s_delay_alu instid0(VALU_DEP_1)
	v_cmpx_ne_u32_e32 0x7f800000, v8
	s_xor_b32 s15, exec_lo, s15
; %bb.5335:                             ;   in Loop: Header=BB12_5307 Depth=3
	v_bfe_u32 v8, v0, 16, 1
	s_delay_alu instid0(VALU_DEP_1)
	v_add3_u32 v23, v0, v8, 0x7fff
                                        ; implicit-def: $vgpr0
; %bb.5336:                             ;   in Loop: Header=BB12_5307 Depth=3
	s_and_not1_saveexec_b32 s15, s15
; %bb.5337:                             ;   in Loop: Header=BB12_5307 Depth=3
	v_and_b32_e32 v8, 0xffff, v0
	v_or_b32_e32 v9, 0x10000, v0
	s_delay_alu instid0(VALU_DEP_2) | instskip(NEXT) | instid1(VALU_DEP_2)
	v_cmp_eq_u32_e32 vcc_lo, 0, v8
	v_cndmask_b32_e32 v23, v9, v0, vcc_lo
; %bb.5338:                             ;   in Loop: Header=BB12_5307 Depth=3
	s_or_b32 exec_lo, exec_lo, s15
	v_and_b32_e32 v0, 0xffff0000, v11
	s_delay_alu instid0(VALU_DEP_1) | instskip(NEXT) | instid1(VALU_DEP_1)
	v_mul_f32_e32 v8, v2, v0
	v_and_b32_e32 v0, 0x7f800000, v8
	s_delay_alu instid0(VALU_DEP_1) | instskip(SKIP_1) | instid1(SALU_CYCLE_1)
	v_cmp_ne_u32_e32 vcc_lo, 0x7f800000, v0
                                        ; implicit-def: $vgpr0
	s_and_saveexec_b32 s15, vcc_lo
	s_xor_b32 s15, exec_lo, s15
; %bb.5339:                             ;   in Loop: Header=BB12_5307 Depth=3
	v_bfe_u32 v0, v8, 16, 1
	s_delay_alu instid0(VALU_DEP_1)
	v_add3_u32 v0, v8, v0, 0x7fff
                                        ; implicit-def: $vgpr8
; %bb.5340:                             ;   in Loop: Header=BB12_5307 Depth=3
	s_and_not1_saveexec_b32 s15, s15
; %bb.5341:                             ;   in Loop: Header=BB12_5307 Depth=3
	v_and_b32_e32 v0, 0xffff, v8
	v_or_b32_e32 v9, 0x10000, v8
	s_delay_alu instid0(VALU_DEP_2) | instskip(NEXT) | instid1(VALU_DEP_2)
	v_cmp_eq_u32_e32 vcc_lo, 0, v0
	v_cndmask_b32_e32 v0, v9, v8, vcc_lo
; %bb.5342:                             ;   in Loop: Header=BB12_5307 Depth=3
	s_or_b32 exec_lo, exec_lo, s15
	scratch_load_b128 v[8:11], off, s33 offset:240
	v_and_b32_e32 v6, 0xffff0000, v6
	s_wait_loadcnt 0x0
	v_lshlrev_b32_e32 v17, 16, v8
	s_delay_alu instid0(VALU_DEP_1) | instskip(NEXT) | instid1(VALU_DEP_1)
	v_add_f32_e32 v17, v6, v17
	v_and_b32_e32 v6, 0x7f800000, v17
	s_delay_alu instid0(VALU_DEP_1) | instskip(SKIP_2) | instid1(SALU_CYCLE_1)
	v_cmp_ne_u32_e32 vcc_lo, 0x7f800000, v6
                                        ; implicit-def: $vgpr6
	s_wait_xcnt 0x0
	s_and_saveexec_b32 s15, vcc_lo
	s_xor_b32 s15, exec_lo, s15
; %bb.5343:                             ;   in Loop: Header=BB12_5307 Depth=3
	v_bfe_u32 v6, v17, 16, 1
	s_delay_alu instid0(VALU_DEP_1)
	v_add3_u32 v6, v17, v6, 0x7fff
                                        ; implicit-def: $vgpr17
; %bb.5344:                             ;   in Loop: Header=BB12_5307 Depth=3
	s_and_not1_saveexec_b32 s15, s15
; %bb.5345:                             ;   in Loop: Header=BB12_5307 Depth=3
	v_and_b32_e32 v6, 0xffff, v17
	v_or_b32_e32 v27, 0x10000, v17
	s_delay_alu instid0(VALU_DEP_2) | instskip(NEXT) | instid1(VALU_DEP_2)
	v_cmp_eq_u32_e32 vcc_lo, 0, v6
	v_cndmask_b32_e32 v6, v27, v17, vcc_lo
; %bb.5346:                             ;   in Loop: Header=BB12_5307 Depth=3
	s_or_b32 exec_lo, exec_lo, s15
	v_and_b32_e32 v17, 0xffff0000, v8
	v_and_b32_e32 v16, 0xffff0000, v16
	s_delay_alu instid0(VALU_DEP_2) | instskip(NEXT) | instid1(VALU_DEP_1)
	v_mov_b32_e32 v8, v17
	v_pk_add_f32 v[16:17], v[8:9], v[16:17]
	s_delay_alu instid0(VALU_DEP_1) | instskip(NEXT) | instid1(VALU_DEP_1)
	v_and_b32_e32 v8, 0x7f800000, v16
	v_cmp_ne_u32_e32 vcc_lo, 0x7f800000, v8
                                        ; implicit-def: $vgpr8
	s_and_saveexec_b32 s15, vcc_lo
	s_delay_alu instid0(SALU_CYCLE_1)
	s_xor_b32 s15, exec_lo, s15
; %bb.5347:                             ;   in Loop: Header=BB12_5307 Depth=3
	v_bfe_u32 v8, v16, 16, 1
	s_delay_alu instid0(VALU_DEP_1)
	v_add3_u32 v8, v16, v8, 0x7fff
                                        ; implicit-def: $vgpr16_vgpr17
; %bb.5348:                             ;   in Loop: Header=BB12_5307 Depth=3
	s_and_not1_saveexec_b32 s15, s15
; %bb.5349:                             ;   in Loop: Header=BB12_5307 Depth=3
	v_and_b32_e32 v8, 0xffff, v16
	v_or_b32_e32 v17, 0x10000, v16
	s_delay_alu instid0(VALU_DEP_2) | instskip(NEXT) | instid1(VALU_DEP_2)
	v_cmp_eq_u32_e32 vcc_lo, 0, v8
	v_cndmask_b32_e32 v8, v17, v16, vcc_lo
; %bb.5350:                             ;   in Loop: Header=BB12_5307 Depth=3
	s_or_b32 exec_lo, exec_lo, s15
	v_and_b32_e32 v16, 0xffff0000, v26
	v_lshlrev_b32_e32 v17, 16, v9
	s_delay_alu instid0(VALU_DEP_1) | instskip(NEXT) | instid1(VALU_DEP_1)
	v_add_f32_e32 v17, v16, v17
	v_and_b32_e32 v16, 0x7f800000, v17
	s_delay_alu instid0(VALU_DEP_1) | instskip(SKIP_1) | instid1(SALU_CYCLE_1)
	v_cmp_ne_u32_e32 vcc_lo, 0x7f800000, v16
                                        ; implicit-def: $vgpr16
	s_and_saveexec_b32 s15, vcc_lo
	s_xor_b32 s15, exec_lo, s15
; %bb.5351:                             ;   in Loop: Header=BB12_5307 Depth=3
	v_bfe_u32 v16, v17, 16, 1
	s_delay_alu instid0(VALU_DEP_1)
	v_add3_u32 v16, v17, v16, 0x7fff
                                        ; implicit-def: $vgpr17
; %bb.5352:                             ;   in Loop: Header=BB12_5307 Depth=3
	s_and_not1_saveexec_b32 s15, s15
; %bb.5353:                             ;   in Loop: Header=BB12_5307 Depth=3
	v_and_b32_e32 v16, 0xffff, v17
	v_or_b32_e32 v26, 0x10000, v17
	s_delay_alu instid0(VALU_DEP_2) | instskip(NEXT) | instid1(VALU_DEP_2)
	v_cmp_eq_u32_e32 vcc_lo, 0, v16
	v_cndmask_b32_e32 v16, v26, v17, vcc_lo
; %bb.5354:                             ;   in Loop: Header=BB12_5307 Depth=3
	s_or_b32 exec_lo, exec_lo, s15
	v_and_b32_e32 v9, 0xffff0000, v9
	v_and_b32_e32 v17, 0xffff0000, v24
	s_delay_alu instid0(VALU_DEP_1) | instskip(NEXT) | instid1(VALU_DEP_1)
	v_add_f32_e32 v17, v17, v9
	v_and_b32_e32 v9, 0x7f800000, v17
	s_delay_alu instid0(VALU_DEP_1) | instskip(SKIP_1) | instid1(SALU_CYCLE_1)
	v_cmp_ne_u32_e32 vcc_lo, 0x7f800000, v9
                                        ; implicit-def: $vgpr9
	s_and_saveexec_b32 s15, vcc_lo
	s_xor_b32 s15, exec_lo, s15
; %bb.5355:                             ;   in Loop: Header=BB12_5307 Depth=3
	v_bfe_u32 v9, v17, 16, 1
	s_delay_alu instid0(VALU_DEP_1)
	v_add3_u32 v9, v17, v9, 0x7fff
                                        ; implicit-def: $vgpr17
; %bb.5356:                             ;   in Loop: Header=BB12_5307 Depth=3
	s_and_not1_saveexec_b32 s15, s15
; %bb.5357:                             ;   in Loop: Header=BB12_5307 Depth=3
	v_and_b32_e32 v9, 0xffff, v17
	v_or_b32_e32 v24, 0x10000, v17
	s_delay_alu instid0(VALU_DEP_2) | instskip(NEXT) | instid1(VALU_DEP_2)
	v_cmp_eq_u32_e32 vcc_lo, 0, v9
	v_cndmask_b32_e32 v9, v24, v17, vcc_lo
; %bb.5358:                             ;   in Loop: Header=BB12_5307 Depth=3
	s_or_b32 exec_lo, exec_lo, s15
	v_and_b32_e32 v17, 0xffff0000, v25
	v_lshlrev_b32_e32 v24, 16, v10
	s_delay_alu instid0(VALU_DEP_1) | instskip(NEXT) | instid1(VALU_DEP_1)
	v_add_f32_e32 v24, v17, v24
	v_and_b32_e32 v17, 0x7f800000, v24
	s_delay_alu instid0(VALU_DEP_1) | instskip(SKIP_1) | instid1(SALU_CYCLE_1)
	v_cmp_ne_u32_e32 vcc_lo, 0x7f800000, v17
                                        ; implicit-def: $vgpr17
	s_and_saveexec_b32 s15, vcc_lo
	s_xor_b32 s15, exec_lo, s15
; %bb.5359:                             ;   in Loop: Header=BB12_5307 Depth=3
	v_bfe_u32 v17, v24, 16, 1
	s_delay_alu instid0(VALU_DEP_1)
	v_add3_u32 v17, v24, v17, 0x7fff
                                        ; implicit-def: $vgpr24
; %bb.5360:                             ;   in Loop: Header=BB12_5307 Depth=3
	s_and_not1_saveexec_b32 s15, s15
; %bb.5361:                             ;   in Loop: Header=BB12_5307 Depth=3
	v_and_b32_e32 v17, 0xffff, v24
	v_or_b32_e32 v25, 0x10000, v24
	s_delay_alu instid0(VALU_DEP_2) | instskip(NEXT) | instid1(VALU_DEP_2)
	v_cmp_eq_u32_e32 vcc_lo, 0, v17
	v_cndmask_b32_e32 v17, v25, v24, vcc_lo
; %bb.5362:                             ;   in Loop: Header=BB12_5307 Depth=3
	s_or_b32 exec_lo, exec_lo, s15
	v_and_b32_e32 v10, 0xffff0000, v10
	v_and_b32_e32 v7, 0xffff0000, v7
	s_delay_alu instid0(VALU_DEP_1) | instskip(NEXT) | instid1(VALU_DEP_1)
	v_add_f32_e32 v10, v7, v10
	v_and_b32_e32 v7, 0x7f800000, v10
	s_delay_alu instid0(VALU_DEP_1) | instskip(SKIP_1) | instid1(SALU_CYCLE_1)
	v_cmp_ne_u32_e32 vcc_lo, 0x7f800000, v7
                                        ; implicit-def: $vgpr7
	s_and_saveexec_b32 s15, vcc_lo
	s_xor_b32 s15, exec_lo, s15
; %bb.5363:                             ;   in Loop: Header=BB12_5307 Depth=3
	v_bfe_u32 v7, v10, 16, 1
	s_delay_alu instid0(VALU_DEP_1)
	v_add3_u32 v7, v10, v7, 0x7fff
                                        ; implicit-def: $vgpr10
; %bb.5364:                             ;   in Loop: Header=BB12_5307 Depth=3
	s_and_not1_saveexec_b32 s15, s15
; %bb.5365:                             ;   in Loop: Header=BB12_5307 Depth=3
	v_and_b32_e32 v7, 0xffff, v10
	v_or_b32_e32 v24, 0x10000, v10
	s_delay_alu instid0(VALU_DEP_2) | instskip(NEXT) | instid1(VALU_DEP_2)
	v_cmp_eq_u32_e32 vcc_lo, 0, v7
	v_cndmask_b32_e32 v7, v24, v10, vcc_lo
; %bb.5366:                             ;   in Loop: Header=BB12_5307 Depth=3
	s_or_b32 exec_lo, exec_lo, s15
	v_and_b32_e32 v10, 0xffff0000, v23
	v_lshlrev_b32_e32 v23, 16, v11
	s_delay_alu instid0(VALU_DEP_1) | instskip(NEXT) | instid1(VALU_DEP_1)
	v_add_f32_e32 v23, v10, v23
	v_and_b32_e32 v10, 0x7f800000, v23
	s_delay_alu instid0(VALU_DEP_1) | instskip(SKIP_1) | instid1(SALU_CYCLE_1)
	v_cmp_ne_u32_e32 vcc_lo, 0x7f800000, v10
                                        ; implicit-def: $vgpr10
	s_and_saveexec_b32 s15, vcc_lo
	s_xor_b32 s15, exec_lo, s15
; %bb.5367:                             ;   in Loop: Header=BB12_5307 Depth=3
	v_bfe_u32 v10, v23, 16, 1
	s_delay_alu instid0(VALU_DEP_1)
	v_add3_u32 v10, v23, v10, 0x7fff
                                        ; implicit-def: $vgpr23
; %bb.5368:                             ;   in Loop: Header=BB12_5307 Depth=3
	s_and_not1_saveexec_b32 s15, s15
; %bb.5369:                             ;   in Loop: Header=BB12_5307 Depth=3
	v_and_b32_e32 v10, 0xffff, v23
	v_or_b32_e32 v24, 0x10000, v23
	s_delay_alu instid0(VALU_DEP_2) | instskip(NEXT) | instid1(VALU_DEP_2)
	v_cmp_eq_u32_e32 vcc_lo, 0, v10
	v_cndmask_b32_e32 v10, v24, v23, vcc_lo
; %bb.5370:                             ;   in Loop: Header=BB12_5307 Depth=3
	s_or_b32 exec_lo, exec_lo, s15
	v_and_b32_e32 v11, 0xffff0000, v11
	v_and_b32_e32 v0, 0xffff0000, v0
	s_delay_alu instid0(VALU_DEP_1) | instskip(NEXT) | instid1(VALU_DEP_1)
	v_add_f32_e32 v11, v0, v11
	v_and_b32_e32 v0, 0x7f800000, v11
	s_delay_alu instid0(VALU_DEP_1) | instskip(SKIP_1) | instid1(SALU_CYCLE_1)
	v_cmp_ne_u32_e32 vcc_lo, 0x7f800000, v0
                                        ; implicit-def: $vgpr0
	s_and_saveexec_b32 s15, vcc_lo
	s_xor_b32 s15, exec_lo, s15
; %bb.5371:                             ;   in Loop: Header=BB12_5307 Depth=3
	v_bfe_u32 v0, v11, 16, 1
	s_delay_alu instid0(VALU_DEP_1)
	v_add3_u32 v0, v11, v0, 0x7fff
                                        ; implicit-def: $vgpr11
; %bb.5372:                             ;   in Loop: Header=BB12_5307 Depth=3
	s_and_not1_saveexec_b32 s15, s15
; %bb.5373:                             ;   in Loop: Header=BB12_5307 Depth=3
	v_and_b32_e32 v0, 0xffff, v11
	v_or_b32_e32 v23, 0x10000, v11
	s_delay_alu instid0(VALU_DEP_2) | instskip(NEXT) | instid1(VALU_DEP_2)
	v_cmp_eq_u32_e32 vcc_lo, 0, v0
	v_cndmask_b32_e32 v0, v23, v11, vcc_lo
; %bb.5374:                             ;   in Loop: Header=BB12_5307 Depth=3
	s_or_b32 exec_lo, exec_lo, s15
	v_dual_lshrrev_b32 v11, 16, v16 :: v_dual_lshrrev_b32 v6, 16, v6
	v_dual_lshrrev_b32 v16, 16, v17 :: v_dual_lshrrev_b32 v17, 16, v10
	s_delay_alu instid0(VALU_DEP_2) | instskip(NEXT) | instid1(VALU_DEP_3)
	v_and_or_b32 v9, 0xffff0000, v9, v11
	v_and_or_b32 v8, 0xffff0000, v8, v6
	s_delay_alu instid0(VALU_DEP_3)
	v_and_or_b32 v10, 0xffff0000, v7, v16
	scratch_load_b64 v[6:7], off, s33 offset:264 ; 8-byte Folded Reload
	v_and_or_b32 v11, 0xffff0000, v0, v17
	global_store_b128 v[4:5], v[8:11], off th:TH_STORE_NT
	scratch_store_b128 off, v[8:11], s33 offset:224
	s_wait_loadcnt 0x0
	s_wait_xcnt 0x1
	v_add_nc_u64_e32 v[4:5], v[6:7], v[4:5]
.LBB12_5375:                            ;   in Loop: Header=BB12_5307 Depth=3
	s_wait_xcnt 0x0
	s_or_b32 exec_lo, exec_lo, s14
	scratch_load_b64 v[6:7], off, s33 offset:256 ; 8-byte Folded Reload
	v_lshlrev_b32_e32 v0, 9, v60
	s_delay_alu instid0(VALU_DEP_1) | instskip(NEXT) | instid1(VALU_DEP_1)
	v_sub_nc_u32_e32 v1, v1, v0
	v_cmp_lt_i32_e64 s89, 15, v1
	s_wait_loadcnt 0x0
	v_add_nc_u64_e32 v[12:13], v[12:13], v[6:7]
	v_add_nc_u64_e32 v[14:15], v[14:15], v[6:7]
	s_wait_xcnt 0x0
	s_and_saveexec_b32 s90, s89
	s_cbranch_execz .LBB12_5378
; %bb.5376:                             ;   in Loop: Header=BB12_5307 Depth=3
	s_add_co_i32 s14, s33, 0xe0
	s_mov_b64 s[40:41], 0
	s_mov_b32 s91, s14
	s_mov_b32 s92, -1
.LBB12_5377:                            ;   Parent Loop BB12_47 Depth=1
                                        ;     Parent Loop BB12_2999 Depth=2
                                        ;       Parent Loop BB12_5307 Depth=3
                                        ; =>      This Inner Loop Header: Depth=4
	s_cmp_eq_u32 s40, 1
	s_cselect_b32 vcc_lo, -1, 0
	s_cmp_eq_u32 s40, 0
	v_dual_cndmask_b32 v11, v13, v15 :: v_dual_cndmask_b32 v10, v12, v14
	s_cselect_b32 s14, -1, 0
	s_and_b32 s15, exec_lo, s92
	s_mov_b64 s[40:41], 1
	s_mov_b32 s92, 0
	global_load_b128 v[6:9], v[10:11], off th:TH_LOAD_NT
	s_wait_xcnt 0x0
	v_add_nc_u64_e32 v[10:11], 0x200, v[10:11]
	s_delay_alu instid0(VALU_DEP_1)
	v_dual_cndmask_b32 v13, v13, v11, s14 :: v_dual_cndmask_b32 v12, v12, v10, s14
	v_dual_cndmask_b32 v15, v15, v11 :: v_dual_cndmask_b32 v14, v14, v10
	s_mov_b32 vcc_lo, s15
	s_wait_loadcnt 0x0
	scratch_store_b128 off, v[6:9], s91
	s_wait_xcnt 0x0
	s_mov_b32 s91, s59
	s_cbranch_vccnz .LBB12_5377
.LBB12_5378:                            ;   in Loop: Header=BB12_5307 Depth=3
	s_or_b32 exec_lo, exec_lo, s90
	scratch_load_b128 v[8:11], off, s33 offset:192
	s_wait_loadcnt 0x0
	v_lshlrev_b32_e32 v0, 16, v8
	s_delay_alu instid0(VALU_DEP_1) | instskip(NEXT) | instid1(VALU_DEP_1)
	v_mul_f32_e32 v6, v2, v0
	v_and_b32_e32 v0, 0x7f800000, v6
	s_delay_alu instid0(VALU_DEP_1) | instskip(SKIP_2) | instid1(SALU_CYCLE_1)
	v_cmp_ne_u32_e32 vcc_lo, 0x7f800000, v0
                                        ; implicit-def: $vgpr0
	s_wait_xcnt 0x0
	s_and_saveexec_b32 s14, vcc_lo
	s_xor_b32 s14, exec_lo, s14
; %bb.5379:                             ;   in Loop: Header=BB12_5307 Depth=3
	v_bfe_u32 v0, v6, 16, 1
	s_delay_alu instid0(VALU_DEP_1)
	v_add3_u32 v0, v6, v0, 0x7fff
                                        ; implicit-def: $vgpr6
; %bb.5380:                             ;   in Loop: Header=BB12_5307 Depth=3
	s_and_not1_saveexec_b32 s14, s14
; %bb.5381:                             ;   in Loop: Header=BB12_5307 Depth=3
	v_and_b32_e32 v0, 0xffff, v6
	v_or_b32_e32 v7, 0x10000, v6
	s_delay_alu instid0(VALU_DEP_2) | instskip(NEXT) | instid1(VALU_DEP_2)
	v_cmp_eq_u32_e32 vcc_lo, 0, v0
	v_cndmask_b32_e32 v0, v7, v6, vcc_lo
; %bb.5382:                             ;   in Loop: Header=BB12_5307 Depth=3
	s_or_b32 exec_lo, exec_lo, s14
	v_and_b32_e32 v6, 0xffff0000, v8
	s_mov_b32 s14, exec_lo
                                        ; implicit-def: $vgpr16
	s_delay_alu instid0(VALU_DEP_1) | instskip(NEXT) | instid1(VALU_DEP_1)
	v_mul_f32_e32 v6, v2, v6
	v_and_b32_e32 v7, 0x7f800000, v6
	s_delay_alu instid0(VALU_DEP_1)
	v_cmpx_ne_u32_e32 0x7f800000, v7
	s_xor_b32 s14, exec_lo, s14
; %bb.5383:                             ;   in Loop: Header=BB12_5307 Depth=3
	v_bfe_u32 v7, v6, 16, 1
	s_delay_alu instid0(VALU_DEP_1)
	v_add3_u32 v16, v6, v7, 0x7fff
                                        ; implicit-def: $vgpr6
; %bb.5384:                             ;   in Loop: Header=BB12_5307 Depth=3
	s_and_not1_saveexec_b32 s14, s14
; %bb.5385:                             ;   in Loop: Header=BB12_5307 Depth=3
	v_and_b32_e32 v7, 0xffff, v6
	v_or_b32_e32 v8, 0x10000, v6
	s_delay_alu instid0(VALU_DEP_2) | instskip(NEXT) | instid1(VALU_DEP_2)
	v_cmp_eq_u32_e32 vcc_lo, 0, v7
	v_cndmask_b32_e32 v16, v8, v6, vcc_lo
; %bb.5386:                             ;   in Loop: Header=BB12_5307 Depth=3
	s_or_b32 exec_lo, exec_lo, s14
	v_lshlrev_b32_e32 v6, 16, v9
	s_mov_b32 s14, exec_lo
                                        ; implicit-def: $vgpr26
	s_delay_alu instid0(VALU_DEP_1) | instskip(NEXT) | instid1(VALU_DEP_1)
	v_mul_f32_e32 v6, v2, v6
	v_and_b32_e32 v7, 0x7f800000, v6
	s_delay_alu instid0(VALU_DEP_1)
	v_cmpx_ne_u32_e32 0x7f800000, v7
	s_xor_b32 s14, exec_lo, s14
; %bb.5387:                             ;   in Loop: Header=BB12_5307 Depth=3
	v_bfe_u32 v7, v6, 16, 1
	s_delay_alu instid0(VALU_DEP_1)
	v_add3_u32 v26, v6, v7, 0x7fff
                                        ; implicit-def: $vgpr6
; %bb.5388:                             ;   in Loop: Header=BB12_5307 Depth=3
	s_and_not1_saveexec_b32 s14, s14
; %bb.5389:                             ;   in Loop: Header=BB12_5307 Depth=3
	v_and_b32_e32 v7, 0xffff, v6
	v_or_b32_e32 v8, 0x10000, v6
	s_delay_alu instid0(VALU_DEP_2) | instskip(NEXT) | instid1(VALU_DEP_2)
	v_cmp_eq_u32_e32 vcc_lo, 0, v7
	v_cndmask_b32_e32 v26, v8, v6, vcc_lo
; %bb.5390:                             ;   in Loop: Header=BB12_5307 Depth=3
	s_or_b32 exec_lo, exec_lo, s14
	v_and_b32_e32 v6, 0xffff0000, v9
	s_mov_b32 s14, exec_lo
                                        ; implicit-def: $vgpr24
	s_delay_alu instid0(VALU_DEP_1) | instskip(NEXT) | instid1(VALU_DEP_1)
	v_mul_f32_e32 v6, v2, v6
	v_and_b32_e32 v7, 0x7f800000, v6
	s_delay_alu instid0(VALU_DEP_1)
	v_cmpx_ne_u32_e32 0x7f800000, v7
	s_xor_b32 s14, exec_lo, s14
; %bb.5391:                             ;   in Loop: Header=BB12_5307 Depth=3
	v_bfe_u32 v7, v6, 16, 1
	s_delay_alu instid0(VALU_DEP_1)
	v_add3_u32 v24, v6, v7, 0x7fff
                                        ; implicit-def: $vgpr6
; %bb.5392:                             ;   in Loop: Header=BB12_5307 Depth=3
	s_and_not1_saveexec_b32 s14, s14
; %bb.5393:                             ;   in Loop: Header=BB12_5307 Depth=3
	v_and_b32_e32 v7, 0xffff, v6
	v_or_b32_e32 v8, 0x10000, v6
	s_delay_alu instid0(VALU_DEP_2) | instskip(NEXT) | instid1(VALU_DEP_2)
	v_cmp_eq_u32_e32 vcc_lo, 0, v7
	v_cndmask_b32_e32 v24, v8, v6, vcc_lo
; %bb.5394:                             ;   in Loop: Header=BB12_5307 Depth=3
	s_or_b32 exec_lo, exec_lo, s14
	v_lshlrev_b32_e32 v6, 16, v10
	s_mov_b32 s14, exec_lo
                                        ; implicit-def: $vgpr25
	s_delay_alu instid0(VALU_DEP_1) | instskip(NEXT) | instid1(VALU_DEP_1)
	v_mul_f32_e32 v6, v2, v6
	v_and_b32_e32 v7, 0x7f800000, v6
	s_delay_alu instid0(VALU_DEP_1)
	v_cmpx_ne_u32_e32 0x7f800000, v7
	s_xor_b32 s14, exec_lo, s14
; %bb.5395:                             ;   in Loop: Header=BB12_5307 Depth=3
	v_bfe_u32 v7, v6, 16, 1
	s_delay_alu instid0(VALU_DEP_1)
	v_add3_u32 v25, v6, v7, 0x7fff
                                        ; implicit-def: $vgpr6
; %bb.5396:                             ;   in Loop: Header=BB12_5307 Depth=3
	s_and_not1_saveexec_b32 s14, s14
; %bb.5397:                             ;   in Loop: Header=BB12_5307 Depth=3
	v_and_b32_e32 v7, 0xffff, v6
	v_or_b32_e32 v8, 0x10000, v6
	s_delay_alu instid0(VALU_DEP_2) | instskip(NEXT) | instid1(VALU_DEP_2)
	v_cmp_eq_u32_e32 vcc_lo, 0, v7
	v_cndmask_b32_e32 v25, v8, v6, vcc_lo
; %bb.5398:                             ;   in Loop: Header=BB12_5307 Depth=3
	s_or_b32 exec_lo, exec_lo, s14
	v_and_b32_e32 v6, 0xffff0000, v10
	s_delay_alu instid0(VALU_DEP_1) | instskip(NEXT) | instid1(VALU_DEP_1)
	v_mul_f32_e32 v6, v2, v6
	v_and_b32_e32 v7, 0x7f800000, v6
	s_delay_alu instid0(VALU_DEP_1) | instskip(SKIP_1) | instid1(SALU_CYCLE_1)
	v_cmp_ne_u32_e32 vcc_lo, 0x7f800000, v7
                                        ; implicit-def: $vgpr7
	s_and_saveexec_b32 s14, vcc_lo
	s_xor_b32 s14, exec_lo, s14
; %bb.5399:                             ;   in Loop: Header=BB12_5307 Depth=3
	v_bfe_u32 v7, v6, 16, 1
	s_delay_alu instid0(VALU_DEP_1)
	v_add3_u32 v7, v6, v7, 0x7fff
                                        ; implicit-def: $vgpr6
; %bb.5400:                             ;   in Loop: Header=BB12_5307 Depth=3
	s_and_not1_saveexec_b32 s14, s14
; %bb.5401:                             ;   in Loop: Header=BB12_5307 Depth=3
	v_and_b32_e32 v7, 0xffff, v6
	v_or_b32_e32 v8, 0x10000, v6
	s_delay_alu instid0(VALU_DEP_2) | instskip(NEXT) | instid1(VALU_DEP_2)
	v_cmp_eq_u32_e32 vcc_lo, 0, v7
	v_cndmask_b32_e32 v7, v8, v6, vcc_lo
; %bb.5402:                             ;   in Loop: Header=BB12_5307 Depth=3
	s_or_b32 exec_lo, exec_lo, s14
	v_lshlrev_b32_e32 v6, 16, v11
	s_mov_b32 s14, exec_lo
                                        ; implicit-def: $vgpr23
	s_delay_alu instid0(VALU_DEP_1) | instskip(NEXT) | instid1(VALU_DEP_1)
	v_mul_f32_e32 v6, v2, v6
	v_and_b32_e32 v8, 0x7f800000, v6
	s_delay_alu instid0(VALU_DEP_1)
	v_cmpx_ne_u32_e32 0x7f800000, v8
	s_xor_b32 s14, exec_lo, s14
; %bb.5403:                             ;   in Loop: Header=BB12_5307 Depth=3
	v_bfe_u32 v8, v6, 16, 1
	s_delay_alu instid0(VALU_DEP_1)
	v_add3_u32 v23, v6, v8, 0x7fff
                                        ; implicit-def: $vgpr6
; %bb.5404:                             ;   in Loop: Header=BB12_5307 Depth=3
	s_and_not1_saveexec_b32 s14, s14
; %bb.5405:                             ;   in Loop: Header=BB12_5307 Depth=3
	v_and_b32_e32 v8, 0xffff, v6
	v_or_b32_e32 v9, 0x10000, v6
	s_delay_alu instid0(VALU_DEP_2) | instskip(NEXT) | instid1(VALU_DEP_2)
	v_cmp_eq_u32_e32 vcc_lo, 0, v8
	v_cndmask_b32_e32 v23, v9, v6, vcc_lo
; %bb.5406:                             ;   in Loop: Header=BB12_5307 Depth=3
	s_or_b32 exec_lo, exec_lo, s14
	v_and_b32_e32 v6, 0xffff0000, v11
	s_delay_alu instid0(VALU_DEP_1) | instskip(NEXT) | instid1(VALU_DEP_1)
	v_mul_f32_e32 v8, v2, v6
	v_and_b32_e32 v6, 0x7f800000, v8
	s_delay_alu instid0(VALU_DEP_1) | instskip(SKIP_1) | instid1(SALU_CYCLE_1)
	v_cmp_ne_u32_e32 vcc_lo, 0x7f800000, v6
                                        ; implicit-def: $vgpr6
	s_and_saveexec_b32 s14, vcc_lo
	s_xor_b32 s14, exec_lo, s14
; %bb.5407:                             ;   in Loop: Header=BB12_5307 Depth=3
	v_bfe_u32 v6, v8, 16, 1
	s_delay_alu instid0(VALU_DEP_1)
	v_add3_u32 v6, v8, v6, 0x7fff
                                        ; implicit-def: $vgpr8
; %bb.5408:                             ;   in Loop: Header=BB12_5307 Depth=3
	s_and_not1_saveexec_b32 s14, s14
; %bb.5409:                             ;   in Loop: Header=BB12_5307 Depth=3
	v_and_b32_e32 v6, 0xffff, v8
	v_or_b32_e32 v9, 0x10000, v8
	s_delay_alu instid0(VALU_DEP_2) | instskip(NEXT) | instid1(VALU_DEP_2)
	v_cmp_eq_u32_e32 vcc_lo, 0, v6
	v_cndmask_b32_e32 v6, v9, v8, vcc_lo
; %bb.5410:                             ;   in Loop: Header=BB12_5307 Depth=3
	s_or_b32 exec_lo, exec_lo, s14
	scratch_load_b128 v[8:11], off, s33 offset:208
	v_and_b32_e32 v0, 0xffff0000, v0
	s_wait_loadcnt 0x0
	v_lshlrev_b32_e32 v17, 16, v8
	s_delay_alu instid0(VALU_DEP_1) | instskip(NEXT) | instid1(VALU_DEP_1)
	v_add_f32_e32 v17, v0, v17
	v_and_b32_e32 v0, 0x7f800000, v17
	s_delay_alu instid0(VALU_DEP_1) | instskip(SKIP_2) | instid1(SALU_CYCLE_1)
	v_cmp_ne_u32_e32 vcc_lo, 0x7f800000, v0
                                        ; implicit-def: $vgpr0
	s_wait_xcnt 0x0
	s_and_saveexec_b32 s14, vcc_lo
	s_xor_b32 s14, exec_lo, s14
; %bb.5411:                             ;   in Loop: Header=BB12_5307 Depth=3
	v_bfe_u32 v0, v17, 16, 1
	s_delay_alu instid0(VALU_DEP_1)
	v_add3_u32 v0, v17, v0, 0x7fff
                                        ; implicit-def: $vgpr17
; %bb.5412:                             ;   in Loop: Header=BB12_5307 Depth=3
	s_and_not1_saveexec_b32 s14, s14
; %bb.5413:                             ;   in Loop: Header=BB12_5307 Depth=3
	v_and_b32_e32 v0, 0xffff, v17
	v_or_b32_e32 v27, 0x10000, v17
	s_delay_alu instid0(VALU_DEP_2) | instskip(NEXT) | instid1(VALU_DEP_2)
	v_cmp_eq_u32_e32 vcc_lo, 0, v0
	v_cndmask_b32_e32 v0, v27, v17, vcc_lo
; %bb.5414:                             ;   in Loop: Header=BB12_5307 Depth=3
	s_or_b32 exec_lo, exec_lo, s14
	v_and_b32_e32 v17, 0xffff0000, v8
	v_and_b32_e32 v16, 0xffff0000, v16
	s_delay_alu instid0(VALU_DEP_2) | instskip(NEXT) | instid1(VALU_DEP_1)
	v_mov_b32_e32 v8, v17
	v_pk_add_f32 v[16:17], v[8:9], v[16:17]
	s_delay_alu instid0(VALU_DEP_1) | instskip(NEXT) | instid1(VALU_DEP_1)
	v_and_b32_e32 v8, 0x7f800000, v16
	v_cmp_ne_u32_e32 vcc_lo, 0x7f800000, v8
                                        ; implicit-def: $vgpr8
	s_and_saveexec_b32 s14, vcc_lo
	s_delay_alu instid0(SALU_CYCLE_1)
	s_xor_b32 s14, exec_lo, s14
; %bb.5415:                             ;   in Loop: Header=BB12_5307 Depth=3
	v_bfe_u32 v8, v16, 16, 1
	s_delay_alu instid0(VALU_DEP_1)
	v_add3_u32 v8, v16, v8, 0x7fff
                                        ; implicit-def: $vgpr16_vgpr17
; %bb.5416:                             ;   in Loop: Header=BB12_5307 Depth=3
	s_and_not1_saveexec_b32 s14, s14
; %bb.5417:                             ;   in Loop: Header=BB12_5307 Depth=3
	v_and_b32_e32 v8, 0xffff, v16
	v_or_b32_e32 v17, 0x10000, v16
	s_delay_alu instid0(VALU_DEP_2) | instskip(NEXT) | instid1(VALU_DEP_2)
	v_cmp_eq_u32_e32 vcc_lo, 0, v8
	v_cndmask_b32_e32 v8, v17, v16, vcc_lo
; %bb.5418:                             ;   in Loop: Header=BB12_5307 Depth=3
	s_or_b32 exec_lo, exec_lo, s14
	v_and_b32_e32 v16, 0xffff0000, v26
	v_lshlrev_b32_e32 v17, 16, v9
	s_delay_alu instid0(VALU_DEP_1) | instskip(NEXT) | instid1(VALU_DEP_1)
	v_add_f32_e32 v17, v16, v17
	v_and_b32_e32 v16, 0x7f800000, v17
	s_delay_alu instid0(VALU_DEP_1) | instskip(SKIP_1) | instid1(SALU_CYCLE_1)
	v_cmp_ne_u32_e32 vcc_lo, 0x7f800000, v16
                                        ; implicit-def: $vgpr16
	s_and_saveexec_b32 s14, vcc_lo
	s_xor_b32 s14, exec_lo, s14
; %bb.5419:                             ;   in Loop: Header=BB12_5307 Depth=3
	v_bfe_u32 v16, v17, 16, 1
	s_delay_alu instid0(VALU_DEP_1)
	v_add3_u32 v16, v17, v16, 0x7fff
                                        ; implicit-def: $vgpr17
; %bb.5420:                             ;   in Loop: Header=BB12_5307 Depth=3
	s_and_not1_saveexec_b32 s14, s14
; %bb.5421:                             ;   in Loop: Header=BB12_5307 Depth=3
	v_and_b32_e32 v16, 0xffff, v17
	v_or_b32_e32 v26, 0x10000, v17
	s_delay_alu instid0(VALU_DEP_2) | instskip(NEXT) | instid1(VALU_DEP_2)
	v_cmp_eq_u32_e32 vcc_lo, 0, v16
	v_cndmask_b32_e32 v16, v26, v17, vcc_lo
; %bb.5422:                             ;   in Loop: Header=BB12_5307 Depth=3
	s_or_b32 exec_lo, exec_lo, s14
	v_and_b32_e32 v9, 0xffff0000, v9
	v_and_b32_e32 v17, 0xffff0000, v24
	s_delay_alu instid0(VALU_DEP_1) | instskip(NEXT) | instid1(VALU_DEP_1)
	v_add_f32_e32 v17, v17, v9
	v_and_b32_e32 v9, 0x7f800000, v17
	s_delay_alu instid0(VALU_DEP_1) | instskip(SKIP_1) | instid1(SALU_CYCLE_1)
	v_cmp_ne_u32_e32 vcc_lo, 0x7f800000, v9
                                        ; implicit-def: $vgpr9
	s_and_saveexec_b32 s14, vcc_lo
	s_xor_b32 s14, exec_lo, s14
; %bb.5423:                             ;   in Loop: Header=BB12_5307 Depth=3
	v_bfe_u32 v9, v17, 16, 1
	s_delay_alu instid0(VALU_DEP_1)
	v_add3_u32 v9, v17, v9, 0x7fff
                                        ; implicit-def: $vgpr17
; %bb.5424:                             ;   in Loop: Header=BB12_5307 Depth=3
	s_and_not1_saveexec_b32 s14, s14
; %bb.5425:                             ;   in Loop: Header=BB12_5307 Depth=3
	v_and_b32_e32 v9, 0xffff, v17
	v_or_b32_e32 v24, 0x10000, v17
	s_delay_alu instid0(VALU_DEP_2) | instskip(NEXT) | instid1(VALU_DEP_2)
	v_cmp_eq_u32_e32 vcc_lo, 0, v9
	v_cndmask_b32_e32 v9, v24, v17, vcc_lo
; %bb.5426:                             ;   in Loop: Header=BB12_5307 Depth=3
	s_or_b32 exec_lo, exec_lo, s14
	v_and_b32_e32 v17, 0xffff0000, v25
	v_lshlrev_b32_e32 v24, 16, v10
	s_delay_alu instid0(VALU_DEP_1) | instskip(NEXT) | instid1(VALU_DEP_1)
	v_add_f32_e32 v24, v17, v24
	v_and_b32_e32 v17, 0x7f800000, v24
	s_delay_alu instid0(VALU_DEP_1) | instskip(SKIP_1) | instid1(SALU_CYCLE_1)
	v_cmp_ne_u32_e32 vcc_lo, 0x7f800000, v17
                                        ; implicit-def: $vgpr17
	s_and_saveexec_b32 s14, vcc_lo
	s_xor_b32 s14, exec_lo, s14
; %bb.5427:                             ;   in Loop: Header=BB12_5307 Depth=3
	v_bfe_u32 v17, v24, 16, 1
	s_delay_alu instid0(VALU_DEP_1)
	v_add3_u32 v17, v24, v17, 0x7fff
                                        ; implicit-def: $vgpr24
; %bb.5428:                             ;   in Loop: Header=BB12_5307 Depth=3
	s_and_not1_saveexec_b32 s14, s14
; %bb.5429:                             ;   in Loop: Header=BB12_5307 Depth=3
	v_and_b32_e32 v17, 0xffff, v24
	v_or_b32_e32 v25, 0x10000, v24
	s_delay_alu instid0(VALU_DEP_2) | instskip(NEXT) | instid1(VALU_DEP_2)
	v_cmp_eq_u32_e32 vcc_lo, 0, v17
	v_cndmask_b32_e32 v17, v25, v24, vcc_lo
; %bb.5430:                             ;   in Loop: Header=BB12_5307 Depth=3
	s_or_b32 exec_lo, exec_lo, s14
	v_and_b32_e32 v10, 0xffff0000, v10
	v_and_b32_e32 v7, 0xffff0000, v7
	s_delay_alu instid0(VALU_DEP_1) | instskip(NEXT) | instid1(VALU_DEP_1)
	v_add_f32_e32 v10, v7, v10
	v_and_b32_e32 v7, 0x7f800000, v10
	s_delay_alu instid0(VALU_DEP_1) | instskip(SKIP_1) | instid1(SALU_CYCLE_1)
	v_cmp_ne_u32_e32 vcc_lo, 0x7f800000, v7
                                        ; implicit-def: $vgpr7
	s_and_saveexec_b32 s14, vcc_lo
	s_xor_b32 s14, exec_lo, s14
; %bb.5431:                             ;   in Loop: Header=BB12_5307 Depth=3
	v_bfe_u32 v7, v10, 16, 1
	s_delay_alu instid0(VALU_DEP_1)
	v_add3_u32 v7, v10, v7, 0x7fff
                                        ; implicit-def: $vgpr10
; %bb.5432:                             ;   in Loop: Header=BB12_5307 Depth=3
	s_and_not1_saveexec_b32 s14, s14
; %bb.5433:                             ;   in Loop: Header=BB12_5307 Depth=3
	v_and_b32_e32 v7, 0xffff, v10
	v_or_b32_e32 v24, 0x10000, v10
	s_delay_alu instid0(VALU_DEP_2) | instskip(NEXT) | instid1(VALU_DEP_2)
	v_cmp_eq_u32_e32 vcc_lo, 0, v7
	v_cndmask_b32_e32 v7, v24, v10, vcc_lo
; %bb.5434:                             ;   in Loop: Header=BB12_5307 Depth=3
	s_or_b32 exec_lo, exec_lo, s14
	v_and_b32_e32 v10, 0xffff0000, v23
	v_lshlrev_b32_e32 v23, 16, v11
	s_delay_alu instid0(VALU_DEP_1) | instskip(NEXT) | instid1(VALU_DEP_1)
	v_add_f32_e32 v23, v10, v23
	v_and_b32_e32 v10, 0x7f800000, v23
	s_delay_alu instid0(VALU_DEP_1) | instskip(SKIP_1) | instid1(SALU_CYCLE_1)
	v_cmp_ne_u32_e32 vcc_lo, 0x7f800000, v10
                                        ; implicit-def: $vgpr10
	s_and_saveexec_b32 s14, vcc_lo
	s_xor_b32 s14, exec_lo, s14
; %bb.5435:                             ;   in Loop: Header=BB12_5307 Depth=3
	v_bfe_u32 v10, v23, 16, 1
	s_delay_alu instid0(VALU_DEP_1)
	v_add3_u32 v10, v23, v10, 0x7fff
                                        ; implicit-def: $vgpr23
; %bb.5436:                             ;   in Loop: Header=BB12_5307 Depth=3
	s_and_not1_saveexec_b32 s14, s14
; %bb.5437:                             ;   in Loop: Header=BB12_5307 Depth=3
	v_and_b32_e32 v10, 0xffff, v23
	v_or_b32_e32 v24, 0x10000, v23
	s_delay_alu instid0(VALU_DEP_2) | instskip(NEXT) | instid1(VALU_DEP_2)
	v_cmp_eq_u32_e32 vcc_lo, 0, v10
	v_cndmask_b32_e32 v10, v24, v23, vcc_lo
; %bb.5438:                             ;   in Loop: Header=BB12_5307 Depth=3
	s_or_b32 exec_lo, exec_lo, s14
	v_and_b32_e32 v11, 0xffff0000, v11
	v_and_b32_e32 v6, 0xffff0000, v6
	s_delay_alu instid0(VALU_DEP_1) | instskip(NEXT) | instid1(VALU_DEP_1)
	v_add_f32_e32 v11, v6, v11
	v_and_b32_e32 v6, 0x7f800000, v11
	s_delay_alu instid0(VALU_DEP_1) | instskip(SKIP_1) | instid1(SALU_CYCLE_1)
	v_cmp_ne_u32_e32 vcc_lo, 0x7f800000, v6
                                        ; implicit-def: $vgpr6
	s_and_saveexec_b32 s14, vcc_lo
	s_xor_b32 s14, exec_lo, s14
; %bb.5439:                             ;   in Loop: Header=BB12_5307 Depth=3
	v_bfe_u32 v6, v11, 16, 1
	s_delay_alu instid0(VALU_DEP_1)
	v_add3_u32 v6, v11, v6, 0x7fff
                                        ; implicit-def: $vgpr11
; %bb.5440:                             ;   in Loop: Header=BB12_5307 Depth=3
	s_and_not1_saveexec_b32 s14, s14
; %bb.5441:                             ;   in Loop: Header=BB12_5307 Depth=3
	v_and_b32_e32 v6, 0xffff, v11
	v_or_b32_e32 v23, 0x10000, v11
	s_delay_alu instid0(VALU_DEP_2) | instskip(NEXT) | instid1(VALU_DEP_2)
	v_cmp_eq_u32_e32 vcc_lo, 0, v6
	v_cndmask_b32_e32 v6, v23, v11, vcc_lo
; %bb.5442:                             ;   in Loop: Header=BB12_5307 Depth=3
	s_or_b32 exec_lo, exec_lo, s14
	v_dual_lshrrev_b32 v11, 16, v16 :: v_dual_lshrrev_b32 v16, 16, v17
	v_dual_lshrrev_b32 v0, 16, v0 :: v_dual_lshrrev_b32 v17, 16, v10
	v_sub_nc_u32_e32 v22, v22, v60
	s_delay_alu instid0(VALU_DEP_3) | instskip(NEXT) | instid1(VALU_DEP_4)
	v_and_or_b32 v9, 0xffff0000, v9, v11
	v_and_or_b32 v10, 0xffff0000, v7, v16
	s_delay_alu instid0(VALU_DEP_4)
	v_and_or_b32 v8, 0xffff0000, v8, v0
	v_and_or_b32 v11, 0xffff0000, v6, v17
	global_store_b128 v[4:5], v[8:11], off th:TH_STORE_NT
	s_wait_xcnt 0x0
	v_add_nc_u64_e32 v[4:5], 0x200, v[4:5]
	scratch_store_b128 off, v[8:11], s33 offset:192
	s_wait_xcnt 0x0
	s_and_saveexec_b32 s14, s89
	s_cbranch_execz .LBB12_5306
; %bb.5443:                             ;   in Loop: Header=BB12_5307 Depth=3
	scratch_load_b64 v[6:7], off, s33 offset:256 ; 8-byte Folded Reload
	v_dual_lshlrev_b32 v0, 9, v60 :: v_dual_sub_nc_u32 v22, v22, v60
	s_delay_alu instid0(VALU_DEP_1)
	v_sub_nc_u32_e32 v1, v1, v0
	s_wait_loadcnt 0x0
	v_add_nc_u64_e32 v[12:13], v[12:13], v[6:7]
	v_add_nc_u64_e32 v[14:15], v[14:15], v[6:7]
	;; [unrolled: 1-line block ×3, first 2 shown]
	s_branch .LBB12_5306
.LBB12_5444:                            ;   in Loop: Header=BB12_2999 Depth=2
	s_or_b32 exec_lo, exec_lo, s79
	s_delay_alu instid0(SALU_CYCLE_1)
	s_and_b32 s15, s88, exec_lo
.LBB12_5445:                            ;   in Loop: Header=BB12_2999 Depth=2
	s_or_b32 exec_lo, exec_lo, s78
	s_and_saveexec_b32 s14, s15
	s_cbranch_execz .LBB12_5511
; %bb.5446:                             ;   in Loop: Header=BB12_2999 Depth=2
	s_trap 2
	scratch_load_b128 v[8:11], off, s33 offset:224
	ds_load_b32 v0, v0
	s_wait_dscnt 0x0
	v_lshlrev_b32_e32 v0, 16, v0
	s_wait_loadcnt 0x0
	v_lshlrev_b32_e32 v1, 16, v8
	s_delay_alu instid0(VALU_DEP_1) | instskip(NEXT) | instid1(VALU_DEP_1)
	v_mul_f32_e32 v2, v0, v1
	v_and_b32_e32 v1, 0x7f800000, v2
	s_delay_alu instid0(VALU_DEP_1) | instskip(SKIP_2) | instid1(SALU_CYCLE_1)
	v_cmp_ne_u32_e32 vcc_lo, 0x7f800000, v1
                                        ; implicit-def: $vgpr1
	s_wait_xcnt 0x0
	s_and_saveexec_b32 s15, vcc_lo
	s_xor_b32 s15, exec_lo, s15
; %bb.5447:                             ;   in Loop: Header=BB12_2999 Depth=2
	v_bfe_u32 v1, v2, 16, 1
	s_delay_alu instid0(VALU_DEP_1)
	v_add3_u32 v1, v2, v1, 0x7fff
                                        ; implicit-def: $vgpr2
; %bb.5448:                             ;   in Loop: Header=BB12_2999 Depth=2
	s_and_not1_saveexec_b32 s15, s15
; %bb.5449:                             ;   in Loop: Header=BB12_2999 Depth=2
	v_and_b32_e32 v1, 0xffff, v2
	v_or_b32_e32 v6, 0x10000, v2
	s_delay_alu instid0(VALU_DEP_2) | instskip(NEXT) | instid1(VALU_DEP_2)
	v_cmp_eq_u32_e32 vcc_lo, 0, v1
	v_cndmask_b32_e32 v1, v6, v2, vcc_lo
; %bb.5450:                             ;   in Loop: Header=BB12_2999 Depth=2
	s_or_b32 exec_lo, exec_lo, s15
	v_and_b32_e32 v2, 0xffff0000, v8
	s_mov_b32 s15, exec_lo
                                        ; implicit-def: $vgpr12
	s_delay_alu instid0(VALU_DEP_1) | instskip(NEXT) | instid1(VALU_DEP_1)
	v_mul_f32_e32 v2, v0, v2
	v_and_b32_e32 v6, 0x7f800000, v2
	s_delay_alu instid0(VALU_DEP_1)
	v_cmpx_ne_u32_e32 0x7f800000, v6
	s_xor_b32 s15, exec_lo, s15
; %bb.5451:                             ;   in Loop: Header=BB12_2999 Depth=2
	v_bfe_u32 v6, v2, 16, 1
	s_delay_alu instid0(VALU_DEP_1)
	v_add3_u32 v12, v2, v6, 0x7fff
                                        ; implicit-def: $vgpr2
; %bb.5452:                             ;   in Loop: Header=BB12_2999 Depth=2
	s_and_not1_saveexec_b32 s15, s15
; %bb.5453:                             ;   in Loop: Header=BB12_2999 Depth=2
	v_and_b32_e32 v6, 0xffff, v2
	v_or_b32_e32 v7, 0x10000, v2
	s_delay_alu instid0(VALU_DEP_2) | instskip(NEXT) | instid1(VALU_DEP_2)
	v_cmp_eq_u32_e32 vcc_lo, 0, v6
	v_cndmask_b32_e32 v12, v7, v2, vcc_lo
; %bb.5454:                             ;   in Loop: Header=BB12_2999 Depth=2
	s_or_b32 exec_lo, exec_lo, s15
	v_lshlrev_b32_e32 v2, 16, v9
	s_mov_b32 s15, exec_lo
                                        ; implicit-def: $vgpr15
	s_delay_alu instid0(VALU_DEP_1) | instskip(NEXT) | instid1(VALU_DEP_1)
	v_mul_f32_e32 v2, v0, v2
	v_and_b32_e32 v6, 0x7f800000, v2
	s_delay_alu instid0(VALU_DEP_1)
	v_cmpx_ne_u32_e32 0x7f800000, v6
	s_xor_b32 s15, exec_lo, s15
; %bb.5455:                             ;   in Loop: Header=BB12_2999 Depth=2
	v_bfe_u32 v6, v2, 16, 1
	s_delay_alu instid0(VALU_DEP_1)
	v_add3_u32 v15, v2, v6, 0x7fff
                                        ; implicit-def: $vgpr2
; %bb.5456:                             ;   in Loop: Header=BB12_2999 Depth=2
	s_and_not1_saveexec_b32 s15, s15
; %bb.5457:                             ;   in Loop: Header=BB12_2999 Depth=2
	v_and_b32_e32 v6, 0xffff, v2
	v_or_b32_e32 v7, 0x10000, v2
	s_delay_alu instid0(VALU_DEP_2) | instskip(NEXT) | instid1(VALU_DEP_2)
	v_cmp_eq_u32_e32 vcc_lo, 0, v6
	v_cndmask_b32_e32 v15, v7, v2, vcc_lo
; %bb.5458:                             ;   in Loop: Header=BB12_2999 Depth=2
	s_or_b32 exec_lo, exec_lo, s15
	v_and_b32_e32 v2, 0xffff0000, v9
	s_mov_b32 s15, exec_lo
                                        ; implicit-def: $vgpr7
	s_delay_alu instid0(VALU_DEP_1) | instskip(NEXT) | instid1(VALU_DEP_1)
	v_mul_f32_e32 v2, v0, v2
	v_and_b32_e32 v6, 0x7f800000, v2
	s_delay_alu instid0(VALU_DEP_1)
	v_cmpx_ne_u32_e32 0x7f800000, v6
	s_xor_b32 s15, exec_lo, s15
; %bb.5459:                             ;   in Loop: Header=BB12_2999 Depth=2
	v_bfe_u32 v6, v2, 16, 1
	s_delay_alu instid0(VALU_DEP_1)
	v_add3_u32 v7, v2, v6, 0x7fff
                                        ; implicit-def: $vgpr2
; %bb.5460:                             ;   in Loop: Header=BB12_2999 Depth=2
	s_and_not1_saveexec_b32 s15, s15
; %bb.5461:                             ;   in Loop: Header=BB12_2999 Depth=2
	v_and_b32_e32 v6, 0xffff, v2
	v_or_b32_e32 v7, 0x10000, v2
	s_delay_alu instid0(VALU_DEP_2) | instskip(NEXT) | instid1(VALU_DEP_2)
	v_cmp_eq_u32_e32 vcc_lo, 0, v6
	v_cndmask_b32_e32 v7, v7, v2, vcc_lo
; %bb.5462:                             ;   in Loop: Header=BB12_2999 Depth=2
	s_or_b32 exec_lo, exec_lo, s15
	v_lshlrev_b32_e32 v2, 16, v10
	s_mov_b32 s15, exec_lo
                                        ; implicit-def: $vgpr14
	s_delay_alu instid0(VALU_DEP_1) | instskip(NEXT) | instid1(VALU_DEP_1)
	v_mul_f32_e32 v2, v0, v2
	v_and_b32_e32 v6, 0x7f800000, v2
	s_delay_alu instid0(VALU_DEP_1)
	v_cmpx_ne_u32_e32 0x7f800000, v6
	s_xor_b32 s15, exec_lo, s15
; %bb.5463:                             ;   in Loop: Header=BB12_2999 Depth=2
	v_bfe_u32 v6, v2, 16, 1
	s_delay_alu instid0(VALU_DEP_1)
	v_add3_u32 v14, v2, v6, 0x7fff
                                        ; implicit-def: $vgpr2
; %bb.5464:                             ;   in Loop: Header=BB12_2999 Depth=2
	s_and_not1_saveexec_b32 s15, s15
; %bb.5465:                             ;   in Loop: Header=BB12_2999 Depth=2
	v_and_b32_e32 v6, 0xffff, v2
	v_or_b32_e32 v8, 0x10000, v2
	s_delay_alu instid0(VALU_DEP_2) | instskip(NEXT) | instid1(VALU_DEP_2)
	v_cmp_eq_u32_e32 vcc_lo, 0, v6
	v_cndmask_b32_e32 v14, v8, v2, vcc_lo
; %bb.5466:                             ;   in Loop: Header=BB12_2999 Depth=2
	s_or_b32 exec_lo, exec_lo, s15
	v_and_b32_e32 v2, 0xffff0000, v10
	s_delay_alu instid0(VALU_DEP_1) | instskip(NEXT) | instid1(VALU_DEP_1)
	v_mul_f32_e32 v6, v0, v2
	v_and_b32_e32 v2, 0x7f800000, v6
	s_delay_alu instid0(VALU_DEP_1) | instskip(SKIP_1) | instid1(SALU_CYCLE_1)
	v_cmp_ne_u32_e32 vcc_lo, 0x7f800000, v2
                                        ; implicit-def: $vgpr2
	s_and_saveexec_b32 s15, vcc_lo
	s_xor_b32 s15, exec_lo, s15
; %bb.5467:                             ;   in Loop: Header=BB12_2999 Depth=2
	v_bfe_u32 v2, v6, 16, 1
	s_delay_alu instid0(VALU_DEP_1)
	v_add3_u32 v2, v6, v2, 0x7fff
                                        ; implicit-def: $vgpr6
; %bb.5468:                             ;   in Loop: Header=BB12_2999 Depth=2
	s_and_not1_saveexec_b32 s15, s15
; %bb.5469:                             ;   in Loop: Header=BB12_2999 Depth=2
	v_and_b32_e32 v2, 0xffff, v6
	v_or_b32_e32 v8, 0x10000, v6
	s_delay_alu instid0(VALU_DEP_2) | instskip(NEXT) | instid1(VALU_DEP_2)
	v_cmp_eq_u32_e32 vcc_lo, 0, v2
	v_cndmask_b32_e32 v2, v8, v6, vcc_lo
; %bb.5470:                             ;   in Loop: Header=BB12_2999 Depth=2
	s_or_b32 exec_lo, exec_lo, s15
	v_lshlrev_b32_e32 v6, 16, v11
	s_delay_alu instid0(VALU_DEP_1) | instskip(NEXT) | instid1(VALU_DEP_1)
	v_mul_f32_e32 v8, v0, v6
	v_and_b32_e32 v6, 0x7f800000, v8
	s_delay_alu instid0(VALU_DEP_1) | instskip(SKIP_1) | instid1(SALU_CYCLE_1)
	v_cmp_ne_u32_e32 vcc_lo, 0x7f800000, v6
                                        ; implicit-def: $vgpr6
	s_and_saveexec_b32 s15, vcc_lo
	s_xor_b32 s15, exec_lo, s15
; %bb.5471:                             ;   in Loop: Header=BB12_2999 Depth=2
	v_bfe_u32 v6, v8, 16, 1
	s_delay_alu instid0(VALU_DEP_1)
	v_add3_u32 v6, v8, v6, 0x7fff
                                        ; implicit-def: $vgpr8
; %bb.5472:                             ;   in Loop: Header=BB12_2999 Depth=2
	s_and_not1_saveexec_b32 s15, s15
; %bb.5473:                             ;   in Loop: Header=BB12_2999 Depth=2
	v_and_b32_e32 v6, 0xffff, v8
	v_or_b32_e32 v9, 0x10000, v8
	s_delay_alu instid0(VALU_DEP_2) | instskip(NEXT) | instid1(VALU_DEP_2)
	v_cmp_eq_u32_e32 vcc_lo, 0, v6
	v_cndmask_b32_e32 v6, v9, v8, vcc_lo
; %bb.5474:                             ;   in Loop: Header=BB12_2999 Depth=2
	s_or_b32 exec_lo, exec_lo, s15
	v_and_b32_e32 v8, 0xffff0000, v11
	s_delay_alu instid0(VALU_DEP_1) | instskip(NEXT) | instid1(VALU_DEP_1)
	v_mul_f32_e32 v8, v0, v8
	v_and_b32_e32 v0, 0x7f800000, v8
	s_delay_alu instid0(VALU_DEP_1) | instskip(SKIP_1) | instid1(SALU_CYCLE_1)
	v_cmp_ne_u32_e32 vcc_lo, 0x7f800000, v0
                                        ; implicit-def: $vgpr0
	s_and_saveexec_b32 s15, vcc_lo
	s_xor_b32 s15, exec_lo, s15
; %bb.5475:                             ;   in Loop: Header=BB12_2999 Depth=2
	v_bfe_u32 v0, v8, 16, 1
	s_delay_alu instid0(VALU_DEP_1)
	v_add3_u32 v0, v8, v0, 0x7fff
                                        ; implicit-def: $vgpr8
; %bb.5476:                             ;   in Loop: Header=BB12_2999 Depth=2
	s_and_not1_saveexec_b32 s15, s15
; %bb.5477:                             ;   in Loop: Header=BB12_2999 Depth=2
	v_and_b32_e32 v0, 0xffff, v8
	v_or_b32_e32 v9, 0x10000, v8
	s_delay_alu instid0(VALU_DEP_2) | instskip(NEXT) | instid1(VALU_DEP_2)
	v_cmp_eq_u32_e32 vcc_lo, 0, v0
	v_cndmask_b32_e32 v0, v9, v8, vcc_lo
; %bb.5478:                             ;   in Loop: Header=BB12_2999 Depth=2
	s_or_b32 exec_lo, exec_lo, s15
	scratch_load_b128 v[8:11], off, s33 offset:240
	v_and_b32_e32 v1, 0xffff0000, v1
	s_wait_loadcnt 0x0
	v_lshlrev_b32_e32 v13, 16, v8
	s_delay_alu instid0(VALU_DEP_1) | instskip(NEXT) | instid1(VALU_DEP_1)
	v_add_f32_e32 v13, v1, v13
	v_and_b32_e32 v1, 0x7f800000, v13
	s_delay_alu instid0(VALU_DEP_1) | instskip(SKIP_2) | instid1(SALU_CYCLE_1)
	v_cmp_ne_u32_e32 vcc_lo, 0x7f800000, v1
                                        ; implicit-def: $vgpr1
	s_wait_xcnt 0x0
	s_and_saveexec_b32 s15, vcc_lo
	s_xor_b32 s15, exec_lo, s15
; %bb.5479:                             ;   in Loop: Header=BB12_2999 Depth=2
	v_bfe_u32 v1, v13, 16, 1
	s_delay_alu instid0(VALU_DEP_1)
	v_add3_u32 v1, v13, v1, 0x7fff
                                        ; implicit-def: $vgpr13
; %bb.5480:                             ;   in Loop: Header=BB12_2999 Depth=2
	s_and_not1_saveexec_b32 s15, s15
; %bb.5481:                             ;   in Loop: Header=BB12_2999 Depth=2
	v_and_b32_e32 v1, 0xffff, v13
	v_or_b32_e32 v16, 0x10000, v13
	s_delay_alu instid0(VALU_DEP_2) | instskip(NEXT) | instid1(VALU_DEP_2)
	v_cmp_eq_u32_e32 vcc_lo, 0, v1
	v_cndmask_b32_e32 v1, v16, v13, vcc_lo
; %bb.5482:                             ;   in Loop: Header=BB12_2999 Depth=2
	s_or_b32 exec_lo, exec_lo, s15
	v_and_b32_e32 v13, 0xffff0000, v8
	v_and_b32_e32 v12, 0xffff0000, v12
	s_delay_alu instid0(VALU_DEP_2) | instskip(NEXT) | instid1(VALU_DEP_1)
	v_mov_b32_e32 v8, v13
	v_pk_add_f32 v[12:13], v[8:9], v[12:13]
	s_delay_alu instid0(VALU_DEP_1) | instskip(NEXT) | instid1(VALU_DEP_1)
	v_and_b32_e32 v8, 0x7f800000, v12
	v_cmp_ne_u32_e32 vcc_lo, 0x7f800000, v8
                                        ; implicit-def: $vgpr8
	s_and_saveexec_b32 s15, vcc_lo
	s_delay_alu instid0(SALU_CYCLE_1)
	s_xor_b32 s15, exec_lo, s15
; %bb.5483:                             ;   in Loop: Header=BB12_2999 Depth=2
	v_bfe_u32 v8, v12, 16, 1
	s_delay_alu instid0(VALU_DEP_1)
	v_add3_u32 v8, v12, v8, 0x7fff
                                        ; implicit-def: $vgpr12_vgpr13
; %bb.5484:                             ;   in Loop: Header=BB12_2999 Depth=2
	s_and_not1_saveexec_b32 s15, s15
; %bb.5485:                             ;   in Loop: Header=BB12_2999 Depth=2
	v_and_b32_e32 v8, 0xffff, v12
	v_or_b32_e32 v13, 0x10000, v12
	s_delay_alu instid0(VALU_DEP_2) | instskip(NEXT) | instid1(VALU_DEP_2)
	v_cmp_eq_u32_e32 vcc_lo, 0, v8
	v_cndmask_b32_e32 v8, v13, v12, vcc_lo
; %bb.5486:                             ;   in Loop: Header=BB12_2999 Depth=2
	s_or_b32 exec_lo, exec_lo, s15
	v_and_b32_e32 v12, 0xffff0000, v15
	v_lshlrev_b32_e32 v13, 16, v9
	s_delay_alu instid0(VALU_DEP_1) | instskip(NEXT) | instid1(VALU_DEP_1)
	v_add_f32_e32 v13, v12, v13
	v_and_b32_e32 v12, 0x7f800000, v13
	s_delay_alu instid0(VALU_DEP_1) | instskip(SKIP_1) | instid1(SALU_CYCLE_1)
	v_cmp_ne_u32_e32 vcc_lo, 0x7f800000, v12
                                        ; implicit-def: $vgpr12
	s_and_saveexec_b32 s15, vcc_lo
	s_xor_b32 s15, exec_lo, s15
; %bb.5487:                             ;   in Loop: Header=BB12_2999 Depth=2
	v_bfe_u32 v12, v13, 16, 1
	s_delay_alu instid0(VALU_DEP_1)
	v_add3_u32 v12, v13, v12, 0x7fff
                                        ; implicit-def: $vgpr13
; %bb.5488:                             ;   in Loop: Header=BB12_2999 Depth=2
	s_and_not1_saveexec_b32 s15, s15
; %bb.5489:                             ;   in Loop: Header=BB12_2999 Depth=2
	v_and_b32_e32 v12, 0xffff, v13
	v_or_b32_e32 v15, 0x10000, v13
	s_delay_alu instid0(VALU_DEP_2) | instskip(NEXT) | instid1(VALU_DEP_2)
	v_cmp_eq_u32_e32 vcc_lo, 0, v12
	v_cndmask_b32_e32 v12, v15, v13, vcc_lo
; %bb.5490:                             ;   in Loop: Header=BB12_2999 Depth=2
	s_or_b32 exec_lo, exec_lo, s15
	v_and_b32_e32 v9, 0xffff0000, v9
	v_and_b32_e32 v7, 0xffff0000, v7
	s_delay_alu instid0(VALU_DEP_1) | instskip(NEXT) | instid1(VALU_DEP_1)
	v_add_f32_e32 v9, v7, v9
	v_and_b32_e32 v7, 0x7f800000, v9
	s_delay_alu instid0(VALU_DEP_1) | instskip(SKIP_1) | instid1(SALU_CYCLE_1)
	v_cmp_ne_u32_e32 vcc_lo, 0x7f800000, v7
                                        ; implicit-def: $vgpr7
	s_and_saveexec_b32 s15, vcc_lo
	s_xor_b32 s15, exec_lo, s15
; %bb.5491:                             ;   in Loop: Header=BB12_2999 Depth=2
	v_bfe_u32 v7, v9, 16, 1
	s_delay_alu instid0(VALU_DEP_1)
	v_add3_u32 v7, v9, v7, 0x7fff
                                        ; implicit-def: $vgpr9
; %bb.5492:                             ;   in Loop: Header=BB12_2999 Depth=2
	s_and_not1_saveexec_b32 s15, s15
; %bb.5493:                             ;   in Loop: Header=BB12_2999 Depth=2
	v_and_b32_e32 v7, 0xffff, v9
	v_or_b32_e32 v13, 0x10000, v9
	s_delay_alu instid0(VALU_DEP_2) | instskip(NEXT) | instid1(VALU_DEP_2)
	v_cmp_eq_u32_e32 vcc_lo, 0, v7
	v_cndmask_b32_e32 v7, v13, v9, vcc_lo
; %bb.5494:                             ;   in Loop: Header=BB12_2999 Depth=2
	s_or_b32 exec_lo, exec_lo, s15
	v_and_b32_e32 v9, 0xffff0000, v14
	v_lshlrev_b32_e32 v13, 16, v10
	s_delay_alu instid0(VALU_DEP_1) | instskip(NEXT) | instid1(VALU_DEP_1)
	v_add_f32_e32 v13, v9, v13
	v_and_b32_e32 v9, 0x7f800000, v13
	s_delay_alu instid0(VALU_DEP_1) | instskip(SKIP_1) | instid1(SALU_CYCLE_1)
	v_cmp_ne_u32_e32 vcc_lo, 0x7f800000, v9
                                        ; implicit-def: $vgpr9
	s_and_saveexec_b32 s15, vcc_lo
	s_xor_b32 s15, exec_lo, s15
; %bb.5495:                             ;   in Loop: Header=BB12_2999 Depth=2
	v_bfe_u32 v9, v13, 16, 1
	s_delay_alu instid0(VALU_DEP_1)
	v_add3_u32 v9, v13, v9, 0x7fff
                                        ; implicit-def: $vgpr13
; %bb.5496:                             ;   in Loop: Header=BB12_2999 Depth=2
	s_and_not1_saveexec_b32 s15, s15
; %bb.5497:                             ;   in Loop: Header=BB12_2999 Depth=2
	v_and_b32_e32 v9, 0xffff, v13
	v_or_b32_e32 v14, 0x10000, v13
	s_delay_alu instid0(VALU_DEP_2) | instskip(NEXT) | instid1(VALU_DEP_2)
	v_cmp_eq_u32_e32 vcc_lo, 0, v9
	v_cndmask_b32_e32 v9, v14, v13, vcc_lo
; %bb.5498:                             ;   in Loop: Header=BB12_2999 Depth=2
	s_or_b32 exec_lo, exec_lo, s15
	v_and_b32_e32 v10, 0xffff0000, v10
	v_and_b32_e32 v2, 0xffff0000, v2
	s_delay_alu instid0(VALU_DEP_1) | instskip(NEXT) | instid1(VALU_DEP_1)
	v_add_f32_e32 v10, v2, v10
	v_and_b32_e32 v2, 0x7f800000, v10
	s_delay_alu instid0(VALU_DEP_1) | instskip(SKIP_1) | instid1(SALU_CYCLE_1)
	v_cmp_ne_u32_e32 vcc_lo, 0x7f800000, v2
                                        ; implicit-def: $vgpr2
	s_and_saveexec_b32 s15, vcc_lo
	s_xor_b32 s15, exec_lo, s15
; %bb.5499:                             ;   in Loop: Header=BB12_2999 Depth=2
	v_bfe_u32 v2, v10, 16, 1
	s_delay_alu instid0(VALU_DEP_1)
	v_add3_u32 v2, v10, v2, 0x7fff
                                        ; implicit-def: $vgpr10
; %bb.5500:                             ;   in Loop: Header=BB12_2999 Depth=2
	s_and_not1_saveexec_b32 s15, s15
; %bb.5501:                             ;   in Loop: Header=BB12_2999 Depth=2
	v_and_b32_e32 v2, 0xffff, v10
	v_or_b32_e32 v13, 0x10000, v10
	s_delay_alu instid0(VALU_DEP_2) | instskip(NEXT) | instid1(VALU_DEP_2)
	v_cmp_eq_u32_e32 vcc_lo, 0, v2
	v_cndmask_b32_e32 v2, v13, v10, vcc_lo
; %bb.5502:                             ;   in Loop: Header=BB12_2999 Depth=2
	s_or_b32 exec_lo, exec_lo, s15
	v_and_b32_e32 v6, 0xffff0000, v6
	v_lshlrev_b32_e32 v10, 16, v11
	s_delay_alu instid0(VALU_DEP_1) | instskip(NEXT) | instid1(VALU_DEP_1)
	v_add_f32_e32 v10, v6, v10
	v_and_b32_e32 v6, 0x7f800000, v10
	s_delay_alu instid0(VALU_DEP_1) | instskip(SKIP_1) | instid1(SALU_CYCLE_1)
	v_cmp_ne_u32_e32 vcc_lo, 0x7f800000, v6
                                        ; implicit-def: $vgpr6
	s_and_saveexec_b32 s15, vcc_lo
	s_xor_b32 s15, exec_lo, s15
; %bb.5503:                             ;   in Loop: Header=BB12_2999 Depth=2
	v_bfe_u32 v6, v10, 16, 1
	s_delay_alu instid0(VALU_DEP_1)
	v_add3_u32 v6, v10, v6, 0x7fff
                                        ; implicit-def: $vgpr10
; %bb.5504:                             ;   in Loop: Header=BB12_2999 Depth=2
	s_and_not1_saveexec_b32 s15, s15
; %bb.5505:                             ;   in Loop: Header=BB12_2999 Depth=2
	v_and_b32_e32 v6, 0xffff, v10
	v_or_b32_e32 v13, 0x10000, v10
	s_delay_alu instid0(VALU_DEP_2) | instskip(NEXT) | instid1(VALU_DEP_2)
	v_cmp_eq_u32_e32 vcc_lo, 0, v6
	v_cndmask_b32_e32 v6, v13, v10, vcc_lo
; %bb.5506:                             ;   in Loop: Header=BB12_2999 Depth=2
	s_or_b32 exec_lo, exec_lo, s15
	v_and_b32_e32 v10, 0xffff0000, v11
	v_and_b32_e32 v0, 0xffff0000, v0
	s_delay_alu instid0(VALU_DEP_1) | instskip(NEXT) | instid1(VALU_DEP_1)
	v_add_f32_e32 v10, v0, v10
	v_and_b32_e32 v0, 0x7f800000, v10
	s_delay_alu instid0(VALU_DEP_1) | instskip(SKIP_1) | instid1(SALU_CYCLE_1)
	v_cmp_ne_u32_e32 vcc_lo, 0x7f800000, v0
                                        ; implicit-def: $vgpr0
	s_and_saveexec_b32 s15, vcc_lo
	s_xor_b32 s15, exec_lo, s15
; %bb.5507:                             ;   in Loop: Header=BB12_2999 Depth=2
	v_bfe_u32 v0, v10, 16, 1
	s_delay_alu instid0(VALU_DEP_1)
	v_add3_u32 v0, v10, v0, 0x7fff
                                        ; implicit-def: $vgpr10
; %bb.5508:                             ;   in Loop: Header=BB12_2999 Depth=2
	s_and_not1_saveexec_b32 s15, s15
; %bb.5509:                             ;   in Loop: Header=BB12_2999 Depth=2
	v_and_b32_e32 v0, 0xffff, v10
	v_or_b32_e32 v11, 0x10000, v10
	s_delay_alu instid0(VALU_DEP_2) | instskip(NEXT) | instid1(VALU_DEP_2)
	v_cmp_eq_u32_e32 vcc_lo, 0, v0
	v_cndmask_b32_e32 v0, v11, v10, vcc_lo
; %bb.5510:                             ;   in Loop: Header=BB12_2999 Depth=2
	s_or_b32 exec_lo, exec_lo, s15
	v_dual_lshrrev_b32 v10, 16, v12 :: v_dual_lshrrev_b32 v1, 16, v1
	v_dual_lshrrev_b32 v9, 16, v9 :: v_dual_lshrrev_b32 v11, 16, v6
	s_delay_alu instid0(VALU_DEP_2) | instskip(NEXT) | instid1(VALU_DEP_3)
	v_and_or_b32 v7, 0xffff0000, v7, v10
	v_and_or_b32 v6, 0xffff0000, v8, v1
	s_delay_alu instid0(VALU_DEP_3) | instskip(NEXT) | instid1(VALU_DEP_4)
	v_and_or_b32 v8, 0xffff0000, v2, v9
	v_and_or_b32 v9, 0xffff0000, v0, v11
	global_store_b128 v[4:5], v[6:9], off th:TH_STORE_NT
.LBB12_5511:                            ;   in Loop: Header=BB12_2999 Depth=2
	s_wait_xcnt 0x0
	s_or_b32 exec_lo, exec_lo, s14
	v_and_b32_e32 v1, 14, v123
	s_mov_b32 s15, s76
	s_mov_b32 s14, exec_lo
                                        ; implicit-def: $vgpr2
                                        ; implicit-def: $vgpr0
                                        ; implicit-def: $vgpr16
	s_delay_alu instid0(VALU_DEP_1) | instskip(NEXT) | instid1(VALU_DEP_1)
	v_cndmask_b32_e64 v123, v21, v1, s13
	v_cmpx_ne_u32_e32 0, v123
	s_cbranch_execz .LBB12_5513
; %bb.5512:                             ;   in Loop: Header=BB12_2999 Depth=2
	v_cmp_lt_i32_e32 vcc_lo, 0, v22
	s_or_b32 s15, s76, exec_lo
	v_dual_cndmask_b32 v0, 0, v60 :: v_dual_sub_nc_u32 v1, v21, v1
	s_delay_alu instid0(VALU_DEP_1) | instskip(NEXT) | instid1(VALU_DEP_1)
	v_dual_cndmask_b32 v1, 0, v1, s13 :: v_dual_sub_nc_u32 v0, v0, v22
	v_lshl_add_u32 v0, v0, 5, v19
	s_delay_alu instid0(VALU_DEP_1) | instskip(NEXT) | instid1(VALU_DEP_1)
	v_ashrrev_i32_e32 v2, 31, v0
	v_lshrrev_b32_e32 v2, 27, v2
	s_delay_alu instid0(VALU_DEP_1) | instskip(NEXT) | instid1(VALU_DEP_1)
	v_add_nc_u32_e32 v2, v0, v2
	v_and_b32_e32 v4, 0xffffffe0, v2
	v_add3_u32 v2, v20, v18, v1
	s_delay_alu instid0(VALU_DEP_2)
	v_sub_nc_u32_e32 v16, v0, v4
.LBB12_5513:                            ;   in Loop: Header=BB12_2999 Depth=2
	s_or_b32 exec_lo, exec_lo, s14
	s_delay_alu instid0(SALU_CYCLE_1) | instskip(SKIP_1) | instid1(SALU_CYCLE_1)
	s_and_not1_b32 s13, s76, exec_lo
	s_and_b32 s14, s15, exec_lo
	s_or_b32 s76, s13, s14
.LBB12_5514:                            ;   in Loop: Header=BB12_2999 Depth=2
	s_or_b32 exec_lo, exec_lo, s77
	s_and_saveexec_b32 s15, s76
	s_cbranch_execz .LBB12_5946
.LBB12_5515:                            ;   in Loop: Header=BB12_2999 Depth=2
	s_wait_loadcnt 0x1
	v_dual_ashrrev_i32 v1, 31, v0 :: v_dual_ashrrev_i32 v5, 31, v123
	s_wait_loadcnt 0x0
	v_dual_mov_b32 v51, 0 :: v_dual_lshlrev_b32 v4, 1, v16
	s_delay_alu instid0(VALU_DEP_2) | instskip(SKIP_2) | instid1(VALU_DEP_3)
	v_dual_mov_b32 v84, 0 :: v_dual_lshrrev_b32 v1, 27, v1
	v_dual_mov_b32 v82, 0 :: v_dual_mov_b32 v80, 0
	v_dual_mov_b32 v70, 0 :: v_dual_mov_b32 v68, 0
	v_dual_mov_b32 v65, 0 :: v_dual_add_nc_u32 v0, v0, v1
	v_dual_mov_b32 v64, 0 :: v_dual_lshrrev_b32 v1, 22, v5
	s_delay_alu instid0(VALU_DEP_2) | instskip(NEXT) | instid1(VALU_DEP_2)
	v_dual_mov_b32 v55, 0 :: v_dual_ashrrev_i32 v0, 5, v0
	v_dual_mov_b32 v52, 0 :: v_dual_add_nc_u32 v1, v123, v1
	v_dual_mov_b32 v54, 0 :: v_dual_mov_b32 v53, 0
	s_delay_alu instid0(VALU_DEP_3) | instskip(NEXT) | instid1(VALU_DEP_3)
	v_dual_mov_b32 v50, 0 :: v_dual_lshlrev_b32 v5, 10, v0
	v_dual_ashrrev_i32 v17, 10, v1 :: v_dual_mov_b32 v39, 0
	v_dual_mov_b32 v49, 0 :: v_dual_mov_b32 v48, 0
	s_delay_alu instid0(VALU_DEP_3) | instskip(NEXT) | instid1(VALU_DEP_3)
	v_add3_u32 v10, v2, v4, v5
	v_sub_nc_u32_e32 v36, v17, v0
	scratch_load_b64 v[0:1], off, s33 offset:340 ; 8-byte Folded Reload
	v_dual_mov_b32 v38, 0 :: v_dual_mov_b32 v37, 0
	v_dual_ashrrev_i32 v11, 31, v10 :: v_dual_mov_b32 v29, 0
	v_dual_mov_b32 v20, 0 :: v_dual_mov_b32 v19, 0
	v_dual_mov_b32 v18, 0 :: v_dual_mov_b32 v15, 0
	;; [unrolled: 1-line block ×5, first 2 shown]
	v_mov_b32_e32 v8, 0
	s_mov_b32 s14, 0
	s_mov_b32 s13, exec_lo
	s_wait_loadcnt 0x0
	v_add_nc_u64_e32 v[4:5], v[0:1], v[10:11]
	v_dual_mov_b32 v0, 0 :: v_dual_mov_b32 v1, 0
	s_wait_xcnt 0x0
	v_cmpx_lt_i32_e32 0, v36
	s_cbranch_execz .LBB12_5779
; %bb.5516:                             ;   in Loop: Header=BB12_2999 Depth=2
	s_trap 2
	ds_load_b64 v[0:1], v0
	v_add_nc_u64_e32 v[8:9], v[10:11], v[72:73]
	s_mov_b32 s41, 0
	s_mov_b32 s40, 0
                                        ; implicit-def: $sgpr14
                                        ; implicit-def: $vgpr29
                                        ; implicit-def: $vgpr119
                                        ; implicit-def: $vgpr115
                                        ; implicit-def: $vgpr113
                                        ; implicit-def: $vgpr103
                                        ; implicit-def: $vgpr101
                                        ; implicit-def: $vgpr99
                                        ; implicit-def: $vgpr97
                                        ; implicit-def: $vgpr87
                                        ; implicit-def: $vgpr85
                                        ; implicit-def: $vgpr83
                                        ; implicit-def: $vgpr81
                                        ; implicit-def: $vgpr71
                                        ; implicit-def: $vgpr69
                                        ; implicit-def: $vgpr67
                                        ; implicit-def: $vgpr66
                                        ; implicit-def: $vgpr18
                                        ; implicit-def: $vgpr19
                                        ; implicit-def: $vgpr20
                                        ; implicit-def: $vgpr21
                                        ; implicit-def: $vgpr22
                                        ; implicit-def: $vgpr23
                                        ; implicit-def: $vgpr24
                                        ; implicit-def: $vgpr25
                                        ; implicit-def: $vgpr26
                                        ; implicit-def: $vgpr27
                                        ; implicit-def: $vgpr30
                                        ; implicit-def: $vgpr31
                                        ; implicit-def: $vgpr32
                                        ; implicit-def: $vgpr33
                                        ; implicit-def: $vgpr34
                                        ; implicit-def: $vgpr35
	s_wait_dscnt 0x0
	v_add_nc_u64_e32 v[10:11], v[0:1], v[10:11]
	s_branch .LBB12_5518
.LBB12_5517:                            ;   in Loop: Header=BB12_5518 Depth=3
	s_or_b32 exec_lo, exec_lo, s76
	s_clause 0x7
	flat_store_d16_hi_b16 v[4:5], v1 th:TH_STORE_NT
	flat_store_d16_hi_b16 v[4:5], v13 offset:64 th:TH_STORE_NT
	flat_store_d16_hi_b16 v[4:5], v68 offset:128 th:TH_STORE_NT
	;; [unrolled: 1-line block ×7, first 2 shown]
	s_wait_xcnt 0x2
	v_dual_cndmask_b32 v1, 0, v60, s41 :: v_dual_cndmask_b32 v55, 0, v109, s41
	v_add_nc_u64_e32 v[38:39], v[8:9], v[88:89]
	v_add_nc_u64_e32 v[48:49], v[10:11], v[88:89]
	s_wait_xcnt 0x1
	v_cndmask_b32_e64 v54, 0x400, v108, s41
	v_sub_nc_u32_e32 v36, v36, v1
	s_clause 0x7
	flat_store_d16_hi_b16 v[4:5], v52 offset:512 th:TH_STORE_NT
	flat_store_d16_hi_b16 v[4:5], v51 offset:576 th:TH_STORE_NT
	;; [unrolled: 1-line block ×8, first 2 shown]
	v_cndmask_b32_e64 v9, v9, v39, s41
	v_cmp_gt_i32_e32 vcc_lo, 1, v36
	s_wait_xcnt 0x0
	v_add_nc_u64_e32 v[4:5], v[4:5], v[54:55]
	v_dual_cndmask_b32 v8, v8, v38, s41 :: v_dual_cndmask_b32 v11, v11, v49, s41
	v_cndmask_b32_e64 v10, v10, v48, s41
	s_or_b32 s40, vcc_lo, s40
	s_and_not1_b32 s14, s14, exec_lo
	s_and_b32 s76, s41, exec_lo
	s_delay_alu instid0(SALU_CYCLE_1)
	s_or_b32 s14, s14, s76
	s_and_not1_b32 exec_lo, exec_lo, s40
	s_cbranch_execz .LBB12_5778
.LBB12_5518:                            ;   Parent Loop BB12_47 Depth=1
                                        ;     Parent Loop BB12_2999 Depth=2
                                        ; =>    This Inner Loop Header: Depth=3
	s_clause 0xf
	flat_load_u16 v75, v[8:9] th:TH_LOAD_NT
	flat_load_u16 v1, v[8:9] offset:64 th:TH_LOAD_NT
	flat_load_u16 v43, v[8:9] offset:128 th:TH_LOAD_NT
	;; [unrolled: 1-line block ×15, first 2 shown]
	s_clause 0xf
	flat_load_u16 v80, v[10:11] th:TH_LOAD_NT
	flat_load_u16 v70, v[10:11] offset:64 th:TH_LOAD_NT
	flat_load_u16 v68, v[10:11] offset:128 th:TH_LOAD_NT
	;; [unrolled: 1-line block ×15, first 2 shown]
	s_wait_xcnt 0x0
	s_and_saveexec_b32 s76, s41
	s_cbranch_execz .LBB12_5648
; %bb.5519:                             ;   in Loop: Header=BB12_5518 Depth=3
	s_trap 2
	ds_load_b32 v0, v0
	s_wait_dscnt 0x0
	v_dual_lshlrev_b32 v12, 16, v29 :: v_dual_lshlrev_b32 v13, 16, v0
	s_delay_alu instid0(VALU_DEP_1) | instskip(SKIP_1) | instid1(VALU_DEP_1)
	v_mov_b32_e32 v0, v13
	s_wait_loadcnt 0x1e
	v_pk_mul_f32 v[14:15], v[0:1], v[12:13]
	s_delay_alu instid0(VALU_DEP_1) | instskip(NEXT) | instid1(VALU_DEP_1)
	v_and_b32_e32 v0, 0x7f800000, v14
	v_cmp_ne_u32_e32 vcc_lo, 0x7f800000, v0
                                        ; implicit-def: $vgpr0
	s_and_saveexec_b32 s41, vcc_lo
	s_delay_alu instid0(SALU_CYCLE_1)
	s_xor_b32 s41, exec_lo, s41
; %bb.5520:                             ;   in Loop: Header=BB12_5518 Depth=3
	v_bfe_u32 v0, v14, 16, 1
	s_delay_alu instid0(VALU_DEP_1)
	v_add3_u32 v0, v14, v0, 0x7fff
                                        ; implicit-def: $vgpr14_vgpr15
; %bb.5521:                             ;   in Loop: Header=BB12_5518 Depth=3
	s_and_not1_saveexec_b32 s41, s41
; %bb.5522:                             ;   in Loop: Header=BB12_5518 Depth=3
	v_and_b32_e32 v0, 0xffff, v14
	v_or_b32_e32 v6, 0x10000, v14
	s_delay_alu instid0(VALU_DEP_2) | instskip(NEXT) | instid1(VALU_DEP_2)
	v_cmp_eq_u32_e32 vcc_lo, 0, v0
	v_cndmask_b32_e32 v0, v6, v14, vcc_lo
; %bb.5523:                             ;   in Loop: Header=BB12_5518 Depth=3
	s_or_b32 exec_lo, exec_lo, s41
	v_lshlrev_b32_e32 v6, 16, v119
	s_mov_b32 s41, exec_lo
                                        ; implicit-def: $vgpr119
	s_delay_alu instid0(VALU_DEP_1) | instskip(NEXT) | instid1(VALU_DEP_1)
	v_mul_f32_e32 v6, v13, v6
	v_and_b32_e32 v7, 0x7f800000, v6
	s_delay_alu instid0(VALU_DEP_1)
	v_cmpx_ne_u32_e32 0x7f800000, v7
	s_xor_b32 s41, exec_lo, s41
; %bb.5524:                             ;   in Loop: Header=BB12_5518 Depth=3
	v_bfe_u32 v7, v6, 16, 1
	s_delay_alu instid0(VALU_DEP_1)
	v_add3_u32 v119, v6, v7, 0x7fff
                                        ; implicit-def: $vgpr6
; %bb.5525:                             ;   in Loop: Header=BB12_5518 Depth=3
	s_and_not1_saveexec_b32 s41, s41
; %bb.5526:                             ;   in Loop: Header=BB12_5518 Depth=3
	v_and_b32_e32 v7, 0xffff, v6
	v_or_b32_e32 v12, 0x10000, v6
	s_delay_alu instid0(VALU_DEP_2) | instskip(NEXT) | instid1(VALU_DEP_2)
	v_cmp_eq_u32_e32 vcc_lo, 0, v7
	v_cndmask_b32_e32 v119, v12, v6, vcc_lo
; %bb.5527:                             ;   in Loop: Header=BB12_5518 Depth=3
	s_or_b32 exec_lo, exec_lo, s41
	v_lshlrev_b32_e32 v6, 16, v115
	s_mov_b32 s41, exec_lo
                                        ; implicit-def: $vgpr115
	s_delay_alu instid0(VALU_DEP_1) | instskip(NEXT) | instid1(VALU_DEP_1)
	v_mul_f32_e32 v6, v13, v6
	v_and_b32_e32 v7, 0x7f800000, v6
	s_delay_alu instid0(VALU_DEP_1)
	v_cmpx_ne_u32_e32 0x7f800000, v7
	s_xor_b32 s41, exec_lo, s41
; %bb.5528:                             ;   in Loop: Header=BB12_5518 Depth=3
	v_bfe_u32 v7, v6, 16, 1
	s_delay_alu instid0(VALU_DEP_1)
	v_add3_u32 v115, v6, v7, 0x7fff
                                        ; implicit-def: $vgpr6
; %bb.5529:                             ;   in Loop: Header=BB12_5518 Depth=3
	s_and_not1_saveexec_b32 s41, s41
; %bb.5530:                             ;   in Loop: Header=BB12_5518 Depth=3
	v_and_b32_e32 v7, 0xffff, v6
	v_or_b32_e32 v12, 0x10000, v6
	s_delay_alu instid0(VALU_DEP_2) | instskip(NEXT) | instid1(VALU_DEP_2)
	v_cmp_eq_u32_e32 vcc_lo, 0, v7
	v_cndmask_b32_e32 v115, v12, v6, vcc_lo
; %bb.5531:                             ;   in Loop: Header=BB12_5518 Depth=3
	s_or_b32 exec_lo, exec_lo, s41
	v_lshlrev_b32_e32 v6, 16, v113
	s_mov_b32 s41, exec_lo
                                        ; implicit-def: $vgpr113
	s_delay_alu instid0(VALU_DEP_1) | instskip(NEXT) | instid1(VALU_DEP_1)
	v_mul_f32_e32 v6, v13, v6
	v_and_b32_e32 v7, 0x7f800000, v6
	s_delay_alu instid0(VALU_DEP_1)
	v_cmpx_ne_u32_e32 0x7f800000, v7
	s_xor_b32 s41, exec_lo, s41
; %bb.5532:                             ;   in Loop: Header=BB12_5518 Depth=3
	v_bfe_u32 v7, v6, 16, 1
	s_delay_alu instid0(VALU_DEP_1)
	v_add3_u32 v113, v6, v7, 0x7fff
                                        ; implicit-def: $vgpr6
; %bb.5533:                             ;   in Loop: Header=BB12_5518 Depth=3
	s_and_not1_saveexec_b32 s41, s41
; %bb.5534:                             ;   in Loop: Header=BB12_5518 Depth=3
	v_and_b32_e32 v7, 0xffff, v6
	v_or_b32_e32 v12, 0x10000, v6
	s_delay_alu instid0(VALU_DEP_2) | instskip(NEXT) | instid1(VALU_DEP_2)
	v_cmp_eq_u32_e32 vcc_lo, 0, v7
	v_cndmask_b32_e32 v113, v12, v6, vcc_lo
; %bb.5535:                             ;   in Loop: Header=BB12_5518 Depth=3
	s_or_b32 exec_lo, exec_lo, s41
	v_lshlrev_b32_e32 v6, 16, v103
	s_mov_b32 s41, exec_lo
                                        ; implicit-def: $vgpr103
	s_delay_alu instid0(VALU_DEP_1) | instskip(NEXT) | instid1(VALU_DEP_1)
	v_mul_f32_e32 v6, v13, v6
	v_and_b32_e32 v7, 0x7f800000, v6
	s_delay_alu instid0(VALU_DEP_1)
	v_cmpx_ne_u32_e32 0x7f800000, v7
	s_xor_b32 s41, exec_lo, s41
; %bb.5536:                             ;   in Loop: Header=BB12_5518 Depth=3
	v_bfe_u32 v7, v6, 16, 1
	s_delay_alu instid0(VALU_DEP_1)
	v_add3_u32 v103, v6, v7, 0x7fff
                                        ; implicit-def: $vgpr6
; %bb.5537:                             ;   in Loop: Header=BB12_5518 Depth=3
	s_and_not1_saveexec_b32 s41, s41
; %bb.5538:                             ;   in Loop: Header=BB12_5518 Depth=3
	v_and_b32_e32 v7, 0xffff, v6
	v_or_b32_e32 v12, 0x10000, v6
	s_delay_alu instid0(VALU_DEP_2) | instskip(NEXT) | instid1(VALU_DEP_2)
	v_cmp_eq_u32_e32 vcc_lo, 0, v7
	v_cndmask_b32_e32 v103, v12, v6, vcc_lo
; %bb.5539:                             ;   in Loop: Header=BB12_5518 Depth=3
	s_or_b32 exec_lo, exec_lo, s41
	v_lshlrev_b32_e32 v6, 16, v101
	s_mov_b32 s41, exec_lo
                                        ; implicit-def: $vgpr101
	s_delay_alu instid0(VALU_DEP_1) | instskip(NEXT) | instid1(VALU_DEP_1)
	v_mul_f32_e32 v6, v13, v6
	v_and_b32_e32 v7, 0x7f800000, v6
	s_delay_alu instid0(VALU_DEP_1)
	v_cmpx_ne_u32_e32 0x7f800000, v7
	s_xor_b32 s41, exec_lo, s41
; %bb.5540:                             ;   in Loop: Header=BB12_5518 Depth=3
	v_bfe_u32 v7, v6, 16, 1
	s_delay_alu instid0(VALU_DEP_1)
	v_add3_u32 v101, v6, v7, 0x7fff
                                        ; implicit-def: $vgpr6
; %bb.5541:                             ;   in Loop: Header=BB12_5518 Depth=3
	s_and_not1_saveexec_b32 s41, s41
; %bb.5542:                             ;   in Loop: Header=BB12_5518 Depth=3
	v_and_b32_e32 v7, 0xffff, v6
	v_or_b32_e32 v12, 0x10000, v6
	s_delay_alu instid0(VALU_DEP_2) | instskip(NEXT) | instid1(VALU_DEP_2)
	v_cmp_eq_u32_e32 vcc_lo, 0, v7
	v_cndmask_b32_e32 v101, v12, v6, vcc_lo
; %bb.5543:                             ;   in Loop: Header=BB12_5518 Depth=3
	s_or_b32 exec_lo, exec_lo, s41
	v_lshlrev_b32_e32 v6, 16, v99
	s_mov_b32 s41, exec_lo
                                        ; implicit-def: $vgpr99
	s_delay_alu instid0(VALU_DEP_1) | instskip(NEXT) | instid1(VALU_DEP_1)
	v_mul_f32_e32 v6, v13, v6
	v_and_b32_e32 v7, 0x7f800000, v6
	s_delay_alu instid0(VALU_DEP_1)
	v_cmpx_ne_u32_e32 0x7f800000, v7
	s_xor_b32 s41, exec_lo, s41
; %bb.5544:                             ;   in Loop: Header=BB12_5518 Depth=3
	v_bfe_u32 v7, v6, 16, 1
	s_delay_alu instid0(VALU_DEP_1)
	v_add3_u32 v99, v6, v7, 0x7fff
                                        ; implicit-def: $vgpr6
; %bb.5545:                             ;   in Loop: Header=BB12_5518 Depth=3
	s_and_not1_saveexec_b32 s41, s41
; %bb.5546:                             ;   in Loop: Header=BB12_5518 Depth=3
	v_and_b32_e32 v7, 0xffff, v6
	v_or_b32_e32 v12, 0x10000, v6
	s_delay_alu instid0(VALU_DEP_2) | instskip(NEXT) | instid1(VALU_DEP_2)
	v_cmp_eq_u32_e32 vcc_lo, 0, v7
	v_cndmask_b32_e32 v99, v12, v6, vcc_lo
; %bb.5547:                             ;   in Loop: Header=BB12_5518 Depth=3
	s_or_b32 exec_lo, exec_lo, s41
	v_lshlrev_b32_e32 v6, 16, v97
	s_mov_b32 s41, exec_lo
                                        ; implicit-def: $vgpr97
	s_delay_alu instid0(VALU_DEP_1) | instskip(NEXT) | instid1(VALU_DEP_1)
	v_mul_f32_e32 v6, v13, v6
	v_and_b32_e32 v7, 0x7f800000, v6
	s_delay_alu instid0(VALU_DEP_1)
	v_cmpx_ne_u32_e32 0x7f800000, v7
	s_xor_b32 s41, exec_lo, s41
; %bb.5548:                             ;   in Loop: Header=BB12_5518 Depth=3
	v_bfe_u32 v7, v6, 16, 1
	s_delay_alu instid0(VALU_DEP_1)
	v_add3_u32 v97, v6, v7, 0x7fff
                                        ; implicit-def: $vgpr6
; %bb.5549:                             ;   in Loop: Header=BB12_5518 Depth=3
	s_and_not1_saveexec_b32 s41, s41
; %bb.5550:                             ;   in Loop: Header=BB12_5518 Depth=3
	v_and_b32_e32 v7, 0xffff, v6
	v_or_b32_e32 v12, 0x10000, v6
	s_delay_alu instid0(VALU_DEP_2) | instskip(NEXT) | instid1(VALU_DEP_2)
	v_cmp_eq_u32_e32 vcc_lo, 0, v7
	v_cndmask_b32_e32 v97, v12, v6, vcc_lo
; %bb.5551:                             ;   in Loop: Header=BB12_5518 Depth=3
	s_or_b32 exec_lo, exec_lo, s41
	v_lshlrev_b32_e32 v6, 16, v87
	s_mov_b32 s41, exec_lo
                                        ; implicit-def: $vgpr87
	s_delay_alu instid0(VALU_DEP_1) | instskip(NEXT) | instid1(VALU_DEP_1)
	v_mul_f32_e32 v6, v13, v6
	v_and_b32_e32 v7, 0x7f800000, v6
	s_delay_alu instid0(VALU_DEP_1)
	v_cmpx_ne_u32_e32 0x7f800000, v7
	s_xor_b32 s41, exec_lo, s41
; %bb.5552:                             ;   in Loop: Header=BB12_5518 Depth=3
	v_bfe_u32 v7, v6, 16, 1
	s_delay_alu instid0(VALU_DEP_1)
	v_add3_u32 v87, v6, v7, 0x7fff
                                        ; implicit-def: $vgpr6
; %bb.5553:                             ;   in Loop: Header=BB12_5518 Depth=3
	s_and_not1_saveexec_b32 s41, s41
; %bb.5554:                             ;   in Loop: Header=BB12_5518 Depth=3
	v_and_b32_e32 v7, 0xffff, v6
	v_or_b32_e32 v12, 0x10000, v6
	s_delay_alu instid0(VALU_DEP_2) | instskip(NEXT) | instid1(VALU_DEP_2)
	v_cmp_eq_u32_e32 vcc_lo, 0, v7
	v_cndmask_b32_e32 v87, v12, v6, vcc_lo
; %bb.5555:                             ;   in Loop: Header=BB12_5518 Depth=3
	s_or_b32 exec_lo, exec_lo, s41
	v_lshlrev_b32_e32 v6, 16, v85
	s_mov_b32 s41, exec_lo
                                        ; implicit-def: $vgpr85
	s_delay_alu instid0(VALU_DEP_1) | instskip(NEXT) | instid1(VALU_DEP_1)
	v_mul_f32_e32 v6, v13, v6
	v_and_b32_e32 v7, 0x7f800000, v6
	s_delay_alu instid0(VALU_DEP_1)
	v_cmpx_ne_u32_e32 0x7f800000, v7
	s_xor_b32 s41, exec_lo, s41
; %bb.5556:                             ;   in Loop: Header=BB12_5518 Depth=3
	v_bfe_u32 v7, v6, 16, 1
	s_delay_alu instid0(VALU_DEP_1)
	v_add3_u32 v85, v6, v7, 0x7fff
                                        ; implicit-def: $vgpr6
; %bb.5557:                             ;   in Loop: Header=BB12_5518 Depth=3
	s_and_not1_saveexec_b32 s41, s41
; %bb.5558:                             ;   in Loop: Header=BB12_5518 Depth=3
	v_and_b32_e32 v7, 0xffff, v6
	v_or_b32_e32 v12, 0x10000, v6
	s_delay_alu instid0(VALU_DEP_2) | instskip(NEXT) | instid1(VALU_DEP_2)
	v_cmp_eq_u32_e32 vcc_lo, 0, v7
	v_cndmask_b32_e32 v85, v12, v6, vcc_lo
; %bb.5559:                             ;   in Loop: Header=BB12_5518 Depth=3
	s_or_b32 exec_lo, exec_lo, s41
	v_lshlrev_b32_e32 v6, 16, v83
	s_mov_b32 s41, exec_lo
                                        ; implicit-def: $vgpr29
	s_delay_alu instid0(VALU_DEP_1) | instskip(NEXT) | instid1(VALU_DEP_1)
	v_mul_f32_e32 v6, v13, v6
	v_and_b32_e32 v7, 0x7f800000, v6
	s_delay_alu instid0(VALU_DEP_1)
	v_cmpx_ne_u32_e32 0x7f800000, v7
	s_xor_b32 s41, exec_lo, s41
; %bb.5560:                             ;   in Loop: Header=BB12_5518 Depth=3
	v_bfe_u32 v7, v6, 16, 1
	s_delay_alu instid0(VALU_DEP_1)
	v_add3_u32 v29, v6, v7, 0x7fff
                                        ; implicit-def: $vgpr6
; %bb.5561:                             ;   in Loop: Header=BB12_5518 Depth=3
	s_and_not1_saveexec_b32 s41, s41
; %bb.5562:                             ;   in Loop: Header=BB12_5518 Depth=3
	v_and_b32_e32 v7, 0xffff, v6
	v_or_b32_e32 v12, 0x10000, v6
	s_delay_alu instid0(VALU_DEP_2) | instskip(NEXT) | instid1(VALU_DEP_2)
	v_cmp_eq_u32_e32 vcc_lo, 0, v7
	v_cndmask_b32_e32 v29, v12, v6, vcc_lo
; %bb.5563:                             ;   in Loop: Header=BB12_5518 Depth=3
	s_or_b32 exec_lo, exec_lo, s41
	v_lshlrev_b32_e32 v6, 16, v81
	s_mov_b32 s41, exec_lo
                                        ; implicit-def: $vgpr15
	s_delay_alu instid0(VALU_DEP_1) | instskip(NEXT) | instid1(VALU_DEP_1)
	v_mul_f32_e32 v6, v13, v6
	v_and_b32_e32 v7, 0x7f800000, v6
	s_delay_alu instid0(VALU_DEP_1)
	v_cmpx_ne_u32_e32 0x7f800000, v7
	s_xor_b32 s41, exec_lo, s41
; %bb.5564:                             ;   in Loop: Header=BB12_5518 Depth=3
	v_bfe_u32 v7, v6, 16, 1
	s_delay_alu instid0(VALU_DEP_1)
	v_add3_u32 v15, v6, v7, 0x7fff
                                        ; implicit-def: $vgpr6
; %bb.5565:                             ;   in Loop: Header=BB12_5518 Depth=3
	s_and_not1_saveexec_b32 s41, s41
; %bb.5566:                             ;   in Loop: Header=BB12_5518 Depth=3
	v_and_b32_e32 v7, 0xffff, v6
	v_or_b32_e32 v12, 0x10000, v6
	s_delay_alu instid0(VALU_DEP_2) | instskip(NEXT) | instid1(VALU_DEP_2)
	v_cmp_eq_u32_e32 vcc_lo, 0, v7
	v_cndmask_b32_e32 v15, v12, v6, vcc_lo
; %bb.5567:                             ;   in Loop: Header=BB12_5518 Depth=3
	s_or_b32 exec_lo, exec_lo, s41
	v_lshlrev_b32_e32 v6, 16, v71
	s_mov_b32 s41, exec_lo
                                        ; implicit-def: $vgpr14
	s_delay_alu instid0(VALU_DEP_1) | instskip(NEXT) | instid1(VALU_DEP_1)
	v_mul_f32_e32 v6, v13, v6
	v_and_b32_e32 v7, 0x7f800000, v6
	s_delay_alu instid0(VALU_DEP_1)
	v_cmpx_ne_u32_e32 0x7f800000, v7
	s_xor_b32 s41, exec_lo, s41
; %bb.5568:                             ;   in Loop: Header=BB12_5518 Depth=3
	v_bfe_u32 v7, v6, 16, 1
	s_delay_alu instid0(VALU_DEP_1)
	v_add3_u32 v14, v6, v7, 0x7fff
                                        ; implicit-def: $vgpr6
; %bb.5569:                             ;   in Loop: Header=BB12_5518 Depth=3
	s_and_not1_saveexec_b32 s41, s41
; %bb.5570:                             ;   in Loop: Header=BB12_5518 Depth=3
	v_and_b32_e32 v7, 0xffff, v6
	v_or_b32_e32 v12, 0x10000, v6
	s_delay_alu instid0(VALU_DEP_2) | instskip(NEXT) | instid1(VALU_DEP_2)
	v_cmp_eq_u32_e32 vcc_lo, 0, v7
	v_cndmask_b32_e32 v14, v12, v6, vcc_lo
; %bb.5571:                             ;   in Loop: Header=BB12_5518 Depth=3
	s_or_b32 exec_lo, exec_lo, s41
	v_lshlrev_b32_e32 v6, 16, v69
	s_mov_b32 s41, exec_lo
                                        ; implicit-def: $vgpr12
	s_delay_alu instid0(VALU_DEP_1) | instskip(NEXT) | instid1(VALU_DEP_1)
	v_mul_f32_e32 v6, v13, v6
	v_and_b32_e32 v7, 0x7f800000, v6
	s_delay_alu instid0(VALU_DEP_1)
	v_cmpx_ne_u32_e32 0x7f800000, v7
	s_xor_b32 s41, exec_lo, s41
; %bb.5572:                             ;   in Loop: Header=BB12_5518 Depth=3
	v_bfe_u32 v7, v6, 16, 1
	s_delay_alu instid0(VALU_DEP_1)
	v_add3_u32 v12, v6, v7, 0x7fff
                                        ; implicit-def: $vgpr6
; %bb.5573:                             ;   in Loop: Header=BB12_5518 Depth=3
	s_and_not1_saveexec_b32 s41, s41
; %bb.5574:                             ;   in Loop: Header=BB12_5518 Depth=3
	v_and_b32_e32 v7, 0xffff, v6
	v_or_b32_e32 v12, 0x10000, v6
	s_delay_alu instid0(VALU_DEP_2) | instskip(NEXT) | instid1(VALU_DEP_2)
	v_cmp_eq_u32_e32 vcc_lo, 0, v7
	v_cndmask_b32_e32 v12, v12, v6, vcc_lo
; %bb.5575:                             ;   in Loop: Header=BB12_5518 Depth=3
	s_or_b32 exec_lo, exec_lo, s41
	v_lshlrev_b32_e32 v6, 16, v67
	s_delay_alu instid0(VALU_DEP_1) | instskip(NEXT) | instid1(VALU_DEP_1)
	v_mul_f32_e32 v6, v13, v6
	v_and_b32_e32 v7, 0x7f800000, v6
	s_delay_alu instid0(VALU_DEP_1) | instskip(SKIP_1) | instid1(SALU_CYCLE_1)
	v_cmp_ne_u32_e32 vcc_lo, 0x7f800000, v7
                                        ; implicit-def: $vgpr7
	s_and_saveexec_b32 s41, vcc_lo
	s_xor_b32 s41, exec_lo, s41
; %bb.5576:                             ;   in Loop: Header=BB12_5518 Depth=3
	v_bfe_u32 v7, v6, 16, 1
	s_delay_alu instid0(VALU_DEP_1)
	v_add3_u32 v7, v6, v7, 0x7fff
                                        ; implicit-def: $vgpr6
; %bb.5577:                             ;   in Loop: Header=BB12_5518 Depth=3
	s_and_not1_saveexec_b32 s41, s41
; %bb.5578:                             ;   in Loop: Header=BB12_5518 Depth=3
	v_and_b32_e32 v7, 0xffff, v6
	v_or_b32_e32 v67, 0x10000, v6
	s_delay_alu instid0(VALU_DEP_2) | instskip(NEXT) | instid1(VALU_DEP_2)
	v_cmp_eq_u32_e32 vcc_lo, 0, v7
	v_cndmask_b32_e32 v7, v67, v6, vcc_lo
; %bb.5579:                             ;   in Loop: Header=BB12_5518 Depth=3
	s_or_b32 exec_lo, exec_lo, s41
	v_lshlrev_b32_e32 v6, 16, v66
	s_delay_alu instid0(VALU_DEP_1) | instskip(NEXT) | instid1(VALU_DEP_1)
	v_mul_f32_e32 v13, v13, v6
	v_and_b32_e32 v6, 0x7f800000, v13
	s_delay_alu instid0(VALU_DEP_1) | instskip(SKIP_1) | instid1(SALU_CYCLE_1)
	v_cmp_ne_u32_e32 vcc_lo, 0x7f800000, v6
                                        ; implicit-def: $vgpr6
	s_and_saveexec_b32 s41, vcc_lo
	s_xor_b32 s41, exec_lo, s41
; %bb.5580:                             ;   in Loop: Header=BB12_5518 Depth=3
	v_bfe_u32 v6, v13, 16, 1
	s_delay_alu instid0(VALU_DEP_1)
	v_add3_u32 v6, v13, v6, 0x7fff
                                        ; implicit-def: $vgpr13
; %bb.5581:                             ;   in Loop: Header=BB12_5518 Depth=3
	s_and_not1_saveexec_b32 s41, s41
; %bb.5582:                             ;   in Loop: Header=BB12_5518 Depth=3
	v_and_b32_e32 v6, 0xffff, v13
	v_or_b32_e32 v66, 0x10000, v13
	s_delay_alu instid0(VALU_DEP_2) | instskip(NEXT) | instid1(VALU_DEP_2)
	v_cmp_eq_u32_e32 vcc_lo, 0, v6
	v_cndmask_b32_e32 v6, v66, v13, vcc_lo
; %bb.5583:                             ;   in Loop: Header=BB12_5518 Depth=3
	s_or_b32 exec_lo, exec_lo, s41
	v_and_b32_e32 v0, 0xffff0000, v0
	v_lshlrev_b32_e32 v13, 16, v18
	s_delay_alu instid0(VALU_DEP_1) | instskip(NEXT) | instid1(VALU_DEP_1)
	v_add_f32_e32 v13, v13, v0
	v_and_b32_e32 v0, 0x7f800000, v13
	s_delay_alu instid0(VALU_DEP_1) | instskip(SKIP_1) | instid1(SALU_CYCLE_1)
	v_cmp_ne_u32_e32 vcc_lo, 0x7f800000, v0
                                        ; implicit-def: $vgpr0
	s_and_saveexec_b32 s41, vcc_lo
	s_xor_b32 s41, exec_lo, s41
; %bb.5584:                             ;   in Loop: Header=BB12_5518 Depth=3
	v_bfe_u32 v0, v13, 16, 1
	s_delay_alu instid0(VALU_DEP_1)
	v_add3_u32 v0, v13, v0, 0x7fff
                                        ; implicit-def: $vgpr13
; %bb.5585:                             ;   in Loop: Header=BB12_5518 Depth=3
	s_and_not1_saveexec_b32 s41, s41
; %bb.5586:                             ;   in Loop: Header=BB12_5518 Depth=3
	v_and_b32_e32 v0, 0xffff, v13
	v_or_b32_e32 v66, 0x10000, v13
	s_delay_alu instid0(VALU_DEP_2) | instskip(NEXT) | instid1(VALU_DEP_2)
	v_cmp_eq_u32_e32 vcc_lo, 0, v0
	v_cndmask_b32_e32 v0, v66, v13, vcc_lo
; %bb.5587:                             ;   in Loop: Header=BB12_5518 Depth=3
	s_or_b32 exec_lo, exec_lo, s41
	v_and_b32_e32 v13, 0xffff0000, v119
	v_lshlrev_b32_e32 v66, 16, v19
	s_delay_alu instid0(VALU_DEP_1) | instskip(NEXT) | instid1(VALU_DEP_1)
	v_add_f32_e32 v66, v66, v13
	v_and_b32_e32 v13, 0x7f800000, v66
	s_delay_alu instid0(VALU_DEP_1) | instskip(SKIP_1) | instid1(SALU_CYCLE_1)
	v_cmp_ne_u32_e32 vcc_lo, 0x7f800000, v13
                                        ; implicit-def: $vgpr13
	s_and_saveexec_b32 s41, vcc_lo
	s_xor_b32 s41, exec_lo, s41
; %bb.5588:                             ;   in Loop: Header=BB12_5518 Depth=3
	v_bfe_u32 v13, v66, 16, 1
	s_delay_alu instid0(VALU_DEP_1)
	v_add3_u32 v13, v66, v13, 0x7fff
                                        ; implicit-def: $vgpr66
; %bb.5589:                             ;   in Loop: Header=BB12_5518 Depth=3
	s_and_not1_saveexec_b32 s41, s41
; %bb.5590:                             ;   in Loop: Header=BB12_5518 Depth=3
	v_and_b32_e32 v13, 0xffff, v66
	v_or_b32_e32 v67, 0x10000, v66
	s_delay_alu instid0(VALU_DEP_2) | instskip(NEXT) | instid1(VALU_DEP_2)
	v_cmp_eq_u32_e32 vcc_lo, 0, v13
	v_cndmask_b32_e32 v13, v67, v66, vcc_lo
; %bb.5591:                             ;   in Loop: Header=BB12_5518 Depth=3
	s_or_b32 exec_lo, exec_lo, s41
	v_and_b32_e32 v66, 0xffff0000, v115
	v_lshlrev_b32_e32 v67, 16, v20
	s_delay_alu instid0(VALU_DEP_1) | instskip(NEXT) | instid1(VALU_DEP_1)
	v_add_f32_e32 v67, v67, v66
	v_and_b32_e32 v66, 0x7f800000, v67
	s_delay_alu instid0(VALU_DEP_1) | instskip(SKIP_1) | instid1(SALU_CYCLE_1)
	v_cmp_ne_u32_e32 vcc_lo, 0x7f800000, v66
                                        ; implicit-def: $vgpr66
	s_and_saveexec_b32 s41, vcc_lo
	s_xor_b32 s41, exec_lo, s41
; %bb.5592:                             ;   in Loop: Header=BB12_5518 Depth=3
	v_bfe_u32 v66, v67, 16, 1
	s_delay_alu instid0(VALU_DEP_1)
	v_add3_u32 v66, v67, v66, 0x7fff
                                        ; implicit-def: $vgpr67
; %bb.5593:                             ;   in Loop: Header=BB12_5518 Depth=3
	s_and_not1_saveexec_b32 s41, s41
; %bb.5594:                             ;   in Loop: Header=BB12_5518 Depth=3
	v_and_b32_e32 v66, 0xffff, v67
	v_or_b32_e32 v69, 0x10000, v67
	s_delay_alu instid0(VALU_DEP_2) | instskip(NEXT) | instid1(VALU_DEP_2)
	v_cmp_eq_u32_e32 vcc_lo, 0, v66
	v_cndmask_b32_e32 v66, v69, v67, vcc_lo
; %bb.5595:                             ;   in Loop: Header=BB12_5518 Depth=3
	s_or_b32 exec_lo, exec_lo, s41
	v_and_b32_e32 v67, 0xffff0000, v113
	v_lshlrev_b32_e32 v69, 16, v21
	s_mov_b32 s41, exec_lo
                                        ; implicit-def: $vgpr113
	s_delay_alu instid0(VALU_DEP_1) | instskip(NEXT) | instid1(VALU_DEP_1)
	v_add_f32_e32 v67, v69, v67
	v_and_b32_e32 v69, 0x7f800000, v67
	s_delay_alu instid0(VALU_DEP_1)
	v_cmpx_ne_u32_e32 0x7f800000, v69
	s_xor_b32 s41, exec_lo, s41
; %bb.5596:                             ;   in Loop: Header=BB12_5518 Depth=3
	v_bfe_u32 v69, v67, 16, 1
	s_delay_alu instid0(VALU_DEP_1)
	v_add3_u32 v113, v67, v69, 0x7fff
                                        ; implicit-def: $vgpr67
; %bb.5597:                             ;   in Loop: Header=BB12_5518 Depth=3
	s_and_not1_saveexec_b32 s41, s41
; %bb.5598:                             ;   in Loop: Header=BB12_5518 Depth=3
	v_and_b32_e32 v69, 0xffff, v67
	v_or_b32_e32 v71, 0x10000, v67
	s_delay_alu instid0(VALU_DEP_2) | instskip(NEXT) | instid1(VALU_DEP_2)
	v_cmp_eq_u32_e32 vcc_lo, 0, v69
	v_cndmask_b32_e32 v113, v71, v67, vcc_lo
; %bb.5599:                             ;   in Loop: Header=BB12_5518 Depth=3
	s_or_b32 exec_lo, exec_lo, s41
	v_and_b32_e32 v67, 0xffff0000, v103
	v_lshlrev_b32_e32 v69, 16, v22
	s_mov_b32 s41, exec_lo
                                        ; implicit-def: $vgpr103
	s_delay_alu instid0(VALU_DEP_1) | instskip(NEXT) | instid1(VALU_DEP_1)
	v_add_f32_e32 v67, v69, v67
	v_and_b32_e32 v69, 0x7f800000, v67
	s_delay_alu instid0(VALU_DEP_1)
	v_cmpx_ne_u32_e32 0x7f800000, v69
	s_xor_b32 s41, exec_lo, s41
; %bb.5600:                             ;   in Loop: Header=BB12_5518 Depth=3
	v_bfe_u32 v69, v67, 16, 1
	s_delay_alu instid0(VALU_DEP_1)
	v_add3_u32 v103, v67, v69, 0x7fff
                                        ; implicit-def: $vgpr67
; %bb.5601:                             ;   in Loop: Header=BB12_5518 Depth=3
	s_and_not1_saveexec_b32 s41, s41
; %bb.5602:                             ;   in Loop: Header=BB12_5518 Depth=3
	v_and_b32_e32 v69, 0xffff, v67
	v_or_b32_e32 v71, 0x10000, v67
	s_delay_alu instid0(VALU_DEP_2) | instskip(NEXT) | instid1(VALU_DEP_2)
	v_cmp_eq_u32_e32 vcc_lo, 0, v69
	v_cndmask_b32_e32 v103, v71, v67, vcc_lo
; %bb.5603:                             ;   in Loop: Header=BB12_5518 Depth=3
	s_or_b32 exec_lo, exec_lo, s41
	v_and_b32_e32 v67, 0xffff0000, v101
	v_lshlrev_b32_e32 v69, 16, v23
	s_mov_b32 s41, exec_lo
                                        ; implicit-def: $vgpr101
	s_delay_alu instid0(VALU_DEP_1) | instskip(NEXT) | instid1(VALU_DEP_1)
	v_add_f32_e32 v67, v69, v67
	v_and_b32_e32 v69, 0x7f800000, v67
	s_delay_alu instid0(VALU_DEP_1)
	v_cmpx_ne_u32_e32 0x7f800000, v69
	s_xor_b32 s41, exec_lo, s41
; %bb.5604:                             ;   in Loop: Header=BB12_5518 Depth=3
	v_bfe_u32 v69, v67, 16, 1
	s_delay_alu instid0(VALU_DEP_1)
	v_add3_u32 v101, v67, v69, 0x7fff
                                        ; implicit-def: $vgpr67
; %bb.5605:                             ;   in Loop: Header=BB12_5518 Depth=3
	s_and_not1_saveexec_b32 s41, s41
; %bb.5606:                             ;   in Loop: Header=BB12_5518 Depth=3
	v_and_b32_e32 v69, 0xffff, v67
	v_or_b32_e32 v71, 0x10000, v67
	s_delay_alu instid0(VALU_DEP_2) | instskip(NEXT) | instid1(VALU_DEP_2)
	v_cmp_eq_u32_e32 vcc_lo, 0, v69
	v_cndmask_b32_e32 v101, v71, v67, vcc_lo
; %bb.5607:                             ;   in Loop: Header=BB12_5518 Depth=3
	s_or_b32 exec_lo, exec_lo, s41
	v_and_b32_e32 v67, 0xffff0000, v99
	v_lshlrev_b32_e32 v69, 16, v24
	s_mov_b32 s41, exec_lo
                                        ; implicit-def: $vgpr99
	s_delay_alu instid0(VALU_DEP_1) | instskip(NEXT) | instid1(VALU_DEP_1)
	v_add_f32_e32 v67, v69, v67
	v_and_b32_e32 v69, 0x7f800000, v67
	s_delay_alu instid0(VALU_DEP_1)
	v_cmpx_ne_u32_e32 0x7f800000, v69
	s_xor_b32 s41, exec_lo, s41
; %bb.5608:                             ;   in Loop: Header=BB12_5518 Depth=3
	v_bfe_u32 v69, v67, 16, 1
	s_delay_alu instid0(VALU_DEP_1)
	v_add3_u32 v99, v67, v69, 0x7fff
                                        ; implicit-def: $vgpr67
; %bb.5609:                             ;   in Loop: Header=BB12_5518 Depth=3
	s_and_not1_saveexec_b32 s41, s41
; %bb.5610:                             ;   in Loop: Header=BB12_5518 Depth=3
	v_and_b32_e32 v69, 0xffff, v67
	v_or_b32_e32 v71, 0x10000, v67
	s_delay_alu instid0(VALU_DEP_2) | instskip(NEXT) | instid1(VALU_DEP_2)
	v_cmp_eq_u32_e32 vcc_lo, 0, v69
	v_cndmask_b32_e32 v99, v71, v67, vcc_lo
; %bb.5611:                             ;   in Loop: Header=BB12_5518 Depth=3
	s_or_b32 exec_lo, exec_lo, s41
	v_and_b32_e32 v67, 0xffff0000, v97
	v_lshlrev_b32_e32 v69, 16, v25
	s_mov_b32 s41, exec_lo
                                        ; implicit-def: $vgpr97
	s_delay_alu instid0(VALU_DEP_1) | instskip(NEXT) | instid1(VALU_DEP_1)
	v_add_f32_e32 v67, v69, v67
	v_and_b32_e32 v69, 0x7f800000, v67
	s_delay_alu instid0(VALU_DEP_1)
	v_cmpx_ne_u32_e32 0x7f800000, v69
	s_xor_b32 s41, exec_lo, s41
; %bb.5612:                             ;   in Loop: Header=BB12_5518 Depth=3
	v_bfe_u32 v69, v67, 16, 1
	s_delay_alu instid0(VALU_DEP_1)
	v_add3_u32 v97, v67, v69, 0x7fff
                                        ; implicit-def: $vgpr67
; %bb.5613:                             ;   in Loop: Header=BB12_5518 Depth=3
	s_and_not1_saveexec_b32 s41, s41
; %bb.5614:                             ;   in Loop: Header=BB12_5518 Depth=3
	v_and_b32_e32 v69, 0xffff, v67
	v_or_b32_e32 v71, 0x10000, v67
	s_delay_alu instid0(VALU_DEP_2) | instskip(NEXT) | instid1(VALU_DEP_2)
	v_cmp_eq_u32_e32 vcc_lo, 0, v69
	v_cndmask_b32_e32 v97, v71, v67, vcc_lo
; %bb.5615:                             ;   in Loop: Header=BB12_5518 Depth=3
	s_or_b32 exec_lo, exec_lo, s41
	v_and_b32_e32 v67, 0xffff0000, v87
	v_lshlrev_b32_e32 v69, 16, v26
	s_mov_b32 s41, exec_lo
                                        ; implicit-def: $vgpr87
	s_delay_alu instid0(VALU_DEP_1) | instskip(NEXT) | instid1(VALU_DEP_1)
	v_add_f32_e32 v67, v69, v67
	v_and_b32_e32 v69, 0x7f800000, v67
	s_delay_alu instid0(VALU_DEP_1)
	v_cmpx_ne_u32_e32 0x7f800000, v69
	s_xor_b32 s41, exec_lo, s41
; %bb.5616:                             ;   in Loop: Header=BB12_5518 Depth=3
	v_bfe_u32 v69, v67, 16, 1
	s_delay_alu instid0(VALU_DEP_1)
	v_add3_u32 v87, v67, v69, 0x7fff
                                        ; implicit-def: $vgpr67
; %bb.5617:                             ;   in Loop: Header=BB12_5518 Depth=3
	s_and_not1_saveexec_b32 s41, s41
; %bb.5618:                             ;   in Loop: Header=BB12_5518 Depth=3
	v_and_b32_e32 v69, 0xffff, v67
	v_or_b32_e32 v71, 0x10000, v67
	s_delay_alu instid0(VALU_DEP_2) | instskip(NEXT) | instid1(VALU_DEP_2)
	v_cmp_eq_u32_e32 vcc_lo, 0, v69
	v_cndmask_b32_e32 v87, v71, v67, vcc_lo
; %bb.5619:                             ;   in Loop: Header=BB12_5518 Depth=3
	s_or_b32 exec_lo, exec_lo, s41
	v_and_b32_e32 v67, 0xffff0000, v85
	v_lshlrev_b32_e32 v69, 16, v27
	s_mov_b32 s41, exec_lo
                                        ; implicit-def: $vgpr85
	s_delay_alu instid0(VALU_DEP_1) | instskip(NEXT) | instid1(VALU_DEP_1)
	v_add_f32_e32 v67, v69, v67
	v_and_b32_e32 v69, 0x7f800000, v67
	s_delay_alu instid0(VALU_DEP_1)
	v_cmpx_ne_u32_e32 0x7f800000, v69
	s_xor_b32 s41, exec_lo, s41
; %bb.5620:                             ;   in Loop: Header=BB12_5518 Depth=3
	v_bfe_u32 v69, v67, 16, 1
	s_delay_alu instid0(VALU_DEP_1)
	v_add3_u32 v85, v67, v69, 0x7fff
                                        ; implicit-def: $vgpr67
; %bb.5621:                             ;   in Loop: Header=BB12_5518 Depth=3
	s_and_not1_saveexec_b32 s41, s41
; %bb.5622:                             ;   in Loop: Header=BB12_5518 Depth=3
	v_and_b32_e32 v69, 0xffff, v67
	v_or_b32_e32 v71, 0x10000, v67
	s_delay_alu instid0(VALU_DEP_2) | instskip(NEXT) | instid1(VALU_DEP_2)
	v_cmp_eq_u32_e32 vcc_lo, 0, v69
	v_cndmask_b32_e32 v85, v71, v67, vcc_lo
; %bb.5623:                             ;   in Loop: Header=BB12_5518 Depth=3
	s_or_b32 exec_lo, exec_lo, s41
	v_and_b32_e32 v29, 0xffff0000, v29
	v_lshlrev_b32_e32 v67, 16, v30
	s_delay_alu instid0(VALU_DEP_1) | instskip(NEXT) | instid1(VALU_DEP_1)
	v_add_f32_e32 v67, v67, v29
	v_and_b32_e32 v29, 0x7f800000, v67
	s_delay_alu instid0(VALU_DEP_1) | instskip(SKIP_1) | instid1(SALU_CYCLE_1)
	v_cmp_ne_u32_e32 vcc_lo, 0x7f800000, v29
                                        ; implicit-def: $vgpr29
	s_and_saveexec_b32 s41, vcc_lo
	s_xor_b32 s41, exec_lo, s41
; %bb.5624:                             ;   in Loop: Header=BB12_5518 Depth=3
	v_bfe_u32 v29, v67, 16, 1
	s_delay_alu instid0(VALU_DEP_1)
	v_add3_u32 v29, v67, v29, 0x7fff
                                        ; implicit-def: $vgpr67
; %bb.5625:                             ;   in Loop: Header=BB12_5518 Depth=3
	s_and_not1_saveexec_b32 s41, s41
; %bb.5626:                             ;   in Loop: Header=BB12_5518 Depth=3
	v_and_b32_e32 v29, 0xffff, v67
	v_or_b32_e32 v69, 0x10000, v67
	s_delay_alu instid0(VALU_DEP_2) | instskip(NEXT) | instid1(VALU_DEP_2)
	v_cmp_eq_u32_e32 vcc_lo, 0, v29
	v_cndmask_b32_e32 v29, v69, v67, vcc_lo
; %bb.5627:                             ;   in Loop: Header=BB12_5518 Depth=3
	s_or_b32 exec_lo, exec_lo, s41
	v_and_b32_e32 v15, 0xffff0000, v15
	v_lshlrev_b32_e32 v67, 16, v31
	s_delay_alu instid0(VALU_DEP_1) | instskip(NEXT) | instid1(VALU_DEP_1)
	v_add_f32_e32 v67, v67, v15
	v_and_b32_e32 v15, 0x7f800000, v67
	s_delay_alu instid0(VALU_DEP_1) | instskip(SKIP_1) | instid1(SALU_CYCLE_1)
	v_cmp_ne_u32_e32 vcc_lo, 0x7f800000, v15
                                        ; implicit-def: $vgpr15
	s_and_saveexec_b32 s41, vcc_lo
	s_xor_b32 s41, exec_lo, s41
; %bb.5628:                             ;   in Loop: Header=BB12_5518 Depth=3
	v_bfe_u32 v15, v67, 16, 1
	s_delay_alu instid0(VALU_DEP_1)
	v_add3_u32 v15, v67, v15, 0x7fff
                                        ; implicit-def: $vgpr67
; %bb.5629:                             ;   in Loop: Header=BB12_5518 Depth=3
	s_and_not1_saveexec_b32 s41, s41
; %bb.5630:                             ;   in Loop: Header=BB12_5518 Depth=3
	v_and_b32_e32 v15, 0xffff, v67
	v_or_b32_e32 v69, 0x10000, v67
	s_delay_alu instid0(VALU_DEP_2) | instskip(NEXT) | instid1(VALU_DEP_2)
	v_cmp_eq_u32_e32 vcc_lo, 0, v15
	v_cndmask_b32_e32 v15, v69, v67, vcc_lo
; %bb.5631:                             ;   in Loop: Header=BB12_5518 Depth=3
	s_or_b32 exec_lo, exec_lo, s41
	v_and_b32_e32 v14, 0xffff0000, v14
	v_lshlrev_b32_e32 v67, 16, v32
	s_delay_alu instid0(VALU_DEP_1) | instskip(NEXT) | instid1(VALU_DEP_1)
	v_add_f32_e32 v67, v67, v14
	v_and_b32_e32 v14, 0x7f800000, v67
	s_delay_alu instid0(VALU_DEP_1) | instskip(SKIP_1) | instid1(SALU_CYCLE_1)
	v_cmp_ne_u32_e32 vcc_lo, 0x7f800000, v14
                                        ; implicit-def: $vgpr14
	s_and_saveexec_b32 s41, vcc_lo
	s_xor_b32 s41, exec_lo, s41
; %bb.5632:                             ;   in Loop: Header=BB12_5518 Depth=3
	v_bfe_u32 v14, v67, 16, 1
	s_delay_alu instid0(VALU_DEP_1)
	v_add3_u32 v14, v67, v14, 0x7fff
                                        ; implicit-def: $vgpr67
; %bb.5633:                             ;   in Loop: Header=BB12_5518 Depth=3
	s_and_not1_saveexec_b32 s41, s41
; %bb.5634:                             ;   in Loop: Header=BB12_5518 Depth=3
	v_and_b32_e32 v14, 0xffff, v67
	v_or_b32_e32 v69, 0x10000, v67
	s_delay_alu instid0(VALU_DEP_2) | instskip(NEXT) | instid1(VALU_DEP_2)
	v_cmp_eq_u32_e32 vcc_lo, 0, v14
	v_cndmask_b32_e32 v14, v69, v67, vcc_lo
; %bb.5635:                             ;   in Loop: Header=BB12_5518 Depth=3
	s_or_b32 exec_lo, exec_lo, s41
	v_and_b32_e32 v12, 0xffff0000, v12
	v_lshlrev_b32_e32 v67, 16, v33
	s_delay_alu instid0(VALU_DEP_1) | instskip(NEXT) | instid1(VALU_DEP_1)
	v_add_f32_e32 v67, v67, v12
	v_and_b32_e32 v12, 0x7f800000, v67
	s_delay_alu instid0(VALU_DEP_1) | instskip(SKIP_1) | instid1(SALU_CYCLE_1)
	v_cmp_ne_u32_e32 vcc_lo, 0x7f800000, v12
                                        ; implicit-def: $vgpr12
	s_and_saveexec_b32 s41, vcc_lo
	s_xor_b32 s41, exec_lo, s41
; %bb.5636:                             ;   in Loop: Header=BB12_5518 Depth=3
	v_bfe_u32 v12, v67, 16, 1
	s_delay_alu instid0(VALU_DEP_1)
	v_add3_u32 v12, v67, v12, 0x7fff
                                        ; implicit-def: $vgpr67
; %bb.5637:                             ;   in Loop: Header=BB12_5518 Depth=3
	s_and_not1_saveexec_b32 s41, s41
; %bb.5638:                             ;   in Loop: Header=BB12_5518 Depth=3
	v_and_b32_e32 v12, 0xffff, v67
	v_or_b32_e32 v69, 0x10000, v67
	s_delay_alu instid0(VALU_DEP_2) | instskip(NEXT) | instid1(VALU_DEP_2)
	v_cmp_eq_u32_e32 vcc_lo, 0, v12
	v_cndmask_b32_e32 v12, v69, v67, vcc_lo
; %bb.5639:                             ;   in Loop: Header=BB12_5518 Depth=3
	s_or_b32 exec_lo, exec_lo, s41
	v_and_b32_e32 v7, 0xffff0000, v7
	v_lshlrev_b32_e32 v67, 16, v34
	s_delay_alu instid0(VALU_DEP_1) | instskip(NEXT) | instid1(VALU_DEP_1)
	v_add_f32_e32 v67, v67, v7
	v_and_b32_e32 v7, 0x7f800000, v67
	s_delay_alu instid0(VALU_DEP_1) | instskip(SKIP_1) | instid1(SALU_CYCLE_1)
	v_cmp_ne_u32_e32 vcc_lo, 0x7f800000, v7
                                        ; implicit-def: $vgpr7
	s_and_saveexec_b32 s41, vcc_lo
	s_xor_b32 s41, exec_lo, s41
; %bb.5640:                             ;   in Loop: Header=BB12_5518 Depth=3
	v_bfe_u32 v7, v67, 16, 1
	s_delay_alu instid0(VALU_DEP_1)
	v_add3_u32 v7, v67, v7, 0x7fff
                                        ; implicit-def: $vgpr67
; %bb.5641:                             ;   in Loop: Header=BB12_5518 Depth=3
	s_and_not1_saveexec_b32 s41, s41
; %bb.5642:                             ;   in Loop: Header=BB12_5518 Depth=3
	v_and_b32_e32 v7, 0xffff, v67
	v_or_b32_e32 v69, 0x10000, v67
	s_delay_alu instid0(VALU_DEP_2) | instskip(NEXT) | instid1(VALU_DEP_2)
	v_cmp_eq_u32_e32 vcc_lo, 0, v7
	v_cndmask_b32_e32 v7, v69, v67, vcc_lo
; %bb.5643:                             ;   in Loop: Header=BB12_5518 Depth=3
	s_or_b32 exec_lo, exec_lo, s41
	v_and_b32_e32 v6, 0xffff0000, v6
	v_lshlrev_b32_e32 v67, 16, v35
	s_delay_alu instid0(VALU_DEP_1) | instskip(NEXT) | instid1(VALU_DEP_1)
	v_add_f32_e32 v67, v67, v6
	v_and_b32_e32 v6, 0x7f800000, v67
	s_delay_alu instid0(VALU_DEP_1) | instskip(SKIP_1) | instid1(SALU_CYCLE_1)
	v_cmp_ne_u32_e32 vcc_lo, 0x7f800000, v6
                                        ; implicit-def: $vgpr6
	s_and_saveexec_b32 s41, vcc_lo
	s_xor_b32 s41, exec_lo, s41
; %bb.5644:                             ;   in Loop: Header=BB12_5518 Depth=3
	v_bfe_u32 v6, v67, 16, 1
	s_delay_alu instid0(VALU_DEP_1)
	v_add3_u32 v6, v67, v6, 0x7fff
                                        ; implicit-def: $vgpr67
; %bb.5645:                             ;   in Loop: Header=BB12_5518 Depth=3
	s_and_not1_saveexec_b32 s41, s41
; %bb.5646:                             ;   in Loop: Header=BB12_5518 Depth=3
	v_and_b32_e32 v6, 0xffff, v67
	v_or_b32_e32 v69, 0x10000, v67
	s_delay_alu instid0(VALU_DEP_2) | instskip(NEXT) | instid1(VALU_DEP_2)
	v_cmp_eq_u32_e32 vcc_lo, 0, v6
	v_cndmask_b32_e32 v6, v69, v67, vcc_lo
; %bb.5647:                             ;   in Loop: Header=BB12_5518 Depth=3
	s_or_b32 exec_lo, exec_lo, s41
	v_dual_lshrrev_b32 v83, 16, v29 :: v_dual_lshrrev_b32 v87, 16, v87
	v_dual_lshrrev_b32 v101, 16, v101 :: v_dual_lshrrev_b32 v29, 16, v0
	;; [unrolled: 1-line block ×8, first 2 shown]
	s_clause 0xf
	flat_store_b16 v[4:5], v29 th:TH_STORE_NT
	flat_store_b16 v[4:5], v119 offset:64 th:TH_STORE_NT
	flat_store_b16 v[4:5], v115 offset:128 th:TH_STORE_NT
	;; [unrolled: 1-line block ×15, first 2 shown]
	s_wait_xcnt 0x0
	v_add_nc_u64_e32 v[4:5], v[4:5], v[108:109]
.LBB12_5648:                            ;   in Loop: Header=BB12_5518 Depth=3
	s_or_b32 exec_lo, exec_lo, s76
	v_sub_nc_u32_e32 v36, v36, v60
	v_add_nc_u64_e32 v[8:9], v[8:9], v[108:109]
	v_add_nc_u64_e32 v[10:11], v[10:11], v[108:109]
	s_delay_alu instid0(VALU_DEP_3)
	v_cmp_lt_i32_e64 s41, 0, v36
	s_and_saveexec_b32 s76, s41
	s_cbranch_execz .LBB12_5650
; %bb.5649:                             ;   in Loop: Header=BB12_5518 Depth=3
	s_clause 0xf
	flat_load_u16 v29, v[8:9] th:TH_LOAD_NT
	flat_load_u16 v119, v[8:9] offset:64 th:TH_LOAD_NT
	flat_load_u16 v115, v[8:9] offset:128 th:TH_LOAD_NT
	;; [unrolled: 1-line block ×15, first 2 shown]
	s_clause 0xf
	flat_load_u16 v18, v[10:11] th:TH_LOAD_NT
	flat_load_u16 v19, v[10:11] offset:64 th:TH_LOAD_NT
	flat_load_u16 v20, v[10:11] offset:128 th:TH_LOAD_NT
	;; [unrolled: 1-line block ×15, first 2 shown]
	s_wait_xcnt 0x10
	v_add_nc_u64_e32 v[8:9], 0x400, v[8:9]
	s_wait_xcnt 0x0
	v_add_nc_u64_e32 v[10:11], 0x400, v[10:11]
.LBB12_5650:                            ;   in Loop: Header=BB12_5518 Depth=3
	s_or_b32 exec_lo, exec_lo, s76
	s_trap 2
	ds_load_b32 v0, v0
	s_mov_b32 s76, exec_lo
                                        ; implicit-def: $vgpr47
	s_wait_loadcnt_dscnt 0x1f00
	v_dual_lshlrev_b32 v12, 16, v75 :: v_dual_lshlrev_b32 v13, 16, v0
	s_delay_alu instid0(VALU_DEP_1) | instskip(SKIP_1) | instid1(VALU_DEP_1)
	v_mov_b32_e32 v0, v13
	s_wait_loadcnt 0x1e
	v_pk_mul_f32 v[14:15], v[0:1], v[12:13]
	s_delay_alu instid0(VALU_DEP_1) | instskip(NEXT) | instid1(VALU_DEP_1)
	v_and_b32_e32 v0, 0x7f800000, v14
	v_cmpx_ne_u32_e32 0x7f800000, v0
	s_xor_b32 s76, exec_lo, s76
; %bb.5651:                             ;   in Loop: Header=BB12_5518 Depth=3
	v_bfe_u32 v0, v14, 16, 1
	s_delay_alu instid0(VALU_DEP_1)
	v_add3_u32 v47, v14, v0, 0x7fff
                                        ; implicit-def: $vgpr14_vgpr15
; %bb.5652:                             ;   in Loop: Header=BB12_5518 Depth=3
	s_and_not1_saveexec_b32 s76, s76
; %bb.5653:                             ;   in Loop: Header=BB12_5518 Depth=3
	v_and_b32_e32 v0, 0xffff, v14
	v_or_b32_e32 v6, 0x10000, v14
	s_delay_alu instid0(VALU_DEP_2) | instskip(NEXT) | instid1(VALU_DEP_2)
	v_cmp_eq_u32_e32 vcc_lo, 0, v0
	v_cndmask_b32_e32 v47, v6, v14, vcc_lo
; %bb.5654:                             ;   in Loop: Header=BB12_5518 Depth=3
	s_or_b32 exec_lo, exec_lo, s76
	v_lshlrev_b32_e32 v0, 16, v1
	s_mov_b32 s76, exec_lo
                                        ; implicit-def: $vgpr46
	s_delay_alu instid0(VALU_DEP_1) | instskip(NEXT) | instid1(VALU_DEP_1)
	v_mul_f32_e32 v0, v13, v0
	v_and_b32_e32 v1, 0x7f800000, v0
	s_delay_alu instid0(VALU_DEP_1)
	v_cmpx_ne_u32_e32 0x7f800000, v1
	s_xor_b32 s76, exec_lo, s76
; %bb.5655:                             ;   in Loop: Header=BB12_5518 Depth=3
	v_bfe_u32 v1, v0, 16, 1
	s_delay_alu instid0(VALU_DEP_1)
	v_add3_u32 v46, v0, v1, 0x7fff
                                        ; implicit-def: $vgpr0
; %bb.5656:                             ;   in Loop: Header=BB12_5518 Depth=3
	s_and_not1_saveexec_b32 s76, s76
; %bb.5657:                             ;   in Loop: Header=BB12_5518 Depth=3
	v_and_b32_e32 v1, 0xffff, v0
	v_or_b32_e32 v6, 0x10000, v0
	s_delay_alu instid0(VALU_DEP_2) | instskip(NEXT) | instid1(VALU_DEP_2)
	v_cmp_eq_u32_e32 vcc_lo, 0, v1
	v_cndmask_b32_e32 v46, v6, v0, vcc_lo
; %bb.5658:                             ;   in Loop: Header=BB12_5518 Depth=3
	s_or_b32 exec_lo, exec_lo, s76
	s_wait_loadcnt 0x1d
	v_lshlrev_b32_e32 v0, 16, v43
	s_mov_b32 s76, exec_lo
                                        ; implicit-def: $vgpr45
	s_delay_alu instid0(VALU_DEP_1) | instskip(NEXT) | instid1(VALU_DEP_1)
	v_mul_f32_e32 v0, v13, v0
	v_and_b32_e32 v1, 0x7f800000, v0
	s_delay_alu instid0(VALU_DEP_1)
	v_cmpx_ne_u32_e32 0x7f800000, v1
	s_xor_b32 s76, exec_lo, s76
; %bb.5659:                             ;   in Loop: Header=BB12_5518 Depth=3
	v_bfe_u32 v1, v0, 16, 1
	s_delay_alu instid0(VALU_DEP_1)
	v_add3_u32 v45, v0, v1, 0x7fff
                                        ; implicit-def: $vgpr0
; %bb.5660:                             ;   in Loop: Header=BB12_5518 Depth=3
	s_and_not1_saveexec_b32 s76, s76
; %bb.5661:                             ;   in Loop: Header=BB12_5518 Depth=3
	v_and_b32_e32 v1, 0xffff, v0
	v_or_b32_e32 v6, 0x10000, v0
	s_delay_alu instid0(VALU_DEP_2) | instskip(NEXT) | instid1(VALU_DEP_2)
	v_cmp_eq_u32_e32 vcc_lo, 0, v1
	v_cndmask_b32_e32 v45, v6, v0, vcc_lo
; %bb.5662:                             ;   in Loop: Header=BB12_5518 Depth=3
	s_or_b32 exec_lo, exec_lo, s76
	s_wait_loadcnt 0x1c
	v_lshlrev_b32_e32 v0, 16, v42
	s_mov_b32 s76, exec_lo
                                        ; implicit-def: $vgpr44
	s_delay_alu instid0(VALU_DEP_1) | instskip(NEXT) | instid1(VALU_DEP_1)
	v_mul_f32_e32 v0, v13, v0
	v_and_b32_e32 v1, 0x7f800000, v0
	s_delay_alu instid0(VALU_DEP_1)
	v_cmpx_ne_u32_e32 0x7f800000, v1
	s_xor_b32 s76, exec_lo, s76
; %bb.5663:                             ;   in Loop: Header=BB12_5518 Depth=3
	v_bfe_u32 v1, v0, 16, 1
	s_delay_alu instid0(VALU_DEP_1)
	v_add3_u32 v44, v0, v1, 0x7fff
                                        ; implicit-def: $vgpr0
; %bb.5664:                             ;   in Loop: Header=BB12_5518 Depth=3
	s_and_not1_saveexec_b32 s76, s76
; %bb.5665:                             ;   in Loop: Header=BB12_5518 Depth=3
	v_and_b32_e32 v1, 0xffff, v0
	v_or_b32_e32 v6, 0x10000, v0
	s_delay_alu instid0(VALU_DEP_2) | instskip(NEXT) | instid1(VALU_DEP_2)
	v_cmp_eq_u32_e32 vcc_lo, 0, v1
	v_cndmask_b32_e32 v44, v6, v0, vcc_lo
; %bb.5666:                             ;   in Loop: Header=BB12_5518 Depth=3
	s_or_b32 exec_lo, exec_lo, s76
	s_wait_loadcnt 0x1b
	v_lshlrev_b32_e32 v0, 16, v63
	s_mov_b32 s76, exec_lo
                                        ; implicit-def: $vgpr43
	s_delay_alu instid0(VALU_DEP_1) | instskip(NEXT) | instid1(VALU_DEP_1)
	v_mul_f32_e32 v0, v13, v0
	v_and_b32_e32 v1, 0x7f800000, v0
	s_delay_alu instid0(VALU_DEP_1)
	v_cmpx_ne_u32_e32 0x7f800000, v1
	s_xor_b32 s76, exec_lo, s76
; %bb.5667:                             ;   in Loop: Header=BB12_5518 Depth=3
	v_bfe_u32 v1, v0, 16, 1
	s_delay_alu instid0(VALU_DEP_1)
	v_add3_u32 v43, v0, v1, 0x7fff
                                        ; implicit-def: $vgpr0
; %bb.5668:                             ;   in Loop: Header=BB12_5518 Depth=3
	s_and_not1_saveexec_b32 s76, s76
; %bb.5669:                             ;   in Loop: Header=BB12_5518 Depth=3
	v_and_b32_e32 v1, 0xffff, v0
	v_or_b32_e32 v6, 0x10000, v0
	s_delay_alu instid0(VALU_DEP_2) | instskip(NEXT) | instid1(VALU_DEP_2)
	v_cmp_eq_u32_e32 vcc_lo, 0, v1
	v_cndmask_b32_e32 v43, v6, v0, vcc_lo
; %bb.5670:                             ;   in Loop: Header=BB12_5518 Depth=3
	s_or_b32 exec_lo, exec_lo, s76
	s_wait_loadcnt 0x1a
	v_lshlrev_b32_e32 v0, 16, v62
	s_mov_b32 s76, exec_lo
                                        ; implicit-def: $vgpr42
	s_delay_alu instid0(VALU_DEP_1) | instskip(NEXT) | instid1(VALU_DEP_1)
	v_mul_f32_e32 v0, v13, v0
	v_and_b32_e32 v1, 0x7f800000, v0
	s_delay_alu instid0(VALU_DEP_1)
	v_cmpx_ne_u32_e32 0x7f800000, v1
	s_xor_b32 s76, exec_lo, s76
; %bb.5671:                             ;   in Loop: Header=BB12_5518 Depth=3
	v_bfe_u32 v1, v0, 16, 1
	s_delay_alu instid0(VALU_DEP_1)
	v_add3_u32 v42, v0, v1, 0x7fff
                                        ; implicit-def: $vgpr0
; %bb.5672:                             ;   in Loop: Header=BB12_5518 Depth=3
	s_and_not1_saveexec_b32 s76, s76
; %bb.5673:                             ;   in Loop: Header=BB12_5518 Depth=3
	v_and_b32_e32 v1, 0xffff, v0
	v_or_b32_e32 v6, 0x10000, v0
	s_delay_alu instid0(VALU_DEP_2) | instskip(NEXT) | instid1(VALU_DEP_2)
	v_cmp_eq_u32_e32 vcc_lo, 0, v1
	v_cndmask_b32_e32 v42, v6, v0, vcc_lo
; %bb.5674:                             ;   in Loop: Header=BB12_5518 Depth=3
	s_or_b32 exec_lo, exec_lo, s76
	s_wait_loadcnt 0x19
	v_lshlrev_b32_e32 v0, 16, v118
	s_mov_b32 s76, exec_lo
                                        ; implicit-def: $vgpr118
	s_delay_alu instid0(VALU_DEP_1) | instskip(NEXT) | instid1(VALU_DEP_1)
	v_mul_f32_e32 v0, v13, v0
	v_and_b32_e32 v1, 0x7f800000, v0
	s_delay_alu instid0(VALU_DEP_1)
	v_cmpx_ne_u32_e32 0x7f800000, v1
	s_xor_b32 s76, exec_lo, s76
; %bb.5675:                             ;   in Loop: Header=BB12_5518 Depth=3
	v_bfe_u32 v1, v0, 16, 1
	s_delay_alu instid0(VALU_DEP_1)
	v_add3_u32 v118, v0, v1, 0x7fff
                                        ; implicit-def: $vgpr0
; %bb.5676:                             ;   in Loop: Header=BB12_5518 Depth=3
	s_and_not1_saveexec_b32 s76, s76
; %bb.5677:                             ;   in Loop: Header=BB12_5518 Depth=3
	v_and_b32_e32 v1, 0xffff, v0
	v_or_b32_e32 v6, 0x10000, v0
	s_delay_alu instid0(VALU_DEP_2) | instskip(NEXT) | instid1(VALU_DEP_2)
	v_cmp_eq_u32_e32 vcc_lo, 0, v1
	v_cndmask_b32_e32 v118, v6, v0, vcc_lo
; %bb.5678:                             ;   in Loop: Header=BB12_5518 Depth=3
	s_or_b32 exec_lo, exec_lo, s76
	s_wait_loadcnt 0x18
	v_lshlrev_b32_e32 v0, 16, v114
	s_mov_b32 s76, exec_lo
                                        ; implicit-def: $vgpr114
	s_delay_alu instid0(VALU_DEP_1) | instskip(NEXT) | instid1(VALU_DEP_1)
	v_mul_f32_e32 v0, v13, v0
	v_and_b32_e32 v1, 0x7f800000, v0
	s_delay_alu instid0(VALU_DEP_1)
	v_cmpx_ne_u32_e32 0x7f800000, v1
	s_xor_b32 s76, exec_lo, s76
; %bb.5679:                             ;   in Loop: Header=BB12_5518 Depth=3
	v_bfe_u32 v1, v0, 16, 1
	s_delay_alu instid0(VALU_DEP_1)
	v_add3_u32 v114, v0, v1, 0x7fff
                                        ; implicit-def: $vgpr0
; %bb.5680:                             ;   in Loop: Header=BB12_5518 Depth=3
	s_and_not1_saveexec_b32 s76, s76
; %bb.5681:                             ;   in Loop: Header=BB12_5518 Depth=3
	v_and_b32_e32 v1, 0xffff, v0
	v_or_b32_e32 v6, 0x10000, v0
	s_delay_alu instid0(VALU_DEP_2) | instskip(NEXT) | instid1(VALU_DEP_2)
	v_cmp_eq_u32_e32 vcc_lo, 0, v1
	v_cndmask_b32_e32 v114, v6, v0, vcc_lo
; %bb.5682:                             ;   in Loop: Header=BB12_5518 Depth=3
	s_or_b32 exec_lo, exec_lo, s76
	s_wait_loadcnt 0x17
	v_lshlrev_b32_e32 v0, 16, v112
	s_mov_b32 s76, exec_lo
                                        ; implicit-def: $vgpr112
	s_delay_alu instid0(VALU_DEP_1) | instskip(NEXT) | instid1(VALU_DEP_1)
	v_mul_f32_e32 v0, v13, v0
	v_and_b32_e32 v1, 0x7f800000, v0
	s_delay_alu instid0(VALU_DEP_1)
	v_cmpx_ne_u32_e32 0x7f800000, v1
	s_xor_b32 s76, exec_lo, s76
; %bb.5683:                             ;   in Loop: Header=BB12_5518 Depth=3
	v_bfe_u32 v1, v0, 16, 1
	s_delay_alu instid0(VALU_DEP_1)
	v_add3_u32 v112, v0, v1, 0x7fff
                                        ; implicit-def: $vgpr0
; %bb.5684:                             ;   in Loop: Header=BB12_5518 Depth=3
	s_and_not1_saveexec_b32 s76, s76
; %bb.5685:                             ;   in Loop: Header=BB12_5518 Depth=3
	v_and_b32_e32 v1, 0xffff, v0
	v_or_b32_e32 v6, 0x10000, v0
	s_delay_alu instid0(VALU_DEP_2) | instskip(NEXT) | instid1(VALU_DEP_2)
	v_cmp_eq_u32_e32 vcc_lo, 0, v1
	v_cndmask_b32_e32 v112, v6, v0, vcc_lo
; %bb.5686:                             ;   in Loop: Header=BB12_5518 Depth=3
	s_or_b32 exec_lo, exec_lo, s76
	s_wait_loadcnt 0x16
	v_lshlrev_b32_e32 v0, 16, v102
	s_mov_b32 s76, exec_lo
                                        ; implicit-def: $vgpr102
	s_delay_alu instid0(VALU_DEP_1) | instskip(NEXT) | instid1(VALU_DEP_1)
	v_mul_f32_e32 v0, v13, v0
	v_and_b32_e32 v1, 0x7f800000, v0
	s_delay_alu instid0(VALU_DEP_1)
	v_cmpx_ne_u32_e32 0x7f800000, v1
	s_xor_b32 s76, exec_lo, s76
; %bb.5687:                             ;   in Loop: Header=BB12_5518 Depth=3
	v_bfe_u32 v1, v0, 16, 1
	s_delay_alu instid0(VALU_DEP_1)
	v_add3_u32 v102, v0, v1, 0x7fff
                                        ; implicit-def: $vgpr0
; %bb.5688:                             ;   in Loop: Header=BB12_5518 Depth=3
	s_and_not1_saveexec_b32 s76, s76
; %bb.5689:                             ;   in Loop: Header=BB12_5518 Depth=3
	v_and_b32_e32 v1, 0xffff, v0
	v_or_b32_e32 v6, 0x10000, v0
	s_delay_alu instid0(VALU_DEP_2) | instskip(NEXT) | instid1(VALU_DEP_2)
	v_cmp_eq_u32_e32 vcc_lo, 0, v1
	v_cndmask_b32_e32 v102, v6, v0, vcc_lo
; %bb.5690:                             ;   in Loop: Header=BB12_5518 Depth=3
	s_or_b32 exec_lo, exec_lo, s76
	s_wait_loadcnt 0x15
	v_lshlrev_b32_e32 v0, 16, v100
	s_mov_b32 s76, exec_lo
                                        ; implicit-def: $vgpr15
	s_delay_alu instid0(VALU_DEP_1) | instskip(NEXT) | instid1(VALU_DEP_1)
	v_mul_f32_e32 v0, v13, v0
	v_and_b32_e32 v1, 0x7f800000, v0
	s_delay_alu instid0(VALU_DEP_1)
	v_cmpx_ne_u32_e32 0x7f800000, v1
	s_xor_b32 s76, exec_lo, s76
; %bb.5691:                             ;   in Loop: Header=BB12_5518 Depth=3
	v_bfe_u32 v1, v0, 16, 1
	s_delay_alu instid0(VALU_DEP_1)
	v_add3_u32 v15, v0, v1, 0x7fff
                                        ; implicit-def: $vgpr0
; %bb.5692:                             ;   in Loop: Header=BB12_5518 Depth=3
	s_and_not1_saveexec_b32 s76, s76
; %bb.5693:                             ;   in Loop: Header=BB12_5518 Depth=3
	v_and_b32_e32 v1, 0xffff, v0
	v_or_b32_e32 v6, 0x10000, v0
	s_delay_alu instid0(VALU_DEP_2) | instskip(NEXT) | instid1(VALU_DEP_2)
	v_cmp_eq_u32_e32 vcc_lo, 0, v1
	v_cndmask_b32_e32 v15, v6, v0, vcc_lo
; %bb.5694:                             ;   in Loop: Header=BB12_5518 Depth=3
	s_or_b32 exec_lo, exec_lo, s76
	s_wait_loadcnt 0x14
	v_lshlrev_b32_e32 v0, 16, v98
	s_mov_b32 s76, exec_lo
                                        ; implicit-def: $vgpr14
	s_delay_alu instid0(VALU_DEP_1) | instskip(NEXT) | instid1(VALU_DEP_1)
	v_mul_f32_e32 v0, v13, v0
	v_and_b32_e32 v1, 0x7f800000, v0
	s_delay_alu instid0(VALU_DEP_1)
	v_cmpx_ne_u32_e32 0x7f800000, v1
	s_xor_b32 s76, exec_lo, s76
; %bb.5695:                             ;   in Loop: Header=BB12_5518 Depth=3
	v_bfe_u32 v1, v0, 16, 1
	s_delay_alu instid0(VALU_DEP_1)
	v_add3_u32 v14, v0, v1, 0x7fff
                                        ; implicit-def: $vgpr0
; %bb.5696:                             ;   in Loop: Header=BB12_5518 Depth=3
	s_and_not1_saveexec_b32 s76, s76
; %bb.5697:                             ;   in Loop: Header=BB12_5518 Depth=3
	v_and_b32_e32 v1, 0xffff, v0
	v_or_b32_e32 v6, 0x10000, v0
	s_delay_alu instid0(VALU_DEP_2) | instskip(NEXT) | instid1(VALU_DEP_2)
	v_cmp_eq_u32_e32 vcc_lo, 0, v1
	v_cndmask_b32_e32 v14, v6, v0, vcc_lo
; %bb.5698:                             ;   in Loop: Header=BB12_5518 Depth=3
	s_or_b32 exec_lo, exec_lo, s76
	s_wait_loadcnt 0x13
	v_lshlrev_b32_e32 v0, 16, v96
	s_mov_b32 s76, exec_lo
                                        ; implicit-def: $vgpr12
	s_delay_alu instid0(VALU_DEP_1) | instskip(NEXT) | instid1(VALU_DEP_1)
	v_mul_f32_e32 v0, v13, v0
	v_and_b32_e32 v1, 0x7f800000, v0
	s_delay_alu instid0(VALU_DEP_1)
	v_cmpx_ne_u32_e32 0x7f800000, v1
	s_xor_b32 s76, exec_lo, s76
; %bb.5699:                             ;   in Loop: Header=BB12_5518 Depth=3
	v_bfe_u32 v1, v0, 16, 1
	s_delay_alu instid0(VALU_DEP_1)
	v_add3_u32 v12, v0, v1, 0x7fff
                                        ; implicit-def: $vgpr0
; %bb.5700:                             ;   in Loop: Header=BB12_5518 Depth=3
	s_and_not1_saveexec_b32 s76, s76
; %bb.5701:                             ;   in Loop: Header=BB12_5518 Depth=3
	v_and_b32_e32 v1, 0xffff, v0
	v_or_b32_e32 v6, 0x10000, v0
	s_delay_alu instid0(VALU_DEP_2) | instskip(NEXT) | instid1(VALU_DEP_2)
	v_cmp_eq_u32_e32 vcc_lo, 0, v1
	v_cndmask_b32_e32 v12, v6, v0, vcc_lo
; %bb.5702:                             ;   in Loop: Header=BB12_5518 Depth=3
	s_or_b32 exec_lo, exec_lo, s76
	s_wait_loadcnt 0x12
	v_lshlrev_b32_e32 v0, 16, v86
	s_mov_b32 s76, exec_lo
                                        ; implicit-def: $vgpr7
	s_delay_alu instid0(VALU_DEP_1) | instskip(NEXT) | instid1(VALU_DEP_1)
	v_mul_f32_e32 v0, v13, v0
	v_and_b32_e32 v1, 0x7f800000, v0
	s_delay_alu instid0(VALU_DEP_1)
	v_cmpx_ne_u32_e32 0x7f800000, v1
	s_xor_b32 s76, exec_lo, s76
; %bb.5703:                             ;   in Loop: Header=BB12_5518 Depth=3
	v_bfe_u32 v1, v0, 16, 1
	s_delay_alu instid0(VALU_DEP_1)
	v_add3_u32 v7, v0, v1, 0x7fff
                                        ; implicit-def: $vgpr0
; %bb.5704:                             ;   in Loop: Header=BB12_5518 Depth=3
	s_and_not1_saveexec_b32 s76, s76
; %bb.5705:                             ;   in Loop: Header=BB12_5518 Depth=3
	v_and_b32_e32 v1, 0xffff, v0
	v_or_b32_e32 v6, 0x10000, v0
	s_delay_alu instid0(VALU_DEP_2) | instskip(NEXT) | instid1(VALU_DEP_2)
	v_cmp_eq_u32_e32 vcc_lo, 0, v1
	v_cndmask_b32_e32 v7, v6, v0, vcc_lo
; %bb.5706:                             ;   in Loop: Header=BB12_5518 Depth=3
	s_or_b32 exec_lo, exec_lo, s76
	s_wait_loadcnt 0x11
	v_lshlrev_b32_e32 v0, 16, v84
	s_mov_b32 s76, exec_lo
                                        ; implicit-def: $vgpr6
	s_delay_alu instid0(VALU_DEP_1) | instskip(NEXT) | instid1(VALU_DEP_1)
	v_mul_f32_e32 v0, v13, v0
	v_and_b32_e32 v1, 0x7f800000, v0
	s_delay_alu instid0(VALU_DEP_1)
	v_cmpx_ne_u32_e32 0x7f800000, v1
	s_xor_b32 s76, exec_lo, s76
; %bb.5707:                             ;   in Loop: Header=BB12_5518 Depth=3
	v_bfe_u32 v1, v0, 16, 1
	s_delay_alu instid0(VALU_DEP_1)
	v_add3_u32 v6, v0, v1, 0x7fff
                                        ; implicit-def: $vgpr0
; %bb.5708:                             ;   in Loop: Header=BB12_5518 Depth=3
	s_and_not1_saveexec_b32 s76, s76
; %bb.5709:                             ;   in Loop: Header=BB12_5518 Depth=3
	v_and_b32_e32 v1, 0xffff, v0
	v_or_b32_e32 v6, 0x10000, v0
	s_delay_alu instid0(VALU_DEP_2) | instskip(NEXT) | instid1(VALU_DEP_2)
	v_cmp_eq_u32_e32 vcc_lo, 0, v1
	v_cndmask_b32_e32 v6, v6, v0, vcc_lo
; %bb.5710:                             ;   in Loop: Header=BB12_5518 Depth=3
	s_or_b32 exec_lo, exec_lo, s76
	s_wait_loadcnt 0x10
	v_lshlrev_b32_e32 v0, 16, v82
	s_delay_alu instid0(VALU_DEP_1) | instskip(NEXT) | instid1(VALU_DEP_1)
	v_mul_f32_e32 v1, v13, v0
	v_and_b32_e32 v0, 0x7f800000, v1
	s_delay_alu instid0(VALU_DEP_1) | instskip(SKIP_1) | instid1(SALU_CYCLE_1)
	v_cmp_ne_u32_e32 vcc_lo, 0x7f800000, v0
                                        ; implicit-def: $vgpr0
	s_and_saveexec_b32 s76, vcc_lo
	s_xor_b32 s76, exec_lo, s76
; %bb.5711:                             ;   in Loop: Header=BB12_5518 Depth=3
	v_bfe_u32 v0, v1, 16, 1
	s_delay_alu instid0(VALU_DEP_1)
	v_add3_u32 v0, v1, v0, 0x7fff
                                        ; implicit-def: $vgpr1
; %bb.5712:                             ;   in Loop: Header=BB12_5518 Depth=3
	s_and_not1_saveexec_b32 s76, s76
; %bb.5713:                             ;   in Loop: Header=BB12_5518 Depth=3
	v_and_b32_e32 v0, 0xffff, v1
	v_or_b32_e32 v13, 0x10000, v1
	s_delay_alu instid0(VALU_DEP_2) | instskip(NEXT) | instid1(VALU_DEP_2)
	v_cmp_eq_u32_e32 vcc_lo, 0, v0
	v_cndmask_b32_e32 v0, v13, v1, vcc_lo
; %bb.5714:                             ;   in Loop: Header=BB12_5518 Depth=3
	s_or_b32 exec_lo, exec_lo, s76
	v_and_b32_e32 v1, 0xffff0000, v47
	s_wait_loadcnt 0xf
	v_lshlrev_b32_e32 v13, 16, v80
	s_delay_alu instid0(VALU_DEP_1) | instskip(NEXT) | instid1(VALU_DEP_1)
	v_add_f32_e32 v13, v13, v1
	v_and_b32_e32 v1, 0x7f800000, v13
	s_delay_alu instid0(VALU_DEP_1) | instskip(SKIP_1) | instid1(SALU_CYCLE_1)
	v_cmp_ne_u32_e32 vcc_lo, 0x7f800000, v1
                                        ; implicit-def: $vgpr1
	s_and_saveexec_b32 s76, vcc_lo
	s_xor_b32 s76, exec_lo, s76
; %bb.5715:                             ;   in Loop: Header=BB12_5518 Depth=3
	v_bfe_u32 v1, v13, 16, 1
	s_delay_alu instid0(VALU_DEP_1)
	v_add3_u32 v1, v13, v1, 0x7fff
                                        ; implicit-def: $vgpr13
; %bb.5716:                             ;   in Loop: Header=BB12_5518 Depth=3
	s_and_not1_saveexec_b32 s76, s76
; %bb.5717:                             ;   in Loop: Header=BB12_5518 Depth=3
	v_and_b32_e32 v1, 0xffff, v13
	v_or_b32_e32 v80, 0x10000, v13
	s_delay_alu instid0(VALU_DEP_2) | instskip(NEXT) | instid1(VALU_DEP_2)
	v_cmp_eq_u32_e32 vcc_lo, 0, v1
	v_cndmask_b32_e32 v1, v80, v13, vcc_lo
; %bb.5718:                             ;   in Loop: Header=BB12_5518 Depth=3
	s_or_b32 exec_lo, exec_lo, s76
	v_and_b32_e32 v13, 0xffff0000, v46
	s_wait_loadcnt 0xe
	v_lshlrev_b32_e32 v70, 16, v70
	s_delay_alu instid0(VALU_DEP_1) | instskip(NEXT) | instid1(VALU_DEP_1)
	v_add_f32_e32 v70, v70, v13
	v_and_b32_e32 v13, 0x7f800000, v70
	s_delay_alu instid0(VALU_DEP_1) | instskip(SKIP_1) | instid1(SALU_CYCLE_1)
	v_cmp_ne_u32_e32 vcc_lo, 0x7f800000, v13
                                        ; implicit-def: $vgpr13
	s_and_saveexec_b32 s76, vcc_lo
	s_xor_b32 s76, exec_lo, s76
; %bb.5719:                             ;   in Loop: Header=BB12_5518 Depth=3
	v_bfe_u32 v13, v70, 16, 1
	s_delay_alu instid0(VALU_DEP_1)
	v_add3_u32 v13, v70, v13, 0x7fff
                                        ; implicit-def: $vgpr70
; %bb.5720:                             ;   in Loop: Header=BB12_5518 Depth=3
	s_and_not1_saveexec_b32 s76, s76
; %bb.5721:                             ;   in Loop: Header=BB12_5518 Depth=3
	v_and_b32_e32 v13, 0xffff, v70
	v_or_b32_e32 v80, 0x10000, v70
	s_delay_alu instid0(VALU_DEP_2) | instskip(NEXT) | instid1(VALU_DEP_2)
	v_cmp_eq_u32_e32 vcc_lo, 0, v13
	v_cndmask_b32_e32 v13, v80, v70, vcc_lo
; %bb.5722:                             ;   in Loop: Header=BB12_5518 Depth=3
	s_or_b32 exec_lo, exec_lo, s76
	v_and_b32_e32 v70, 0xffff0000, v45
	s_wait_loadcnt 0xd
	v_lshlrev_b32_e32 v68, 16, v68
	s_delay_alu instid0(VALU_DEP_1) | instskip(NEXT) | instid1(VALU_DEP_1)
	v_add_f32_e32 v70, v68, v70
	v_and_b32_e32 v68, 0x7f800000, v70
	s_delay_alu instid0(VALU_DEP_1) | instskip(SKIP_1) | instid1(SALU_CYCLE_1)
	v_cmp_ne_u32_e32 vcc_lo, 0x7f800000, v68
                                        ; implicit-def: $vgpr68
	s_and_saveexec_b32 s76, vcc_lo
	s_xor_b32 s76, exec_lo, s76
; %bb.5723:                             ;   in Loop: Header=BB12_5518 Depth=3
	v_bfe_u32 v68, v70, 16, 1
	s_delay_alu instid0(VALU_DEP_1)
	v_add3_u32 v68, v70, v68, 0x7fff
                                        ; implicit-def: $vgpr70
; %bb.5724:                             ;   in Loop: Header=BB12_5518 Depth=3
	s_and_not1_saveexec_b32 s76, s76
; %bb.5725:                             ;   in Loop: Header=BB12_5518 Depth=3
	v_and_b32_e32 v68, 0xffff, v70
	v_or_b32_e32 v80, 0x10000, v70
	s_delay_alu instid0(VALU_DEP_2) | instskip(NEXT) | instid1(VALU_DEP_2)
	v_cmp_eq_u32_e32 vcc_lo, 0, v68
	v_cndmask_b32_e32 v68, v80, v70, vcc_lo
; %bb.5726:                             ;   in Loop: Header=BB12_5518 Depth=3
	s_or_b32 exec_lo, exec_lo, s76
	v_and_b32_e32 v70, 0xffff0000, v44
	s_wait_loadcnt 0xc
	v_lshlrev_b32_e32 v65, 16, v65
	s_delay_alu instid0(VALU_DEP_1) | instskip(NEXT) | instid1(VALU_DEP_1)
	v_add_f32_e32 v70, v65, v70
	v_and_b32_e32 v65, 0x7f800000, v70
	s_delay_alu instid0(VALU_DEP_1) | instskip(SKIP_1) | instid1(SALU_CYCLE_1)
	v_cmp_ne_u32_e32 vcc_lo, 0x7f800000, v65
                                        ; implicit-def: $vgpr65
	s_and_saveexec_b32 s76, vcc_lo
	s_xor_b32 s76, exec_lo, s76
; %bb.5727:                             ;   in Loop: Header=BB12_5518 Depth=3
	v_bfe_u32 v65, v70, 16, 1
	s_delay_alu instid0(VALU_DEP_1)
	v_add3_u32 v65, v70, v65, 0x7fff
                                        ; implicit-def: $vgpr70
; %bb.5728:                             ;   in Loop: Header=BB12_5518 Depth=3
	s_and_not1_saveexec_b32 s76, s76
; %bb.5729:                             ;   in Loop: Header=BB12_5518 Depth=3
	v_and_b32_e32 v65, 0xffff, v70
	v_or_b32_e32 v80, 0x10000, v70
	s_delay_alu instid0(VALU_DEP_2) | instskip(NEXT) | instid1(VALU_DEP_2)
	v_cmp_eq_u32_e32 vcc_lo, 0, v65
	v_cndmask_b32_e32 v65, v80, v70, vcc_lo
; %bb.5730:                             ;   in Loop: Header=BB12_5518 Depth=3
	s_or_b32 exec_lo, exec_lo, s76
	v_and_b32_e32 v70, 0xffff0000, v43
	s_wait_loadcnt 0xb
	v_lshlrev_b32_e32 v64, 16, v64
	s_delay_alu instid0(VALU_DEP_1) | instskip(NEXT) | instid1(VALU_DEP_1)
	v_add_f32_e32 v70, v64, v70
	v_and_b32_e32 v64, 0x7f800000, v70
	s_delay_alu instid0(VALU_DEP_1) | instskip(SKIP_1) | instid1(SALU_CYCLE_1)
	v_cmp_ne_u32_e32 vcc_lo, 0x7f800000, v64
                                        ; implicit-def: $vgpr64
	s_and_saveexec_b32 s76, vcc_lo
	s_xor_b32 s76, exec_lo, s76
; %bb.5731:                             ;   in Loop: Header=BB12_5518 Depth=3
	v_bfe_u32 v64, v70, 16, 1
	s_delay_alu instid0(VALU_DEP_1)
	v_add3_u32 v64, v70, v64, 0x7fff
                                        ; implicit-def: $vgpr70
; %bb.5732:                             ;   in Loop: Header=BB12_5518 Depth=3
	s_and_not1_saveexec_b32 s76, s76
; %bb.5733:                             ;   in Loop: Header=BB12_5518 Depth=3
	v_and_b32_e32 v64, 0xffff, v70
	v_or_b32_e32 v80, 0x10000, v70
	s_delay_alu instid0(VALU_DEP_2) | instskip(NEXT) | instid1(VALU_DEP_2)
	v_cmp_eq_u32_e32 vcc_lo, 0, v64
	v_cndmask_b32_e32 v64, v80, v70, vcc_lo
; %bb.5734:                             ;   in Loop: Header=BB12_5518 Depth=3
	s_or_b32 exec_lo, exec_lo, s76
	v_and_b32_e32 v70, 0xffff0000, v42
	s_wait_loadcnt 0xa
	v_lshlrev_b32_e32 v55, 16, v55
	s_delay_alu instid0(VALU_DEP_1) | instskip(NEXT) | instid1(VALU_DEP_1)
	v_add_f32_e32 v70, v55, v70
	v_and_b32_e32 v55, 0x7f800000, v70
	s_delay_alu instid0(VALU_DEP_1) | instskip(SKIP_1) | instid1(SALU_CYCLE_1)
	v_cmp_ne_u32_e32 vcc_lo, 0x7f800000, v55
                                        ; implicit-def: $vgpr55
	s_and_saveexec_b32 s76, vcc_lo
	s_xor_b32 s76, exec_lo, s76
; %bb.5735:                             ;   in Loop: Header=BB12_5518 Depth=3
	v_bfe_u32 v55, v70, 16, 1
	s_delay_alu instid0(VALU_DEP_1)
	v_add3_u32 v55, v70, v55, 0x7fff
                                        ; implicit-def: $vgpr70
; %bb.5736:                             ;   in Loop: Header=BB12_5518 Depth=3
	s_and_not1_saveexec_b32 s76, s76
; %bb.5737:                             ;   in Loop: Header=BB12_5518 Depth=3
	v_and_b32_e32 v55, 0xffff, v70
	v_or_b32_e32 v80, 0x10000, v70
	s_delay_alu instid0(VALU_DEP_2) | instskip(NEXT) | instid1(VALU_DEP_2)
	v_cmp_eq_u32_e32 vcc_lo, 0, v55
	v_cndmask_b32_e32 v55, v80, v70, vcc_lo
; %bb.5738:                             ;   in Loop: Header=BB12_5518 Depth=3
	s_or_b32 exec_lo, exec_lo, s76
	v_and_b32_e32 v70, 0xffff0000, v118
	s_wait_loadcnt 0x9
	v_lshlrev_b32_e32 v54, 16, v54
	s_delay_alu instid0(VALU_DEP_1) | instskip(NEXT) | instid1(VALU_DEP_1)
	v_add_f32_e32 v70, v54, v70
	v_and_b32_e32 v54, 0x7f800000, v70
	s_delay_alu instid0(VALU_DEP_1) | instskip(SKIP_1) | instid1(SALU_CYCLE_1)
	v_cmp_ne_u32_e32 vcc_lo, 0x7f800000, v54
                                        ; implicit-def: $vgpr54
	s_and_saveexec_b32 s76, vcc_lo
	s_xor_b32 s76, exec_lo, s76
; %bb.5739:                             ;   in Loop: Header=BB12_5518 Depth=3
	v_bfe_u32 v54, v70, 16, 1
	s_delay_alu instid0(VALU_DEP_1)
	v_add3_u32 v54, v70, v54, 0x7fff
                                        ; implicit-def: $vgpr70
; %bb.5740:                             ;   in Loop: Header=BB12_5518 Depth=3
	s_and_not1_saveexec_b32 s76, s76
; %bb.5741:                             ;   in Loop: Header=BB12_5518 Depth=3
	v_and_b32_e32 v54, 0xffff, v70
	v_or_b32_e32 v80, 0x10000, v70
	s_delay_alu instid0(VALU_DEP_2) | instskip(NEXT) | instid1(VALU_DEP_2)
	v_cmp_eq_u32_e32 vcc_lo, 0, v54
	v_cndmask_b32_e32 v54, v80, v70, vcc_lo
; %bb.5742:                             ;   in Loop: Header=BB12_5518 Depth=3
	s_or_b32 exec_lo, exec_lo, s76
	v_and_b32_e32 v70, 0xffff0000, v114
	s_wait_loadcnt 0x8
	v_lshlrev_b32_e32 v53, 16, v53
	s_delay_alu instid0(VALU_DEP_1) | instskip(NEXT) | instid1(VALU_DEP_1)
	v_add_f32_e32 v70, v53, v70
	v_and_b32_e32 v53, 0x7f800000, v70
	s_delay_alu instid0(VALU_DEP_1) | instskip(SKIP_1) | instid1(SALU_CYCLE_1)
	v_cmp_ne_u32_e32 vcc_lo, 0x7f800000, v53
                                        ; implicit-def: $vgpr53
	s_and_saveexec_b32 s76, vcc_lo
	s_xor_b32 s76, exec_lo, s76
; %bb.5743:                             ;   in Loop: Header=BB12_5518 Depth=3
	v_bfe_u32 v53, v70, 16, 1
	s_delay_alu instid0(VALU_DEP_1)
	v_add3_u32 v53, v70, v53, 0x7fff
                                        ; implicit-def: $vgpr70
; %bb.5744:                             ;   in Loop: Header=BB12_5518 Depth=3
	s_and_not1_saveexec_b32 s76, s76
; %bb.5745:                             ;   in Loop: Header=BB12_5518 Depth=3
	v_and_b32_e32 v53, 0xffff, v70
	v_or_b32_e32 v80, 0x10000, v70
	s_delay_alu instid0(VALU_DEP_2) | instskip(NEXT) | instid1(VALU_DEP_2)
	v_cmp_eq_u32_e32 vcc_lo, 0, v53
	v_cndmask_b32_e32 v53, v80, v70, vcc_lo
; %bb.5746:                             ;   in Loop: Header=BB12_5518 Depth=3
	s_or_b32 exec_lo, exec_lo, s76
	v_and_b32_e32 v70, 0xffff0000, v112
	s_wait_loadcnt 0x7
	v_lshlrev_b32_e32 v52, 16, v52
	s_delay_alu instid0(VALU_DEP_1) | instskip(NEXT) | instid1(VALU_DEP_1)
	v_add_f32_e32 v70, v52, v70
	v_and_b32_e32 v52, 0x7f800000, v70
	s_delay_alu instid0(VALU_DEP_1) | instskip(SKIP_1) | instid1(SALU_CYCLE_1)
	v_cmp_ne_u32_e32 vcc_lo, 0x7f800000, v52
                                        ; implicit-def: $vgpr52
	s_and_saveexec_b32 s76, vcc_lo
	s_xor_b32 s76, exec_lo, s76
; %bb.5747:                             ;   in Loop: Header=BB12_5518 Depth=3
	v_bfe_u32 v52, v70, 16, 1
	s_delay_alu instid0(VALU_DEP_1)
	v_add3_u32 v52, v70, v52, 0x7fff
                                        ; implicit-def: $vgpr70
; %bb.5748:                             ;   in Loop: Header=BB12_5518 Depth=3
	s_and_not1_saveexec_b32 s76, s76
; %bb.5749:                             ;   in Loop: Header=BB12_5518 Depth=3
	v_and_b32_e32 v52, 0xffff, v70
	v_or_b32_e32 v80, 0x10000, v70
	s_delay_alu instid0(VALU_DEP_2) | instskip(NEXT) | instid1(VALU_DEP_2)
	v_cmp_eq_u32_e32 vcc_lo, 0, v52
	v_cndmask_b32_e32 v52, v80, v70, vcc_lo
; %bb.5750:                             ;   in Loop: Header=BB12_5518 Depth=3
	s_or_b32 exec_lo, exec_lo, s76
	v_and_b32_e32 v70, 0xffff0000, v102
	s_wait_loadcnt 0x6
	v_lshlrev_b32_e32 v51, 16, v51
	s_delay_alu instid0(VALU_DEP_1) | instskip(NEXT) | instid1(VALU_DEP_1)
	v_add_f32_e32 v70, v51, v70
	v_and_b32_e32 v51, 0x7f800000, v70
	s_delay_alu instid0(VALU_DEP_1) | instskip(SKIP_1) | instid1(SALU_CYCLE_1)
	v_cmp_ne_u32_e32 vcc_lo, 0x7f800000, v51
                                        ; implicit-def: $vgpr51
	s_and_saveexec_b32 s76, vcc_lo
	s_xor_b32 s76, exec_lo, s76
; %bb.5751:                             ;   in Loop: Header=BB12_5518 Depth=3
	v_bfe_u32 v51, v70, 16, 1
	s_delay_alu instid0(VALU_DEP_1)
	v_add3_u32 v51, v70, v51, 0x7fff
                                        ; implicit-def: $vgpr70
; %bb.5752:                             ;   in Loop: Header=BB12_5518 Depth=3
	s_and_not1_saveexec_b32 s76, s76
; %bb.5753:                             ;   in Loop: Header=BB12_5518 Depth=3
	v_and_b32_e32 v51, 0xffff, v70
	v_or_b32_e32 v80, 0x10000, v70
	s_delay_alu instid0(VALU_DEP_2) | instskip(NEXT) | instid1(VALU_DEP_2)
	v_cmp_eq_u32_e32 vcc_lo, 0, v51
	v_cndmask_b32_e32 v51, v80, v70, vcc_lo
; %bb.5754:                             ;   in Loop: Header=BB12_5518 Depth=3
	s_or_b32 exec_lo, exec_lo, s76
	v_and_b32_e32 v15, 0xffff0000, v15
	s_wait_loadcnt 0x5
	v_lshlrev_b32_e32 v50, 16, v50
	s_delay_alu instid0(VALU_DEP_1) | instskip(NEXT) | instid1(VALU_DEP_1)
	v_add_f32_e32 v50, v50, v15
	v_and_b32_e32 v15, 0x7f800000, v50
	s_delay_alu instid0(VALU_DEP_1) | instskip(SKIP_1) | instid1(SALU_CYCLE_1)
	v_cmp_ne_u32_e32 vcc_lo, 0x7f800000, v15
                                        ; implicit-def: $vgpr15
	s_and_saveexec_b32 s76, vcc_lo
	s_xor_b32 s76, exec_lo, s76
; %bb.5755:                             ;   in Loop: Header=BB12_5518 Depth=3
	v_bfe_u32 v15, v50, 16, 1
	s_delay_alu instid0(VALU_DEP_1)
	v_add3_u32 v15, v50, v15, 0x7fff
                                        ; implicit-def: $vgpr50
; %bb.5756:                             ;   in Loop: Header=BB12_5518 Depth=3
	s_and_not1_saveexec_b32 s76, s76
; %bb.5757:                             ;   in Loop: Header=BB12_5518 Depth=3
	v_and_b32_e32 v15, 0xffff, v50
	v_or_b32_e32 v70, 0x10000, v50
	s_delay_alu instid0(VALU_DEP_2) | instskip(NEXT) | instid1(VALU_DEP_2)
	v_cmp_eq_u32_e32 vcc_lo, 0, v15
	v_cndmask_b32_e32 v15, v70, v50, vcc_lo
; %bb.5758:                             ;   in Loop: Header=BB12_5518 Depth=3
	s_or_b32 exec_lo, exec_lo, s76
	v_and_b32_e32 v14, 0xffff0000, v14
	s_wait_loadcnt 0x4
	v_lshlrev_b32_e32 v49, 16, v49
	s_delay_alu instid0(VALU_DEP_1) | instskip(NEXT) | instid1(VALU_DEP_1)
	v_add_f32_e32 v49, v49, v14
	v_and_b32_e32 v14, 0x7f800000, v49
	s_delay_alu instid0(VALU_DEP_1) | instskip(SKIP_1) | instid1(SALU_CYCLE_1)
	v_cmp_ne_u32_e32 vcc_lo, 0x7f800000, v14
                                        ; implicit-def: $vgpr14
	s_and_saveexec_b32 s76, vcc_lo
	s_xor_b32 s76, exec_lo, s76
; %bb.5759:                             ;   in Loop: Header=BB12_5518 Depth=3
	v_bfe_u32 v14, v49, 16, 1
	s_delay_alu instid0(VALU_DEP_1)
	v_add3_u32 v14, v49, v14, 0x7fff
                                        ; implicit-def: $vgpr49
; %bb.5760:                             ;   in Loop: Header=BB12_5518 Depth=3
	s_and_not1_saveexec_b32 s76, s76
; %bb.5761:                             ;   in Loop: Header=BB12_5518 Depth=3
	v_and_b32_e32 v14, 0xffff, v49
	v_or_b32_e32 v50, 0x10000, v49
	s_delay_alu instid0(VALU_DEP_2) | instskip(NEXT) | instid1(VALU_DEP_2)
	v_cmp_eq_u32_e32 vcc_lo, 0, v14
	v_cndmask_b32_e32 v14, v50, v49, vcc_lo
; %bb.5762:                             ;   in Loop: Header=BB12_5518 Depth=3
	s_or_b32 exec_lo, exec_lo, s76
	v_and_b32_e32 v12, 0xffff0000, v12
	s_wait_loadcnt 0x3
	v_lshlrev_b32_e32 v48, 16, v48
	s_delay_alu instid0(VALU_DEP_1) | instskip(NEXT) | instid1(VALU_DEP_1)
	v_add_f32_e32 v48, v48, v12
	v_and_b32_e32 v12, 0x7f800000, v48
	s_delay_alu instid0(VALU_DEP_1) | instskip(SKIP_1) | instid1(SALU_CYCLE_1)
	v_cmp_ne_u32_e32 vcc_lo, 0x7f800000, v12
                                        ; implicit-def: $vgpr12
	s_and_saveexec_b32 s76, vcc_lo
	s_xor_b32 s76, exec_lo, s76
; %bb.5763:                             ;   in Loop: Header=BB12_5518 Depth=3
	v_bfe_u32 v12, v48, 16, 1
	s_delay_alu instid0(VALU_DEP_1)
	v_add3_u32 v12, v48, v12, 0x7fff
                                        ; implicit-def: $vgpr48
; %bb.5764:                             ;   in Loop: Header=BB12_5518 Depth=3
	s_and_not1_saveexec_b32 s76, s76
; %bb.5765:                             ;   in Loop: Header=BB12_5518 Depth=3
	v_and_b32_e32 v12, 0xffff, v48
	v_or_b32_e32 v49, 0x10000, v48
	s_delay_alu instid0(VALU_DEP_2) | instskip(NEXT) | instid1(VALU_DEP_2)
	v_cmp_eq_u32_e32 vcc_lo, 0, v12
	v_cndmask_b32_e32 v12, v49, v48, vcc_lo
; %bb.5766:                             ;   in Loop: Header=BB12_5518 Depth=3
	s_or_b32 exec_lo, exec_lo, s76
	v_and_b32_e32 v7, 0xffff0000, v7
	s_wait_loadcnt 0x2
	v_lshlrev_b32_e32 v39, 16, v39
	s_delay_alu instid0(VALU_DEP_1) | instskip(NEXT) | instid1(VALU_DEP_1)
	v_add_f32_e32 v39, v39, v7
	v_and_b32_e32 v7, 0x7f800000, v39
	s_delay_alu instid0(VALU_DEP_1) | instskip(SKIP_1) | instid1(SALU_CYCLE_1)
	v_cmp_ne_u32_e32 vcc_lo, 0x7f800000, v7
                                        ; implicit-def: $vgpr7
	s_and_saveexec_b32 s76, vcc_lo
	s_xor_b32 s76, exec_lo, s76
; %bb.5767:                             ;   in Loop: Header=BB12_5518 Depth=3
	v_bfe_u32 v7, v39, 16, 1
	s_delay_alu instid0(VALU_DEP_1)
	v_add3_u32 v7, v39, v7, 0x7fff
                                        ; implicit-def: $vgpr39
; %bb.5768:                             ;   in Loop: Header=BB12_5518 Depth=3
	s_and_not1_saveexec_b32 s76, s76
; %bb.5769:                             ;   in Loop: Header=BB12_5518 Depth=3
	v_and_b32_e32 v7, 0xffff, v39
	v_or_b32_e32 v48, 0x10000, v39
	s_delay_alu instid0(VALU_DEP_2) | instskip(NEXT) | instid1(VALU_DEP_2)
	v_cmp_eq_u32_e32 vcc_lo, 0, v7
	v_cndmask_b32_e32 v7, v48, v39, vcc_lo
; %bb.5770:                             ;   in Loop: Header=BB12_5518 Depth=3
	s_or_b32 exec_lo, exec_lo, s76
	v_and_b32_e32 v6, 0xffff0000, v6
	s_wait_loadcnt 0x1
	v_lshlrev_b32_e32 v38, 16, v38
	s_delay_alu instid0(VALU_DEP_1) | instskip(NEXT) | instid1(VALU_DEP_1)
	v_add_f32_e32 v38, v38, v6
	v_and_b32_e32 v6, 0x7f800000, v38
	s_delay_alu instid0(VALU_DEP_1) | instskip(SKIP_1) | instid1(SALU_CYCLE_1)
	v_cmp_ne_u32_e32 vcc_lo, 0x7f800000, v6
                                        ; implicit-def: $vgpr6
	s_and_saveexec_b32 s76, vcc_lo
	s_xor_b32 s76, exec_lo, s76
; %bb.5771:                             ;   in Loop: Header=BB12_5518 Depth=3
	v_bfe_u32 v6, v38, 16, 1
	s_delay_alu instid0(VALU_DEP_1)
	v_add3_u32 v6, v38, v6, 0x7fff
                                        ; implicit-def: $vgpr38
; %bb.5772:                             ;   in Loop: Header=BB12_5518 Depth=3
	s_and_not1_saveexec_b32 s76, s76
; %bb.5773:                             ;   in Loop: Header=BB12_5518 Depth=3
	v_and_b32_e32 v6, 0xffff, v38
	v_or_b32_e32 v39, 0x10000, v38
	s_delay_alu instid0(VALU_DEP_2) | instskip(NEXT) | instid1(VALU_DEP_2)
	v_cmp_eq_u32_e32 vcc_lo, 0, v6
	v_cndmask_b32_e32 v6, v39, v38, vcc_lo
; %bb.5774:                             ;   in Loop: Header=BB12_5518 Depth=3
	s_or_b32 exec_lo, exec_lo, s76
	v_and_b32_e32 v0, 0xffff0000, v0
	s_wait_loadcnt 0x0
	v_lshlrev_b32_e32 v37, 16, v37
	s_delay_alu instid0(VALU_DEP_1) | instskip(NEXT) | instid1(VALU_DEP_1)
	v_add_f32_e32 v37, v37, v0
	v_and_b32_e32 v0, 0x7f800000, v37
	s_delay_alu instid0(VALU_DEP_1) | instskip(SKIP_1) | instid1(SALU_CYCLE_1)
	v_cmp_ne_u32_e32 vcc_lo, 0x7f800000, v0
                                        ; implicit-def: $vgpr0
	s_and_saveexec_b32 s76, vcc_lo
	s_xor_b32 s76, exec_lo, s76
; %bb.5775:                             ;   in Loop: Header=BB12_5518 Depth=3
	v_bfe_u32 v0, v37, 16, 1
	s_delay_alu instid0(VALU_DEP_1)
	v_add3_u32 v0, v37, v0, 0x7fff
                                        ; implicit-def: $vgpr37
; %bb.5776:                             ;   in Loop: Header=BB12_5518 Depth=3
	s_and_not1_saveexec_b32 s76, s76
	s_cbranch_execz .LBB12_5517
; %bb.5777:                             ;   in Loop: Header=BB12_5518 Depth=3
	v_and_b32_e32 v0, 0xffff, v37
	v_or_b32_e32 v38, 0x10000, v37
	s_delay_alu instid0(VALU_DEP_2) | instskip(NEXT) | instid1(VALU_DEP_2)
	v_cmp_eq_u32_e32 vcc_lo, 0, v0
	v_cndmask_b32_e32 v0, v38, v37, vcc_lo
	s_branch .LBB12_5517
.LBB12_5778:                            ;   in Loop: Header=BB12_2999 Depth=2
	s_or_b32 exec_lo, exec_lo, s40
	v_dual_lshlrev_b32 v84, 16, v29 :: v_dual_lshlrev_b32 v51, 16, v119
	v_dual_lshlrev_b32 v82, 16, v115 :: v_dual_lshlrev_b32 v80, 16, v113
	;; [unrolled: 1-line block ×16, first 2 shown]
	s_and_b32 s14, s14, exec_lo
.LBB12_5779:                            ;   in Loop: Header=BB12_2999 Depth=2
	s_or_b32 exec_lo, exec_lo, s13
	s_and_saveexec_b32 s13, s14
	s_cbranch_execz .LBB12_5909
; %bb.5780:                             ;   in Loop: Header=BB12_2999 Depth=2
	s_trap 2
	ds_load_b32 v10, v0
	s_wait_dscnt 0x0
	v_lshlrev_b32_e32 v10, 16, v10
	s_delay_alu instid0(VALU_DEP_1) | instskip(NEXT) | instid1(VALU_DEP_1)
	v_mul_f32_e32 v21, v84, v10
	v_and_b32_e32 v11, 0x7f800000, v21
	s_delay_alu instid0(VALU_DEP_1) | instskip(SKIP_1) | instid1(SALU_CYCLE_1)
	v_cmp_ne_u32_e32 vcc_lo, 0x7f800000, v11
                                        ; implicit-def: $vgpr11
	s_and_saveexec_b32 s14, vcc_lo
	s_xor_b32 s14, exec_lo, s14
; %bb.5781:                             ;   in Loop: Header=BB12_2999 Depth=2
	v_bfe_u32 v11, v21, 16, 1
	s_delay_alu instid0(VALU_DEP_1)
	v_add3_u32 v11, v21, v11, 0x7fff
                                        ; implicit-def: $vgpr21
; %bb.5782:                             ;   in Loop: Header=BB12_2999 Depth=2
	s_and_not1_saveexec_b32 s14, s14
; %bb.5783:                             ;   in Loop: Header=BB12_2999 Depth=2
	v_and_b32_e32 v11, 0xffff, v21
	v_or_b32_e32 v22, 0x10000, v21
	s_delay_alu instid0(VALU_DEP_2) | instskip(NEXT) | instid1(VALU_DEP_2)
	v_cmp_eq_u32_e32 vcc_lo, 0, v11
	v_cndmask_b32_e32 v11, v22, v21, vcc_lo
; %bb.5784:                             ;   in Loop: Header=BB12_2999 Depth=2
	s_or_b32 exec_lo, exec_lo, s14
	v_mul_f32_e32 v21, v51, v10
	s_mov_b32 s14, exec_lo
                                        ; implicit-def: $vgpr51
	s_delay_alu instid0(VALU_DEP_1) | instskip(NEXT) | instid1(VALU_DEP_1)
	v_and_b32_e32 v22, 0x7f800000, v21
	v_cmpx_ne_u32_e32 0x7f800000, v22
	s_xor_b32 s14, exec_lo, s14
; %bb.5785:                             ;   in Loop: Header=BB12_2999 Depth=2
	v_bfe_u32 v22, v21, 16, 1
	s_delay_alu instid0(VALU_DEP_1)
	v_add3_u32 v51, v21, v22, 0x7fff
                                        ; implicit-def: $vgpr21
; %bb.5786:                             ;   in Loop: Header=BB12_2999 Depth=2
	s_and_not1_saveexec_b32 s14, s14
; %bb.5787:                             ;   in Loop: Header=BB12_2999 Depth=2
	v_and_b32_e32 v22, 0xffff, v21
	v_or_b32_e32 v23, 0x10000, v21
	s_delay_alu instid0(VALU_DEP_2) | instskip(NEXT) | instid1(VALU_DEP_2)
	v_cmp_eq_u32_e32 vcc_lo, 0, v22
	v_cndmask_b32_e32 v51, v23, v21, vcc_lo
; %bb.5788:                             ;   in Loop: Header=BB12_2999 Depth=2
	s_or_b32 exec_lo, exec_lo, s14
	v_mul_f32_e32 v21, v82, v10
	s_mov_b32 s14, exec_lo
                                        ; implicit-def: $vgpr35
	s_delay_alu instid0(VALU_DEP_1) | instskip(NEXT) | instid1(VALU_DEP_1)
	v_and_b32_e32 v22, 0x7f800000, v21
	v_cmpx_ne_u32_e32 0x7f800000, v22
	s_xor_b32 s14, exec_lo, s14
; %bb.5789:                             ;   in Loop: Header=BB12_2999 Depth=2
	v_bfe_u32 v22, v21, 16, 1
	s_delay_alu instid0(VALU_DEP_1)
	v_add3_u32 v35, v21, v22, 0x7fff
                                        ; implicit-def: $vgpr21
; %bb.5790:                             ;   in Loop: Header=BB12_2999 Depth=2
	s_and_not1_saveexec_b32 s14, s14
; %bb.5791:                             ;   in Loop: Header=BB12_2999 Depth=2
	v_and_b32_e32 v22, 0xffff, v21
	v_or_b32_e32 v23, 0x10000, v21
	s_delay_alu instid0(VALU_DEP_2) | instskip(NEXT) | instid1(VALU_DEP_2)
	v_cmp_eq_u32_e32 vcc_lo, 0, v22
	v_cndmask_b32_e32 v35, v23, v21, vcc_lo
; %bb.5792:                             ;   in Loop: Header=BB12_2999 Depth=2
	s_or_b32 exec_lo, exec_lo, s14
	v_mul_f32_e32 v21, v80, v10
	s_mov_b32 s14, exec_lo
                                        ; implicit-def: $vgpr34
	s_delay_alu instid0(VALU_DEP_1) | instskip(NEXT) | instid1(VALU_DEP_1)
	v_and_b32_e32 v22, 0x7f800000, v21
	v_cmpx_ne_u32_e32 0x7f800000, v22
	s_xor_b32 s14, exec_lo, s14
; %bb.5793:                             ;   in Loop: Header=BB12_2999 Depth=2
	v_bfe_u32 v22, v21, 16, 1
	s_delay_alu instid0(VALU_DEP_1)
	v_add3_u32 v34, v21, v22, 0x7fff
                                        ; implicit-def: $vgpr21
; %bb.5794:                             ;   in Loop: Header=BB12_2999 Depth=2
	s_and_not1_saveexec_b32 s14, s14
; %bb.5795:                             ;   in Loop: Header=BB12_2999 Depth=2
	v_and_b32_e32 v22, 0xffff, v21
	v_or_b32_e32 v23, 0x10000, v21
	s_delay_alu instid0(VALU_DEP_2) | instskip(NEXT) | instid1(VALU_DEP_2)
	v_cmp_eq_u32_e32 vcc_lo, 0, v22
	v_cndmask_b32_e32 v34, v23, v21, vcc_lo
; %bb.5796:                             ;   in Loop: Header=BB12_2999 Depth=2
	s_or_b32 exec_lo, exec_lo, s14
	v_mul_f32_e32 v21, v70, v10
	s_mov_b32 s14, exec_lo
                                        ; implicit-def: $vgpr33
	s_delay_alu instid0(VALU_DEP_1) | instskip(NEXT) | instid1(VALU_DEP_1)
	v_and_b32_e32 v22, 0x7f800000, v21
	v_cmpx_ne_u32_e32 0x7f800000, v22
	s_xor_b32 s14, exec_lo, s14
; %bb.5797:                             ;   in Loop: Header=BB12_2999 Depth=2
	v_bfe_u32 v22, v21, 16, 1
	s_delay_alu instid0(VALU_DEP_1)
	v_add3_u32 v33, v21, v22, 0x7fff
                                        ; implicit-def: $vgpr21
; %bb.5798:                             ;   in Loop: Header=BB12_2999 Depth=2
	s_and_not1_saveexec_b32 s14, s14
; %bb.5799:                             ;   in Loop: Header=BB12_2999 Depth=2
	v_and_b32_e32 v22, 0xffff, v21
	v_or_b32_e32 v23, 0x10000, v21
	s_delay_alu instid0(VALU_DEP_2) | instskip(NEXT) | instid1(VALU_DEP_2)
	v_cmp_eq_u32_e32 vcc_lo, 0, v22
	v_cndmask_b32_e32 v33, v23, v21, vcc_lo
; %bb.5800:                             ;   in Loop: Header=BB12_2999 Depth=2
	s_or_b32 exec_lo, exec_lo, s14
	v_mul_f32_e32 v21, v68, v10
	s_mov_b32 s14, exec_lo
                                        ; implicit-def: $vgpr32
	s_delay_alu instid0(VALU_DEP_1) | instskip(NEXT) | instid1(VALU_DEP_1)
	v_and_b32_e32 v22, 0x7f800000, v21
	v_cmpx_ne_u32_e32 0x7f800000, v22
	s_xor_b32 s14, exec_lo, s14
; %bb.5801:                             ;   in Loop: Header=BB12_2999 Depth=2
	v_bfe_u32 v22, v21, 16, 1
	s_delay_alu instid0(VALU_DEP_1)
	v_add3_u32 v32, v21, v22, 0x7fff
                                        ; implicit-def: $vgpr21
; %bb.5802:                             ;   in Loop: Header=BB12_2999 Depth=2
	s_and_not1_saveexec_b32 s14, s14
; %bb.5803:                             ;   in Loop: Header=BB12_2999 Depth=2
	v_and_b32_e32 v22, 0xffff, v21
	v_or_b32_e32 v23, 0x10000, v21
	s_delay_alu instid0(VALU_DEP_2) | instskip(NEXT) | instid1(VALU_DEP_2)
	v_cmp_eq_u32_e32 vcc_lo, 0, v22
	v_cndmask_b32_e32 v32, v23, v21, vcc_lo
; %bb.5804:                             ;   in Loop: Header=BB12_2999 Depth=2
	s_or_b32 exec_lo, exec_lo, s14
	v_mul_f32_e32 v21, v65, v10
	s_mov_b32 s14, exec_lo
                                        ; implicit-def: $vgpr31
	s_delay_alu instid0(VALU_DEP_1) | instskip(NEXT) | instid1(VALU_DEP_1)
	v_and_b32_e32 v22, 0x7f800000, v21
	v_cmpx_ne_u32_e32 0x7f800000, v22
	s_xor_b32 s14, exec_lo, s14
; %bb.5805:                             ;   in Loop: Header=BB12_2999 Depth=2
	v_bfe_u32 v22, v21, 16, 1
	s_delay_alu instid0(VALU_DEP_1)
	v_add3_u32 v31, v21, v22, 0x7fff
                                        ; implicit-def: $vgpr21
; %bb.5806:                             ;   in Loop: Header=BB12_2999 Depth=2
	s_and_not1_saveexec_b32 s14, s14
; %bb.5807:                             ;   in Loop: Header=BB12_2999 Depth=2
	v_and_b32_e32 v22, 0xffff, v21
	v_or_b32_e32 v23, 0x10000, v21
	s_delay_alu instid0(VALU_DEP_2) | instskip(NEXT) | instid1(VALU_DEP_2)
	v_cmp_eq_u32_e32 vcc_lo, 0, v22
	v_cndmask_b32_e32 v31, v23, v21, vcc_lo
; %bb.5808:                             ;   in Loop: Header=BB12_2999 Depth=2
	s_or_b32 exec_lo, exec_lo, s14
	v_mul_f32_e32 v21, v64, v10
	s_mov_b32 s14, exec_lo
                                        ; implicit-def: $vgpr30
	s_delay_alu instid0(VALU_DEP_1) | instskip(NEXT) | instid1(VALU_DEP_1)
	v_and_b32_e32 v22, 0x7f800000, v21
	v_cmpx_ne_u32_e32 0x7f800000, v22
	s_xor_b32 s14, exec_lo, s14
; %bb.5809:                             ;   in Loop: Header=BB12_2999 Depth=2
	v_bfe_u32 v22, v21, 16, 1
	s_delay_alu instid0(VALU_DEP_1)
	v_add3_u32 v30, v21, v22, 0x7fff
                                        ; implicit-def: $vgpr21
; %bb.5810:                             ;   in Loop: Header=BB12_2999 Depth=2
	s_and_not1_saveexec_b32 s14, s14
; %bb.5811:                             ;   in Loop: Header=BB12_2999 Depth=2
	v_and_b32_e32 v22, 0xffff, v21
	v_or_b32_e32 v23, 0x10000, v21
	s_delay_alu instid0(VALU_DEP_2) | instskip(NEXT) | instid1(VALU_DEP_2)
	v_cmp_eq_u32_e32 vcc_lo, 0, v22
	v_cndmask_b32_e32 v30, v23, v21, vcc_lo
; %bb.5812:                             ;   in Loop: Header=BB12_2999 Depth=2
	s_or_b32 exec_lo, exec_lo, s14
	v_mul_f32_e32 v21, v55, v10
	s_mov_b32 s14, exec_lo
                                        ; implicit-def: $vgpr27
	s_delay_alu instid0(VALU_DEP_1) | instskip(NEXT) | instid1(VALU_DEP_1)
	v_and_b32_e32 v22, 0x7f800000, v21
	v_cmpx_ne_u32_e32 0x7f800000, v22
	s_xor_b32 s14, exec_lo, s14
; %bb.5813:                             ;   in Loop: Header=BB12_2999 Depth=2
	v_bfe_u32 v22, v21, 16, 1
	s_delay_alu instid0(VALU_DEP_1)
	v_add3_u32 v27, v21, v22, 0x7fff
                                        ; implicit-def: $vgpr21
; %bb.5814:                             ;   in Loop: Header=BB12_2999 Depth=2
	s_and_not1_saveexec_b32 s14, s14
; %bb.5815:                             ;   in Loop: Header=BB12_2999 Depth=2
	v_and_b32_e32 v22, 0xffff, v21
	v_or_b32_e32 v23, 0x10000, v21
	s_delay_alu instid0(VALU_DEP_2) | instskip(NEXT) | instid1(VALU_DEP_2)
	v_cmp_eq_u32_e32 vcc_lo, 0, v22
	v_cndmask_b32_e32 v27, v23, v21, vcc_lo
; %bb.5816:                             ;   in Loop: Header=BB12_2999 Depth=2
	s_or_b32 exec_lo, exec_lo, s14
	v_mul_f32_e32 v21, v54, v10
	s_mov_b32 s14, exec_lo
                                        ; implicit-def: $vgpr26
	s_delay_alu instid0(VALU_DEP_1) | instskip(NEXT) | instid1(VALU_DEP_1)
	v_and_b32_e32 v22, 0x7f800000, v21
	v_cmpx_ne_u32_e32 0x7f800000, v22
	s_xor_b32 s14, exec_lo, s14
; %bb.5817:                             ;   in Loop: Header=BB12_2999 Depth=2
	v_bfe_u32 v22, v21, 16, 1
	s_delay_alu instid0(VALU_DEP_1)
	v_add3_u32 v26, v21, v22, 0x7fff
                                        ; implicit-def: $vgpr21
; %bb.5818:                             ;   in Loop: Header=BB12_2999 Depth=2
	s_and_not1_saveexec_b32 s14, s14
; %bb.5819:                             ;   in Loop: Header=BB12_2999 Depth=2
	v_and_b32_e32 v22, 0xffff, v21
	v_or_b32_e32 v23, 0x10000, v21
	s_delay_alu instid0(VALU_DEP_2) | instskip(NEXT) | instid1(VALU_DEP_2)
	v_cmp_eq_u32_e32 vcc_lo, 0, v22
	v_cndmask_b32_e32 v26, v23, v21, vcc_lo
; %bb.5820:                             ;   in Loop: Header=BB12_2999 Depth=2
	s_or_b32 exec_lo, exec_lo, s14
	v_mul_f32_e32 v21, v53, v10
	s_mov_b32 s14, exec_lo
                                        ; implicit-def: $vgpr25
	s_delay_alu instid0(VALU_DEP_1) | instskip(NEXT) | instid1(VALU_DEP_1)
	v_and_b32_e32 v22, 0x7f800000, v21
	v_cmpx_ne_u32_e32 0x7f800000, v22
	s_xor_b32 s14, exec_lo, s14
; %bb.5821:                             ;   in Loop: Header=BB12_2999 Depth=2
	v_bfe_u32 v22, v21, 16, 1
	s_delay_alu instid0(VALU_DEP_1)
	v_add3_u32 v25, v21, v22, 0x7fff
                                        ; implicit-def: $vgpr21
; %bb.5822:                             ;   in Loop: Header=BB12_2999 Depth=2
	s_and_not1_saveexec_b32 s14, s14
; %bb.5823:                             ;   in Loop: Header=BB12_2999 Depth=2
	v_and_b32_e32 v22, 0xffff, v21
	v_or_b32_e32 v23, 0x10000, v21
	s_delay_alu instid0(VALU_DEP_2) | instskip(NEXT) | instid1(VALU_DEP_2)
	v_cmp_eq_u32_e32 vcc_lo, 0, v22
	v_cndmask_b32_e32 v25, v23, v21, vcc_lo
; %bb.5824:                             ;   in Loop: Header=BB12_2999 Depth=2
	s_or_b32 exec_lo, exec_lo, s14
	v_mul_f32_e32 v21, v52, v10
	s_mov_b32 s14, exec_lo
                                        ; implicit-def: $vgpr24
	s_delay_alu instid0(VALU_DEP_1) | instskip(NEXT) | instid1(VALU_DEP_1)
	v_and_b32_e32 v22, 0x7f800000, v21
	v_cmpx_ne_u32_e32 0x7f800000, v22
	s_xor_b32 s14, exec_lo, s14
; %bb.5825:                             ;   in Loop: Header=BB12_2999 Depth=2
	v_bfe_u32 v22, v21, 16, 1
	s_delay_alu instid0(VALU_DEP_1)
	v_add3_u32 v24, v21, v22, 0x7fff
                                        ; implicit-def: $vgpr21
; %bb.5826:                             ;   in Loop: Header=BB12_2999 Depth=2
	s_and_not1_saveexec_b32 s14, s14
; %bb.5827:                             ;   in Loop: Header=BB12_2999 Depth=2
	v_and_b32_e32 v22, 0xffff, v21
	v_or_b32_e32 v23, 0x10000, v21
	s_delay_alu instid0(VALU_DEP_2) | instskip(NEXT) | instid1(VALU_DEP_2)
	v_cmp_eq_u32_e32 vcc_lo, 0, v22
	v_cndmask_b32_e32 v24, v23, v21, vcc_lo
; %bb.5828:                             ;   in Loop: Header=BB12_2999 Depth=2
	s_or_b32 exec_lo, exec_lo, s14
	v_mul_f32_e32 v21, v50, v10
	s_mov_b32 s14, exec_lo
                                        ; implicit-def: $vgpr23
	s_delay_alu instid0(VALU_DEP_1) | instskip(NEXT) | instid1(VALU_DEP_1)
	v_and_b32_e32 v22, 0x7f800000, v21
	v_cmpx_ne_u32_e32 0x7f800000, v22
	s_xor_b32 s14, exec_lo, s14
; %bb.5829:                             ;   in Loop: Header=BB12_2999 Depth=2
	v_bfe_u32 v22, v21, 16, 1
	s_delay_alu instid0(VALU_DEP_1)
	v_add3_u32 v23, v21, v22, 0x7fff
                                        ; implicit-def: $vgpr21
; %bb.5830:                             ;   in Loop: Header=BB12_2999 Depth=2
	s_and_not1_saveexec_b32 s14, s14
; %bb.5831:                             ;   in Loop: Header=BB12_2999 Depth=2
	v_and_b32_e32 v22, 0xffff, v21
	v_or_b32_e32 v23, 0x10000, v21
	s_delay_alu instid0(VALU_DEP_2) | instskip(NEXT) | instid1(VALU_DEP_2)
	v_cmp_eq_u32_e32 vcc_lo, 0, v22
	v_cndmask_b32_e32 v23, v23, v21, vcc_lo
; %bb.5832:                             ;   in Loop: Header=BB12_2999 Depth=2
	s_or_b32 exec_lo, exec_lo, s14
	v_mul_f32_e32 v21, v49, v10
	s_delay_alu instid0(VALU_DEP_1) | instskip(NEXT) | instid1(VALU_DEP_1)
	v_and_b32_e32 v22, 0x7f800000, v21
	v_cmp_ne_u32_e32 vcc_lo, 0x7f800000, v22
                                        ; implicit-def: $vgpr22
	s_and_saveexec_b32 s14, vcc_lo
	s_delay_alu instid0(SALU_CYCLE_1)
	s_xor_b32 s14, exec_lo, s14
; %bb.5833:                             ;   in Loop: Header=BB12_2999 Depth=2
	v_bfe_u32 v22, v21, 16, 1
	s_delay_alu instid0(VALU_DEP_1)
	v_add3_u32 v22, v21, v22, 0x7fff
                                        ; implicit-def: $vgpr21
; %bb.5834:                             ;   in Loop: Header=BB12_2999 Depth=2
	s_and_not1_saveexec_b32 s14, s14
; %bb.5835:                             ;   in Loop: Header=BB12_2999 Depth=2
	v_and_b32_e32 v22, 0xffff, v21
	v_or_b32_e32 v49, 0x10000, v21
	s_delay_alu instid0(VALU_DEP_2) | instskip(NEXT) | instid1(VALU_DEP_2)
	v_cmp_eq_u32_e32 vcc_lo, 0, v22
	v_cndmask_b32_e32 v22, v49, v21, vcc_lo
; %bb.5836:                             ;   in Loop: Header=BB12_2999 Depth=2
	s_or_b32 exec_lo, exec_lo, s14
	v_mul_f32_e32 v48, v48, v10
	s_delay_alu instid0(VALU_DEP_1) | instskip(NEXT) | instid1(VALU_DEP_1)
	v_and_b32_e32 v21, 0x7f800000, v48
	v_cmp_ne_u32_e32 vcc_lo, 0x7f800000, v21
                                        ; implicit-def: $vgpr21
	s_and_saveexec_b32 s14, vcc_lo
	s_delay_alu instid0(SALU_CYCLE_1)
	s_xor_b32 s14, exec_lo, s14
; %bb.5837:                             ;   in Loop: Header=BB12_2999 Depth=2
	v_bfe_u32 v21, v48, 16, 1
	s_delay_alu instid0(VALU_DEP_1)
	v_add3_u32 v21, v48, v21, 0x7fff
                                        ; implicit-def: $vgpr48
; %bb.5838:                             ;   in Loop: Header=BB12_2999 Depth=2
	s_and_not1_saveexec_b32 s14, s14
; %bb.5839:                             ;   in Loop: Header=BB12_2999 Depth=2
	v_and_b32_e32 v21, 0xffff, v48
	v_or_b32_e32 v49, 0x10000, v48
	s_delay_alu instid0(VALU_DEP_2) | instskip(NEXT) | instid1(VALU_DEP_2)
	v_cmp_eq_u32_e32 vcc_lo, 0, v21
	v_cndmask_b32_e32 v21, v49, v48, vcc_lo
; %bb.5840:                             ;   in Loop: Header=BB12_2999 Depth=2
	s_or_b32 exec_lo, exec_lo, s14
	v_mul_f32_e32 v39, v39, v10
	s_delay_alu instid0(VALU_DEP_1) | instskip(NEXT) | instid1(VALU_DEP_1)
	v_and_b32_e32 v10, 0x7f800000, v39
	v_cmp_ne_u32_e32 vcc_lo, 0x7f800000, v10
                                        ; implicit-def: $vgpr10
	s_and_saveexec_b32 s14, vcc_lo
	s_delay_alu instid0(SALU_CYCLE_1)
	s_xor_b32 s14, exec_lo, s14
; %bb.5841:                             ;   in Loop: Header=BB12_2999 Depth=2
	v_bfe_u32 v10, v39, 16, 1
	s_delay_alu instid0(VALU_DEP_1)
	v_add3_u32 v10, v39, v10, 0x7fff
                                        ; implicit-def: $vgpr39
; %bb.5842:                             ;   in Loop: Header=BB12_2999 Depth=2
	s_and_not1_saveexec_b32 s14, s14
; %bb.5843:                             ;   in Loop: Header=BB12_2999 Depth=2
	v_and_b32_e32 v10, 0xffff, v39
	v_or_b32_e32 v48, 0x10000, v39
	s_delay_alu instid0(VALU_DEP_2) | instskip(NEXT) | instid1(VALU_DEP_2)
	v_cmp_eq_u32_e32 vcc_lo, 0, v10
	v_cndmask_b32_e32 v10, v48, v39, vcc_lo
; %bb.5844:                             ;   in Loop: Header=BB12_2999 Depth=2
	s_or_b32 exec_lo, exec_lo, s14
	v_and_b32_e32 v11, 0xffff0000, v11
	s_delay_alu instid0(VALU_DEP_1) | instskip(NEXT) | instid1(VALU_DEP_1)
	v_add_f32_e32 v38, v38, v11
	v_and_b32_e32 v11, 0x7f800000, v38
	s_delay_alu instid0(VALU_DEP_1) | instskip(SKIP_1) | instid1(SALU_CYCLE_1)
	v_cmp_ne_u32_e32 vcc_lo, 0x7f800000, v11
                                        ; implicit-def: $vgpr11
	s_and_saveexec_b32 s14, vcc_lo
	s_xor_b32 s14, exec_lo, s14
; %bb.5845:                             ;   in Loop: Header=BB12_2999 Depth=2
	v_bfe_u32 v11, v38, 16, 1
	s_delay_alu instid0(VALU_DEP_1)
	v_add3_u32 v11, v38, v11, 0x7fff
                                        ; implicit-def: $vgpr38
; %bb.5846:                             ;   in Loop: Header=BB12_2999 Depth=2
	s_and_not1_saveexec_b32 s14, s14
; %bb.5847:                             ;   in Loop: Header=BB12_2999 Depth=2
	v_and_b32_e32 v11, 0xffff, v38
	v_or_b32_e32 v39, 0x10000, v38
	s_delay_alu instid0(VALU_DEP_2) | instskip(NEXT) | instid1(VALU_DEP_2)
	v_cmp_eq_u32_e32 vcc_lo, 0, v11
	v_cndmask_b32_e32 v11, v39, v38, vcc_lo
; %bb.5848:                             ;   in Loop: Header=BB12_2999 Depth=2
	s_or_b32 exec_lo, exec_lo, s14
	v_and_b32_e32 v38, 0xffff0000, v51
	s_delay_alu instid0(VALU_DEP_1) | instskip(NEXT) | instid1(VALU_DEP_1)
	v_add_f32_e32 v38, v37, v38
	v_and_b32_e32 v37, 0x7f800000, v38
	s_delay_alu instid0(VALU_DEP_1) | instskip(SKIP_1) | instid1(SALU_CYCLE_1)
	v_cmp_ne_u32_e32 vcc_lo, 0x7f800000, v37
                                        ; implicit-def: $vgpr37
	s_and_saveexec_b32 s14, vcc_lo
	s_xor_b32 s14, exec_lo, s14
; %bb.5849:                             ;   in Loop: Header=BB12_2999 Depth=2
	v_bfe_u32 v37, v38, 16, 1
	s_delay_alu instid0(VALU_DEP_1)
	v_add3_u32 v37, v38, v37, 0x7fff
                                        ; implicit-def: $vgpr38
; %bb.5850:                             ;   in Loop: Header=BB12_2999 Depth=2
	s_and_not1_saveexec_b32 s14, s14
; %bb.5851:                             ;   in Loop: Header=BB12_2999 Depth=2
	v_and_b32_e32 v37, 0xffff, v38
	v_or_b32_e32 v39, 0x10000, v38
	s_delay_alu instid0(VALU_DEP_2) | instskip(NEXT) | instid1(VALU_DEP_2)
	v_cmp_eq_u32_e32 vcc_lo, 0, v37
	v_cndmask_b32_e32 v37, v39, v38, vcc_lo
; %bb.5852:                             ;   in Loop: Header=BB12_2999 Depth=2
	s_or_b32 exec_lo, exec_lo, s14
	v_and_b32_e32 v35, 0xffff0000, v35
	s_delay_alu instid0(VALU_DEP_1) | instskip(NEXT) | instid1(VALU_DEP_1)
	v_add_f32_e32 v35, v29, v35
	v_and_b32_e32 v29, 0x7f800000, v35
	s_delay_alu instid0(VALU_DEP_1) | instskip(SKIP_1) | instid1(SALU_CYCLE_1)
	v_cmp_ne_u32_e32 vcc_lo, 0x7f800000, v29
                                        ; implicit-def: $vgpr29
	s_and_saveexec_b32 s14, vcc_lo
	s_xor_b32 s14, exec_lo, s14
; %bb.5853:                             ;   in Loop: Header=BB12_2999 Depth=2
	v_bfe_u32 v29, v35, 16, 1
	s_delay_alu instid0(VALU_DEP_1)
	v_add3_u32 v29, v35, v29, 0x7fff
                                        ; implicit-def: $vgpr35
; %bb.5854:                             ;   in Loop: Header=BB12_2999 Depth=2
	s_and_not1_saveexec_b32 s14, s14
; %bb.5855:                             ;   in Loop: Header=BB12_2999 Depth=2
	v_and_b32_e32 v29, 0xffff, v35
	v_or_b32_e32 v38, 0x10000, v35
	s_delay_alu instid0(VALU_DEP_2) | instskip(NEXT) | instid1(VALU_DEP_2)
	v_cmp_eq_u32_e32 vcc_lo, 0, v29
	v_cndmask_b32_e32 v29, v38, v35, vcc_lo
; %bb.5856:                             ;   in Loop: Header=BB12_2999 Depth=2
	s_or_b32 exec_lo, exec_lo, s14
	v_and_b32_e32 v34, 0xffff0000, v34
	s_delay_alu instid0(VALU_DEP_1) | instskip(NEXT) | instid1(VALU_DEP_1)
	v_add_f32_e32 v34, v20, v34
	v_and_b32_e32 v20, 0x7f800000, v34
	s_delay_alu instid0(VALU_DEP_1) | instskip(SKIP_1) | instid1(SALU_CYCLE_1)
	v_cmp_ne_u32_e32 vcc_lo, 0x7f800000, v20
                                        ; implicit-def: $vgpr20
	s_and_saveexec_b32 s14, vcc_lo
	s_xor_b32 s14, exec_lo, s14
; %bb.5857:                             ;   in Loop: Header=BB12_2999 Depth=2
	v_bfe_u32 v20, v34, 16, 1
	s_delay_alu instid0(VALU_DEP_1)
	v_add3_u32 v20, v34, v20, 0x7fff
                                        ; implicit-def: $vgpr34
; %bb.5858:                             ;   in Loop: Header=BB12_2999 Depth=2
	s_and_not1_saveexec_b32 s14, s14
; %bb.5859:                             ;   in Loop: Header=BB12_2999 Depth=2
	v_and_b32_e32 v20, 0xffff, v34
	v_or_b32_e32 v35, 0x10000, v34
	s_delay_alu instid0(VALU_DEP_2) | instskip(NEXT) | instid1(VALU_DEP_2)
	v_cmp_eq_u32_e32 vcc_lo, 0, v20
	v_cndmask_b32_e32 v20, v35, v34, vcc_lo
; %bb.5860:                             ;   in Loop: Header=BB12_2999 Depth=2
	s_or_b32 exec_lo, exec_lo, s14
	v_and_b32_e32 v33, 0xffff0000, v33
	s_delay_alu instid0(VALU_DEP_1) | instskip(NEXT) | instid1(VALU_DEP_1)
	v_add_f32_e32 v33, v19, v33
	v_and_b32_e32 v19, 0x7f800000, v33
	s_delay_alu instid0(VALU_DEP_1) | instskip(SKIP_1) | instid1(SALU_CYCLE_1)
	v_cmp_ne_u32_e32 vcc_lo, 0x7f800000, v19
                                        ; implicit-def: $vgpr19
	s_and_saveexec_b32 s14, vcc_lo
	s_xor_b32 s14, exec_lo, s14
; %bb.5861:                             ;   in Loop: Header=BB12_2999 Depth=2
	v_bfe_u32 v19, v33, 16, 1
	s_delay_alu instid0(VALU_DEP_1)
	v_add3_u32 v19, v33, v19, 0x7fff
                                        ; implicit-def: $vgpr33
; %bb.5862:                             ;   in Loop: Header=BB12_2999 Depth=2
	s_and_not1_saveexec_b32 s14, s14
; %bb.5863:                             ;   in Loop: Header=BB12_2999 Depth=2
	v_and_b32_e32 v19, 0xffff, v33
	v_or_b32_e32 v34, 0x10000, v33
	s_delay_alu instid0(VALU_DEP_2) | instskip(NEXT) | instid1(VALU_DEP_2)
	v_cmp_eq_u32_e32 vcc_lo, 0, v19
	v_cndmask_b32_e32 v19, v34, v33, vcc_lo
; %bb.5864:                             ;   in Loop: Header=BB12_2999 Depth=2
	s_or_b32 exec_lo, exec_lo, s14
	v_and_b32_e32 v32, 0xffff0000, v32
	s_delay_alu instid0(VALU_DEP_1) | instskip(NEXT) | instid1(VALU_DEP_1)
	v_add_f32_e32 v32, v18, v32
	v_and_b32_e32 v18, 0x7f800000, v32
	s_delay_alu instid0(VALU_DEP_1) | instskip(SKIP_1) | instid1(SALU_CYCLE_1)
	v_cmp_ne_u32_e32 vcc_lo, 0x7f800000, v18
                                        ; implicit-def: $vgpr18
	s_and_saveexec_b32 s14, vcc_lo
	s_xor_b32 s14, exec_lo, s14
; %bb.5865:                             ;   in Loop: Header=BB12_2999 Depth=2
	v_bfe_u32 v18, v32, 16, 1
	s_delay_alu instid0(VALU_DEP_1)
	v_add3_u32 v18, v32, v18, 0x7fff
                                        ; implicit-def: $vgpr32
; %bb.5866:                             ;   in Loop: Header=BB12_2999 Depth=2
	s_and_not1_saveexec_b32 s14, s14
; %bb.5867:                             ;   in Loop: Header=BB12_2999 Depth=2
	v_and_b32_e32 v18, 0xffff, v32
	v_or_b32_e32 v33, 0x10000, v32
	s_delay_alu instid0(VALU_DEP_2) | instskip(NEXT) | instid1(VALU_DEP_2)
	v_cmp_eq_u32_e32 vcc_lo, 0, v18
	v_cndmask_b32_e32 v18, v33, v32, vcc_lo
; %bb.5868:                             ;   in Loop: Header=BB12_2999 Depth=2
	s_or_b32 exec_lo, exec_lo, s14
	v_and_b32_e32 v31, 0xffff0000, v31
	s_delay_alu instid0(VALU_DEP_1) | instskip(NEXT) | instid1(VALU_DEP_1)
	v_add_f32_e32 v31, v15, v31
	v_and_b32_e32 v15, 0x7f800000, v31
	s_delay_alu instid0(VALU_DEP_1) | instskip(SKIP_1) | instid1(SALU_CYCLE_1)
	v_cmp_ne_u32_e32 vcc_lo, 0x7f800000, v15
                                        ; implicit-def: $vgpr15
	s_and_saveexec_b32 s14, vcc_lo
	s_xor_b32 s14, exec_lo, s14
; %bb.5869:                             ;   in Loop: Header=BB12_2999 Depth=2
	v_bfe_u32 v15, v31, 16, 1
	s_delay_alu instid0(VALU_DEP_1)
	v_add3_u32 v15, v31, v15, 0x7fff
                                        ; implicit-def: $vgpr31
; %bb.5870:                             ;   in Loop: Header=BB12_2999 Depth=2
	s_and_not1_saveexec_b32 s14, s14
; %bb.5871:                             ;   in Loop: Header=BB12_2999 Depth=2
	v_and_b32_e32 v15, 0xffff, v31
	v_or_b32_e32 v32, 0x10000, v31
	s_delay_alu instid0(VALU_DEP_2) | instskip(NEXT) | instid1(VALU_DEP_2)
	v_cmp_eq_u32_e32 vcc_lo, 0, v15
	v_cndmask_b32_e32 v15, v32, v31, vcc_lo
; %bb.5872:                             ;   in Loop: Header=BB12_2999 Depth=2
	s_or_b32 exec_lo, exec_lo, s14
	v_and_b32_e32 v30, 0xffff0000, v30
	s_delay_alu instid0(VALU_DEP_1) | instskip(NEXT) | instid1(VALU_DEP_1)
	v_add_f32_e32 v30, v14, v30
	v_and_b32_e32 v14, 0x7f800000, v30
	s_delay_alu instid0(VALU_DEP_1) | instskip(SKIP_1) | instid1(SALU_CYCLE_1)
	v_cmp_ne_u32_e32 vcc_lo, 0x7f800000, v14
                                        ; implicit-def: $vgpr14
	s_and_saveexec_b32 s14, vcc_lo
	s_xor_b32 s14, exec_lo, s14
; %bb.5873:                             ;   in Loop: Header=BB12_2999 Depth=2
	v_bfe_u32 v14, v30, 16, 1
	s_delay_alu instid0(VALU_DEP_1)
	v_add3_u32 v14, v30, v14, 0x7fff
                                        ; implicit-def: $vgpr30
; %bb.5874:                             ;   in Loop: Header=BB12_2999 Depth=2
	s_and_not1_saveexec_b32 s14, s14
; %bb.5875:                             ;   in Loop: Header=BB12_2999 Depth=2
	v_and_b32_e32 v14, 0xffff, v30
	v_or_b32_e32 v31, 0x10000, v30
	s_delay_alu instid0(VALU_DEP_2) | instskip(NEXT) | instid1(VALU_DEP_2)
	v_cmp_eq_u32_e32 vcc_lo, 0, v14
	v_cndmask_b32_e32 v14, v31, v30, vcc_lo
; %bb.5876:                             ;   in Loop: Header=BB12_2999 Depth=2
	s_or_b32 exec_lo, exec_lo, s14
	v_and_b32_e32 v27, 0xffff0000, v27
	s_delay_alu instid0(VALU_DEP_1) | instskip(NEXT) | instid1(VALU_DEP_1)
	v_add_f32_e32 v27, v13, v27
	v_and_b32_e32 v13, 0x7f800000, v27
	s_delay_alu instid0(VALU_DEP_1) | instskip(SKIP_1) | instid1(SALU_CYCLE_1)
	v_cmp_ne_u32_e32 vcc_lo, 0x7f800000, v13
                                        ; implicit-def: $vgpr13
	s_and_saveexec_b32 s14, vcc_lo
	s_xor_b32 s14, exec_lo, s14
; %bb.5877:                             ;   in Loop: Header=BB12_2999 Depth=2
	v_bfe_u32 v13, v27, 16, 1
	s_delay_alu instid0(VALU_DEP_1)
	v_add3_u32 v13, v27, v13, 0x7fff
                                        ; implicit-def: $vgpr27
; %bb.5878:                             ;   in Loop: Header=BB12_2999 Depth=2
	s_and_not1_saveexec_b32 s14, s14
; %bb.5879:                             ;   in Loop: Header=BB12_2999 Depth=2
	v_and_b32_e32 v13, 0xffff, v27
	v_or_b32_e32 v30, 0x10000, v27
	s_delay_alu instid0(VALU_DEP_2) | instskip(NEXT) | instid1(VALU_DEP_2)
	v_cmp_eq_u32_e32 vcc_lo, 0, v13
	v_cndmask_b32_e32 v13, v30, v27, vcc_lo
; %bb.5880:                             ;   in Loop: Header=BB12_2999 Depth=2
	s_or_b32 exec_lo, exec_lo, s14
	v_and_b32_e32 v26, 0xffff0000, v26
	s_delay_alu instid0(VALU_DEP_1) | instskip(NEXT) | instid1(VALU_DEP_1)
	v_add_f32_e32 v26, v12, v26
	v_and_b32_e32 v12, 0x7f800000, v26
	s_delay_alu instid0(VALU_DEP_1) | instskip(SKIP_1) | instid1(SALU_CYCLE_1)
	v_cmp_ne_u32_e32 vcc_lo, 0x7f800000, v12
                                        ; implicit-def: $vgpr12
	s_and_saveexec_b32 s14, vcc_lo
	s_xor_b32 s14, exec_lo, s14
; %bb.5881:                             ;   in Loop: Header=BB12_2999 Depth=2
	v_bfe_u32 v12, v26, 16, 1
	s_delay_alu instid0(VALU_DEP_1)
	v_add3_u32 v12, v26, v12, 0x7fff
                                        ; implicit-def: $vgpr26
; %bb.5882:                             ;   in Loop: Header=BB12_2999 Depth=2
	s_and_not1_saveexec_b32 s14, s14
; %bb.5883:                             ;   in Loop: Header=BB12_2999 Depth=2
	v_and_b32_e32 v12, 0xffff, v26
	v_or_b32_e32 v27, 0x10000, v26
	s_delay_alu instid0(VALU_DEP_2) | instskip(NEXT) | instid1(VALU_DEP_2)
	v_cmp_eq_u32_e32 vcc_lo, 0, v12
	v_cndmask_b32_e32 v12, v27, v26, vcc_lo
; %bb.5884:                             ;   in Loop: Header=BB12_2999 Depth=2
	s_or_b32 exec_lo, exec_lo, s14
	v_and_b32_e32 v25, 0xffff0000, v25
	s_delay_alu instid0(VALU_DEP_1) | instskip(NEXT) | instid1(VALU_DEP_1)
	v_add_f32_e32 v25, v9, v25
	v_and_b32_e32 v9, 0x7f800000, v25
	s_delay_alu instid0(VALU_DEP_1) | instskip(SKIP_1) | instid1(SALU_CYCLE_1)
	v_cmp_ne_u32_e32 vcc_lo, 0x7f800000, v9
                                        ; implicit-def: $vgpr9
	s_and_saveexec_b32 s14, vcc_lo
	s_xor_b32 s14, exec_lo, s14
; %bb.5885:                             ;   in Loop: Header=BB12_2999 Depth=2
	v_bfe_u32 v9, v25, 16, 1
	s_delay_alu instid0(VALU_DEP_1)
	v_add3_u32 v9, v25, v9, 0x7fff
                                        ; implicit-def: $vgpr25
; %bb.5886:                             ;   in Loop: Header=BB12_2999 Depth=2
	s_and_not1_saveexec_b32 s14, s14
; %bb.5887:                             ;   in Loop: Header=BB12_2999 Depth=2
	v_and_b32_e32 v9, 0xffff, v25
	v_or_b32_e32 v26, 0x10000, v25
	s_delay_alu instid0(VALU_DEP_2) | instskip(NEXT) | instid1(VALU_DEP_2)
	v_cmp_eq_u32_e32 vcc_lo, 0, v9
	v_cndmask_b32_e32 v9, v26, v25, vcc_lo
; %bb.5888:                             ;   in Loop: Header=BB12_2999 Depth=2
	s_or_b32 exec_lo, exec_lo, s14
	v_and_b32_e32 v24, 0xffff0000, v24
	s_delay_alu instid0(VALU_DEP_1) | instskip(NEXT) | instid1(VALU_DEP_1)
	v_add_f32_e32 v24, v7, v24
	v_and_b32_e32 v7, 0x7f800000, v24
	s_delay_alu instid0(VALU_DEP_1) | instskip(SKIP_1) | instid1(SALU_CYCLE_1)
	v_cmp_ne_u32_e32 vcc_lo, 0x7f800000, v7
                                        ; implicit-def: $vgpr7
	s_and_saveexec_b32 s14, vcc_lo
	s_xor_b32 s14, exec_lo, s14
; %bb.5889:                             ;   in Loop: Header=BB12_2999 Depth=2
	v_bfe_u32 v7, v24, 16, 1
	s_delay_alu instid0(VALU_DEP_1)
	v_add3_u32 v7, v24, v7, 0x7fff
                                        ; implicit-def: $vgpr24
; %bb.5890:                             ;   in Loop: Header=BB12_2999 Depth=2
	s_and_not1_saveexec_b32 s14, s14
; %bb.5891:                             ;   in Loop: Header=BB12_2999 Depth=2
	v_and_b32_e32 v7, 0xffff, v24
	v_or_b32_e32 v25, 0x10000, v24
	s_delay_alu instid0(VALU_DEP_2) | instskip(NEXT) | instid1(VALU_DEP_2)
	v_cmp_eq_u32_e32 vcc_lo, 0, v7
	v_cndmask_b32_e32 v7, v25, v24, vcc_lo
; %bb.5892:                             ;   in Loop: Header=BB12_2999 Depth=2
	s_or_b32 exec_lo, exec_lo, s14
	v_and_b32_e32 v23, 0xffff0000, v23
	s_delay_alu instid0(VALU_DEP_1) | instskip(NEXT) | instid1(VALU_DEP_1)
	v_add_f32_e32 v23, v6, v23
	v_and_b32_e32 v6, 0x7f800000, v23
	s_delay_alu instid0(VALU_DEP_1) | instskip(SKIP_1) | instid1(SALU_CYCLE_1)
	v_cmp_ne_u32_e32 vcc_lo, 0x7f800000, v6
                                        ; implicit-def: $vgpr6
	s_and_saveexec_b32 s14, vcc_lo
	s_xor_b32 s14, exec_lo, s14
; %bb.5893:                             ;   in Loop: Header=BB12_2999 Depth=2
	v_bfe_u32 v6, v23, 16, 1
	s_delay_alu instid0(VALU_DEP_1)
	v_add3_u32 v6, v23, v6, 0x7fff
                                        ; implicit-def: $vgpr23
; %bb.5894:                             ;   in Loop: Header=BB12_2999 Depth=2
	s_and_not1_saveexec_b32 s14, s14
; %bb.5895:                             ;   in Loop: Header=BB12_2999 Depth=2
	v_and_b32_e32 v6, 0xffff, v23
	v_or_b32_e32 v24, 0x10000, v23
	s_delay_alu instid0(VALU_DEP_2) | instskip(NEXT) | instid1(VALU_DEP_2)
	v_cmp_eq_u32_e32 vcc_lo, 0, v6
	v_cndmask_b32_e32 v6, v24, v23, vcc_lo
; %bb.5896:                             ;   in Loop: Header=BB12_2999 Depth=2
	s_or_b32 exec_lo, exec_lo, s14
	v_and_b32_e32 v22, 0xffff0000, v22
	s_delay_alu instid0(VALU_DEP_1) | instskip(NEXT) | instid1(VALU_DEP_1)
	v_add_f32_e32 v22, v0, v22
	v_and_b32_e32 v0, 0x7f800000, v22
	s_delay_alu instid0(VALU_DEP_1) | instskip(SKIP_1) | instid1(SALU_CYCLE_1)
	v_cmp_ne_u32_e32 vcc_lo, 0x7f800000, v0
                                        ; implicit-def: $vgpr0
	s_and_saveexec_b32 s14, vcc_lo
	s_xor_b32 s14, exec_lo, s14
; %bb.5897:                             ;   in Loop: Header=BB12_2999 Depth=2
	v_bfe_u32 v0, v22, 16, 1
	s_delay_alu instid0(VALU_DEP_1)
	v_add3_u32 v0, v22, v0, 0x7fff
                                        ; implicit-def: $vgpr22
; %bb.5898:                             ;   in Loop: Header=BB12_2999 Depth=2
	s_and_not1_saveexec_b32 s14, s14
; %bb.5899:                             ;   in Loop: Header=BB12_2999 Depth=2
	v_and_b32_e32 v0, 0xffff, v22
	v_or_b32_e32 v23, 0x10000, v22
	s_delay_alu instid0(VALU_DEP_2) | instskip(NEXT) | instid1(VALU_DEP_2)
	v_cmp_eq_u32_e32 vcc_lo, 0, v0
	v_cndmask_b32_e32 v0, v23, v22, vcc_lo
; %bb.5900:                             ;   in Loop: Header=BB12_2999 Depth=2
	s_or_b32 exec_lo, exec_lo, s14
	v_and_b32_e32 v21, 0xffff0000, v21
	s_delay_alu instid0(VALU_DEP_1) | instskip(NEXT) | instid1(VALU_DEP_1)
	v_add_f32_e32 v21, v8, v21
	v_and_b32_e32 v8, 0x7f800000, v21
	s_delay_alu instid0(VALU_DEP_1) | instskip(SKIP_1) | instid1(SALU_CYCLE_1)
	v_cmp_ne_u32_e32 vcc_lo, 0x7f800000, v8
                                        ; implicit-def: $vgpr8
	s_and_saveexec_b32 s14, vcc_lo
	s_xor_b32 s14, exec_lo, s14
; %bb.5901:                             ;   in Loop: Header=BB12_2999 Depth=2
	v_bfe_u32 v8, v21, 16, 1
	s_delay_alu instid0(VALU_DEP_1)
	v_add3_u32 v8, v21, v8, 0x7fff
                                        ; implicit-def: $vgpr21
; %bb.5902:                             ;   in Loop: Header=BB12_2999 Depth=2
	s_and_not1_saveexec_b32 s14, s14
; %bb.5903:                             ;   in Loop: Header=BB12_2999 Depth=2
	v_and_b32_e32 v8, 0xffff, v21
	v_or_b32_e32 v22, 0x10000, v21
	s_delay_alu instid0(VALU_DEP_2) | instskip(NEXT) | instid1(VALU_DEP_2)
	v_cmp_eq_u32_e32 vcc_lo, 0, v8
	v_cndmask_b32_e32 v8, v22, v21, vcc_lo
; %bb.5904:                             ;   in Loop: Header=BB12_2999 Depth=2
	s_or_b32 exec_lo, exec_lo, s14
	v_and_b32_e32 v10, 0xffff0000, v10
	s_delay_alu instid0(VALU_DEP_1) | instskip(NEXT) | instid1(VALU_DEP_1)
	v_add_f32_e32 v10, v1, v10
	v_and_b32_e32 v1, 0x7f800000, v10
	s_delay_alu instid0(VALU_DEP_1) | instskip(SKIP_1) | instid1(SALU_CYCLE_1)
	v_cmp_ne_u32_e32 vcc_lo, 0x7f800000, v1
                                        ; implicit-def: $vgpr1
	s_and_saveexec_b32 s14, vcc_lo
	s_xor_b32 s14, exec_lo, s14
; %bb.5905:                             ;   in Loop: Header=BB12_2999 Depth=2
	v_bfe_u32 v1, v10, 16, 1
	s_delay_alu instid0(VALU_DEP_1)
	v_add3_u32 v1, v10, v1, 0x7fff
                                        ; implicit-def: $vgpr10
; %bb.5906:                             ;   in Loop: Header=BB12_2999 Depth=2
	s_and_not1_saveexec_b32 s14, s14
; %bb.5907:                             ;   in Loop: Header=BB12_2999 Depth=2
	v_and_b32_e32 v1, 0xffff, v10
	v_or_b32_e32 v21, 0x10000, v10
	s_delay_alu instid0(VALU_DEP_2) | instskip(NEXT) | instid1(VALU_DEP_2)
	v_cmp_eq_u32_e32 vcc_lo, 0, v1
	v_cndmask_b32_e32 v1, v21, v10, vcc_lo
; %bb.5908:                             ;   in Loop: Header=BB12_2999 Depth=2
	s_or_b32 exec_lo, exec_lo, s14
	s_clause 0xf
	flat_store_d16_hi_b16 v[4:5], v11 th:TH_STORE_NT
	flat_store_d16_hi_b16 v[4:5], v37 offset:64 th:TH_STORE_NT
	flat_store_d16_hi_b16 v[4:5], v29 offset:128 th:TH_STORE_NT
	;; [unrolled: 1-line block ×15, first 2 shown]
.LBB12_5909:                            ;   in Loop: Header=BB12_2999 Depth=2
	s_wait_xcnt 0x0
	s_or_b32 exec_lo, exec_lo, s13
	v_lshlrev_b32_e32 v0, 10, v17
	s_delay_alu instid0(VALU_DEP_1)
	v_cmp_ne_u32_e32 vcc_lo, v123, v0
	s_and_b32 exec_lo, exec_lo, vcc_lo
	s_cbranch_execz .LBB12_5946
; %bb.5910:                             ;   in Loop: Header=BB12_2999 Depth=2
	v_lshlrev_b32_e32 v1, 5, v36
	s_delay_alu instid0(VALU_DEP_1) | instskip(NEXT) | instid1(VALU_DEP_1)
	v_sub_nc_u32_e32 v1, v16, v1
	v_ashrrev_i32_e32 v4, 31, v1
	s_delay_alu instid0(VALU_DEP_1) | instskip(NEXT) | instid1(VALU_DEP_1)
	v_lshrrev_b32_e32 v4, 27, v4
	v_add_nc_u32_e32 v4, v1, v4
	s_delay_alu instid0(VALU_DEP_1) | instskip(NEXT) | instid1(VALU_DEP_1)
	v_and_b32_e32 v5, 0x7fffffe0, v4
	v_dual_sub_nc_u32 v1, v1, v5 :: v_dual_lshlrev_b32 v4, 1, v4
	s_delay_alu instid0(VALU_DEP_1) | instskip(NEXT) | instid1(VALU_DEP_2)
	v_lshlrev_b32_e32 v1, 1, v1
	v_and_b32_e32 v4, 0xffffffc0, v4
	s_delay_alu instid0(VALU_DEP_1) | instskip(NEXT) | instid1(VALU_DEP_1)
	v_add3_u32 v1, v4, v1, v0
	v_sub_nc_u32_e32 v0, v123, v1
	s_delay_alu instid0(VALU_DEP_1)
	v_cmp_lt_i32_e32 vcc_lo, 1, v0
	s_and_b32 exec_lo, exec_lo, vcc_lo
	s_cbranch_execz .LBB12_5946
; %bb.5911:                             ;   in Loop: Header=BB12_2999 Depth=2
	s_trap 2
	scratch_load_b64 v[4:5], off, s33 offset:340 th:TH_LOAD_LU ; 8-byte Folded Reload
	ds_load_b64 v[6:7], v0
	v_add_nc_u32_e32 v8, v1, v2
	s_mov_b32 s78, 0
	s_mov_b32 s76, 0
                                        ; implicit-def: $sgpr77
	s_delay_alu instid0(VALU_DEP_1) | instskip(NEXT) | instid1(VALU_DEP_1)
	v_ashrrev_i32_e32 v9, 31, v8
	v_add_nc_u64_e32 v[10:11], v[8:9], v[72:73]
	s_wait_loadcnt 0x0
	v_add_nc_u64_e32 v[4:5], v[4:5], v[8:9]
	s_wait_dscnt 0x0
	v_add_nc_u64_e32 v[8:9], v[6:7], v[8:9]
	s_branch .LBB12_5913
.LBB12_5912:                            ;   in Loop: Header=BB12_5913 Depth=3
	s_or_b32 exec_lo, exec_lo, s13
	s_delay_alu instid0(VALU_DEP_1) | instskip(SKIP_3) | instid1(VALU_DEP_4)
	v_dual_cndmask_b32 v2, 0, v111, s78 :: v_dual_lshrrev_b32 v1, 16, v1
	v_add_nc_u64_e32 v[12:13], 64, v[104:105]
	v_add_nc_u64_e32 v[6:7], v[8:9], v[104:105]
	v_add_nc_u64_e32 v[14:15], v[10:11], v[104:105]
	v_sub_nc_u32_e32 v0, v0, v2
	flat_store_b16 v[4:5], v1 th:TH_STORE_NT
	scratch_store_b16 off, v1, s33 offset:192
	v_dual_cndmask_b32 v13, 0, v13, s78 :: v_dual_cndmask_b32 v12, 64, v12, s78
	v_cndmask_b32_e64 v9, v9, v7, s78
	v_cmp_gt_i32_e32 vcc_lo, 2, v0
	v_dual_cndmask_b32 v8, v8, v6, s78 :: v_dual_cndmask_b32 v11, v11, v15, s78
	s_wait_xcnt 0x1
	v_add_nc_u64_e32 v[4:5], v[4:5], v[12:13]
	v_cndmask_b32_e64 v10, v10, v14, s78
	s_or_b32 s76, vcc_lo, s76
	s_and_not1_b32 s13, s77, exec_lo
	s_and_b32 s14, s78, exec_lo
	s_delay_alu instid0(SALU_CYCLE_1)
	s_or_b32 s77, s13, s14
	s_wait_xcnt 0x0
	s_and_not1_b32 exec_lo, exec_lo, s76
	s_cbranch_execz .LBB12_5936
.LBB12_5913:                            ;   Parent Loop BB12_47 Depth=1
                                        ;     Parent Loop BB12_2999 Depth=2
                                        ; =>    This Loop Header: Depth=3
                                        ;         Child Loop BB12_5914 Depth 4
                                        ;         Child Loop BB12_5927 Depth 4
	s_add_co_i32 s13, s33, 0xc0
	s_mov_b64 s[40:41], 0
	s_mov_b32 s79, s13
	s_mov_b32 s88, -1
.LBB12_5914:                            ;   Parent Loop BB12_47 Depth=1
                                        ;     Parent Loop BB12_2999 Depth=2
                                        ;       Parent Loop BB12_5913 Depth=3
                                        ; =>      This Inner Loop Header: Depth=4
	s_cmp_eq_u32 s40, 1
	s_cselect_b32 vcc_lo, -1, 0
	s_cmp_eq_u32 s40, 0
	v_dual_cndmask_b32 v7, v11, v9 :: v_dual_cndmask_b32 v6, v10, v8
	s_cselect_b32 s13, -1, 0
	s_and_b32 s14, exec_lo, s88
	s_mov_b64 s[40:41], 1
	s_mov_b32 s88, 0
	flat_load_u16 v1, v[6:7] th:TH_LOAD_NT
	s_wait_xcnt 0x0
	v_add_nc_u64_e32 v[6:7], 64, v[6:7]
	s_delay_alu instid0(VALU_DEP_1)
	v_dual_cndmask_b32 v9, v9, v7 :: v_dual_cndmask_b32 v8, v8, v6
	v_dual_cndmask_b32 v11, v11, v7, s13 :: v_dual_cndmask_b32 v10, v10, v6, s13
	s_add_co_i32 s13, s33, 0xe0
	s_mov_b32 vcc_lo, s14
	s_wait_loadcnt_dscnt 0x0
	scratch_store_b16 off, v1, s79
	s_wait_xcnt 0x0
	s_mov_b32 s79, s13
	s_cbranch_vccnz .LBB12_5914
; %bb.5915:                             ;   in Loop: Header=BB12_5913 Depth=3
	s_and_saveexec_b32 s13, s78
	s_cbranch_execz .LBB12_5925
; %bb.5916:                             ;   in Loop: Header=BB12_5913 Depth=3
	s_trap 2
	scratch_load_u16 v1, off, s33 offset:188
	ds_load_b32 v2, v0
	s_wait_loadcnt_dscnt 0x0
	v_dual_lshlrev_b32 v2, 16, v2 :: v_dual_lshlrev_b32 v1, 16, v1
	s_delay_alu instid0(VALU_DEP_1) | instskip(NEXT) | instid1(VALU_DEP_1)
	v_mul_f32_e32 v1, v2, v1
	v_and_b32_e32 v2, 0x7f800000, v1
	s_delay_alu instid0(VALU_DEP_1) | instskip(SKIP_2) | instid1(SALU_CYCLE_1)
	v_cmp_ne_u32_e32 vcc_lo, 0x7f800000, v2
                                        ; implicit-def: $vgpr2
	s_wait_xcnt 0x0
	s_and_saveexec_b32 s14, vcc_lo
	s_xor_b32 s14, exec_lo, s14
; %bb.5917:                             ;   in Loop: Header=BB12_5913 Depth=3
	v_bfe_u32 v2, v1, 16, 1
	s_delay_alu instid0(VALU_DEP_1)
	v_add3_u32 v2, v1, v2, 0x7fff
                                        ; implicit-def: $vgpr1
; %bb.5918:                             ;   in Loop: Header=BB12_5913 Depth=3
	s_and_not1_saveexec_b32 s14, s14
; %bb.5919:                             ;   in Loop: Header=BB12_5913 Depth=3
	v_and_b32_e32 v2, 0xffff, v1
	v_or_b32_e32 v6, 0x10000, v1
	s_delay_alu instid0(VALU_DEP_2) | instskip(NEXT) | instid1(VALU_DEP_2)
	v_cmp_eq_u32_e32 vcc_lo, 0, v2
	v_cndmask_b32_e32 v2, v6, v1, vcc_lo
; %bb.5920:                             ;   in Loop: Header=BB12_5913 Depth=3
	s_or_b32 exec_lo, exec_lo, s14
	scratch_load_u16 v1, off, s33 offset:190
	v_and_b32_e32 v2, 0xffff0000, v2
	s_wait_loadcnt 0x0
	v_lshlrev_b32_e32 v1, 16, v1
	s_delay_alu instid0(VALU_DEP_1) | instskip(NEXT) | instid1(VALU_DEP_1)
	v_add_f32_e32 v1, v2, v1
	v_and_b32_e32 v2, 0x7f800000, v1
	s_delay_alu instid0(VALU_DEP_1) | instskip(SKIP_2) | instid1(SALU_CYCLE_1)
	v_cmp_ne_u32_e32 vcc_lo, 0x7f800000, v2
                                        ; implicit-def: $vgpr2
	s_wait_xcnt 0x0
	s_and_saveexec_b32 s14, vcc_lo
	s_xor_b32 s14, exec_lo, s14
; %bb.5921:                             ;   in Loop: Header=BB12_5913 Depth=3
	v_bfe_u32 v2, v1, 16, 1
	s_delay_alu instid0(VALU_DEP_1)
	v_add3_u32 v2, v1, v2, 0x7fff
                                        ; implicit-def: $vgpr1
; %bb.5922:                             ;   in Loop: Header=BB12_5913 Depth=3
	s_and_not1_saveexec_b32 s14, s14
; %bb.5923:                             ;   in Loop: Header=BB12_5913 Depth=3
	v_and_b32_e32 v2, 0xffff, v1
	v_or_b32_e32 v6, 0x10000, v1
	s_delay_alu instid0(VALU_DEP_2) | instskip(NEXT) | instid1(VALU_DEP_2)
	v_cmp_eq_u32_e32 vcc_lo, 0, v2
	v_cndmask_b32_e32 v2, v6, v1, vcc_lo
; %bb.5924:                             ;   in Loop: Header=BB12_5913 Depth=3
	s_or_b32 exec_lo, exec_lo, s14
	v_add_nc_u64_e32 v[6:7], 64, v[104:105]
	s_delay_alu instid0(VALU_DEP_2)
	v_lshrrev_b32_e32 v1, 16, v2
	flat_store_b16 v[4:5], v1 th:TH_STORE_NT
	s_wait_xcnt 0x0
	v_add_nc_u64_e32 v[4:5], v[4:5], v[6:7]
	scratch_store_b16 off, v1, s33 offset:188
.LBB12_5925:                            ;   in Loop: Header=BB12_5913 Depth=3
	s_wait_xcnt 0x0
	s_or_b32 exec_lo, exec_lo, s13
	v_sub_nc_u32_e32 v0, v0, v111
	v_add_nc_u64_e32 v[10:11], v[10:11], v[104:105]
	v_add_nc_u64_e32 v[8:9], v[8:9], v[104:105]
	s_delay_alu instid0(VALU_DEP_3)
	v_cmp_lt_i32_e64 s78, 1, v0
	s_and_saveexec_b32 s79, s78
	s_cbranch_execz .LBB12_5928
; %bb.5926:                             ;   in Loop: Header=BB12_5913 Depth=3
	s_add_co_i32 s13, s33, 0xbc
	s_mov_b64 s[40:41], 0
	s_mov_b32 s88, s13
	s_mov_b32 s89, -1
.LBB12_5927:                            ;   Parent Loop BB12_47 Depth=1
                                        ;     Parent Loop BB12_2999 Depth=2
                                        ;       Parent Loop BB12_5913 Depth=3
                                        ; =>      This Inner Loop Header: Depth=4
	s_cmp_eq_u32 s40, 1
	s_cselect_b32 vcc_lo, -1, 0
	s_cmp_eq_u32 s40, 0
	v_dual_cndmask_b32 v7, v11, v9 :: v_dual_cndmask_b32 v6, v10, v8
	s_cselect_b32 s13, -1, 0
	s_and_b32 s14, exec_lo, s89
	s_mov_b64 s[40:41], 1
	s_mov_b32 s89, 0
	flat_load_u16 v1, v[6:7] th:TH_LOAD_NT
	s_wait_xcnt 0x0
	v_add_nc_u64_e32 v[6:7], 64, v[6:7]
	s_delay_alu instid0(VALU_DEP_1)
	v_dual_cndmask_b32 v11, v11, v7, s13 :: v_dual_cndmask_b32 v10, v10, v6, s13
	v_dual_cndmask_b32 v9, v9, v7 :: v_dual_cndmask_b32 v8, v8, v6
	s_add_co_i32 s13, s33, 0xbe
	s_mov_b32 vcc_lo, s14
	s_wait_loadcnt_dscnt 0x0
	scratch_store_b16 off, v1, s88
	s_wait_xcnt 0x0
	s_mov_b32 s88, s13
	s_cbranch_vccnz .LBB12_5927
.LBB12_5928:                            ;   in Loop: Header=BB12_5913 Depth=3
	s_or_b32 exec_lo, exec_lo, s79
	s_trap 2
	scratch_load_u16 v1, off, s33 offset:192
	ds_load_b32 v2, v0
	s_wait_loadcnt_dscnt 0x0
	v_dual_lshlrev_b32 v2, 16, v2 :: v_dual_lshlrev_b32 v1, 16, v1
	s_delay_alu instid0(VALU_DEP_1) | instskip(NEXT) | instid1(VALU_DEP_1)
	v_mul_f32_e32 v1, v2, v1
	v_and_b32_e32 v2, 0x7f800000, v1
	s_delay_alu instid0(VALU_DEP_1) | instskip(SKIP_2) | instid1(SALU_CYCLE_1)
	v_cmp_ne_u32_e32 vcc_lo, 0x7f800000, v2
                                        ; implicit-def: $vgpr2
	s_wait_xcnt 0x0
	s_and_saveexec_b32 s13, vcc_lo
	s_xor_b32 s13, exec_lo, s13
; %bb.5929:                             ;   in Loop: Header=BB12_5913 Depth=3
	v_bfe_u32 v2, v1, 16, 1
	s_delay_alu instid0(VALU_DEP_1)
	v_add3_u32 v2, v1, v2, 0x7fff
                                        ; implicit-def: $vgpr1
; %bb.5930:                             ;   in Loop: Header=BB12_5913 Depth=3
	s_and_not1_saveexec_b32 s13, s13
; %bb.5931:                             ;   in Loop: Header=BB12_5913 Depth=3
	v_and_b32_e32 v2, 0xffff, v1
	v_or_b32_e32 v6, 0x10000, v1
	s_delay_alu instid0(VALU_DEP_2) | instskip(NEXT) | instid1(VALU_DEP_2)
	v_cmp_eq_u32_e32 vcc_lo, 0, v2
	v_cndmask_b32_e32 v2, v6, v1, vcc_lo
; %bb.5932:                             ;   in Loop: Header=BB12_5913 Depth=3
	s_or_b32 exec_lo, exec_lo, s13
	scratch_load_u16 v1, off, s33 offset:224
	v_and_b32_e32 v2, 0xffff0000, v2
	s_wait_loadcnt 0x0
	v_lshlrev_b32_e32 v1, 16, v1
	s_delay_alu instid0(VALU_DEP_1) | instskip(NEXT) | instid1(VALU_DEP_1)
	v_add_f32_e32 v2, v2, v1
	v_and_b32_e32 v1, 0x7f800000, v2
	s_delay_alu instid0(VALU_DEP_1) | instskip(SKIP_2) | instid1(SALU_CYCLE_1)
	v_cmp_ne_u32_e32 vcc_lo, 0x7f800000, v1
                                        ; implicit-def: $vgpr1
	s_wait_xcnt 0x0
	s_and_saveexec_b32 s13, vcc_lo
	s_xor_b32 s13, exec_lo, s13
; %bb.5933:                             ;   in Loop: Header=BB12_5913 Depth=3
	v_bfe_u32 v1, v2, 16, 1
	s_delay_alu instid0(VALU_DEP_1)
	v_add3_u32 v1, v2, v1, 0x7fff
                                        ; implicit-def: $vgpr2
; %bb.5934:                             ;   in Loop: Header=BB12_5913 Depth=3
	s_and_not1_saveexec_b32 s13, s13
	s_cbranch_execz .LBB12_5912
; %bb.5935:                             ;   in Loop: Header=BB12_5913 Depth=3
	v_and_b32_e32 v1, 0xffff, v2
	v_or_b32_e32 v6, 0x10000, v2
	s_delay_alu instid0(VALU_DEP_2) | instskip(NEXT) | instid1(VALU_DEP_2)
	v_cmp_eq_u32_e32 vcc_lo, 0, v1
	v_cndmask_b32_e32 v1, v6, v2, vcc_lo
	s_branch .LBB12_5912
.LBB12_5936:                            ;   in Loop: Header=BB12_2999 Depth=2
	s_or_b32 exec_lo, exec_lo, s76
	s_delay_alu instid0(SALU_CYCLE_1)
	s_and_b32 exec_lo, exec_lo, s77
	s_cbranch_execz .LBB12_5946
; %bb.5937:                             ;   in Loop: Header=BB12_2999 Depth=2
	s_trap 2
	scratch_load_u16 v0, off, s33 offset:188
	s_wait_loadcnt 0x0
	ds_load_b32 v1, v0
	s_wait_dscnt 0x0
	v_dual_lshlrev_b32 v0, 16, v0 :: v_dual_lshlrev_b32 v1, 16, v1
	s_delay_alu instid0(VALU_DEP_1) | instskip(NEXT) | instid1(VALU_DEP_1)
	v_mul_f32_e32 v0, v1, v0
	v_and_b32_e32 v1, 0x7f800000, v0
	s_delay_alu instid0(VALU_DEP_1) | instskip(SKIP_2) | instid1(SALU_CYCLE_1)
	v_cmp_ne_u32_e32 vcc_lo, 0x7f800000, v1
                                        ; implicit-def: $vgpr1
	s_wait_xcnt 0x0
	s_and_saveexec_b32 s13, vcc_lo
	s_xor_b32 s13, exec_lo, s13
; %bb.5938:                             ;   in Loop: Header=BB12_2999 Depth=2
	v_bfe_u32 v1, v0, 16, 1
	s_delay_alu instid0(VALU_DEP_1)
	v_add3_u32 v1, v0, v1, 0x7fff
                                        ; implicit-def: $vgpr0
; %bb.5939:                             ;   in Loop: Header=BB12_2999 Depth=2
	s_and_not1_saveexec_b32 s13, s13
; %bb.5940:                             ;   in Loop: Header=BB12_2999 Depth=2
	v_and_b32_e32 v1, 0xffff, v0
	v_or_b32_e32 v2, 0x10000, v0
	s_delay_alu instid0(VALU_DEP_2) | instskip(NEXT) | instid1(VALU_DEP_2)
	v_cmp_eq_u32_e32 vcc_lo, 0, v1
	v_cndmask_b32_e32 v1, v2, v0, vcc_lo
; %bb.5941:                             ;   in Loop: Header=BB12_2999 Depth=2
	s_or_b32 exec_lo, exec_lo, s13
	scratch_load_u16 v0, off, s33 offset:190
	v_and_b32_e32 v1, 0xffff0000, v1
	s_wait_loadcnt 0x0
	v_lshlrev_b32_e32 v0, 16, v0
	s_delay_alu instid0(VALU_DEP_1) | instskip(NEXT) | instid1(VALU_DEP_1)
	v_add_f32_e32 v0, v1, v0
	v_and_b32_e32 v1, 0x7f800000, v0
	s_delay_alu instid0(VALU_DEP_1) | instskip(SKIP_2) | instid1(SALU_CYCLE_1)
	v_cmp_ne_u32_e32 vcc_lo, 0x7f800000, v1
                                        ; implicit-def: $vgpr1
	s_wait_xcnt 0x0
	s_and_saveexec_b32 s13, vcc_lo
	s_xor_b32 s13, exec_lo, s13
; %bb.5942:                             ;   in Loop: Header=BB12_2999 Depth=2
	v_bfe_u32 v1, v0, 16, 1
	s_delay_alu instid0(VALU_DEP_1)
	v_add3_u32 v1, v0, v1, 0x7fff
                                        ; implicit-def: $vgpr0
; %bb.5943:                             ;   in Loop: Header=BB12_2999 Depth=2
	s_and_not1_saveexec_b32 s13, s13
; %bb.5944:                             ;   in Loop: Header=BB12_2999 Depth=2
	v_and_b32_e32 v1, 0xffff, v0
	v_or_b32_e32 v2, 0x10000, v0
	s_delay_alu instid0(VALU_DEP_2) | instskip(NEXT) | instid1(VALU_DEP_2)
	v_cmp_eq_u32_e32 vcc_lo, 0, v1
	v_cndmask_b32_e32 v1, v2, v0, vcc_lo
; %bb.5945:                             ;   in Loop: Header=BB12_2999 Depth=2
	s_or_b32 exec_lo, exec_lo, s13
	flat_store_d16_hi_b16 v[4:5], v1 th:TH_STORE_NT
.LBB12_5946:                            ;   in Loop: Header=BB12_2999 Depth=2
	s_wait_xcnt 0x0
	s_or_b32 exec_lo, exec_lo, s15
	v_cmp_lt_i32_e64 s13, 0, v110
	s_and_saveexec_b32 s14, s2
	s_cbranch_execz .LBB12_5965
.LBB12_5947:                            ;   in Loop: Header=BB12_2999 Depth=2
	s_and_saveexec_b32 s15, s3
	s_delay_alu instid0(SALU_CYCLE_1)
	s_xor_b32 s15, exec_lo, s15
	s_cbranch_execz .LBB12_5962
; %bb.5948:                             ;   in Loop: Header=BB12_2999 Depth=2
	s_and_saveexec_b32 s40, s6
	s_cbranch_execz .LBB12_5961
; %bb.5949:                             ;   in Loop: Header=BB12_2999 Depth=2
	s_mov_b32 s76, exec_lo
	s_mov_b32 s41, exec_lo
	s_wait_loadcnt 0x1
	v_mbcnt_lo_u32_b32 v0, s76, 0
	global_wb scope:SCOPE_DEV
	s_wait_storecnt 0x0
	s_wait_loadcnt_dscnt 0x0
	global_inv scope:SCOPE_DEV
	v_cmpx_eq_u32_e32 0, v0
	s_cbranch_execz .LBB12_5951
; %bb.5950:                             ;   in Loop: Header=BB12_2999 Depth=2
	s_bcnt1_i32_b32 s76, s76
	s_delay_alu instid0(SALU_CYCLE_1)
	v_mov_b32_e32 v2, s76
	s_wait_loadcnt 0x0
	ds_add_u64 v0, v[2:3]
	s_trap 2
.LBB12_5951:                            ;   in Loop: Header=BB12_2999 Depth=2
	s_or_b32 exec_lo, exec_lo, s41
	s_trap 2
	ds_load_b64 v[0:1], v0
	s_wait_dscnt 0x0
	v_add_nc_u64_e32 v[56:57], v[56:57], v[60:61]
	s_mov_b32 s41, exec_lo
	s_delay_alu instid0(VALU_DEP_1)
	v_cmpx_lt_u64_e64 v[0:1], v[56:57]
	s_cbranch_execz .LBB12_5960
; %bb.5952:                             ;   in Loop: Header=BB12_2999 Depth=2
	s_mov_b32 s76, 0
	s_mov_b32 s79, 0
                                        ; implicit-def: $sgpr77
                                        ; implicit-def: $sgpr78
	s_branch .LBB12_5954
.LBB12_5953:                            ;   in Loop: Header=BB12_5954 Depth=3
	s_or_b32 exec_lo, exec_lo, s89
	s_delay_alu instid0(SALU_CYCLE_1) | instskip(NEXT) | instid1(SALU_CYCLE_1)
	s_and_b32 s88, exec_lo, s90
	s_or_b32 s76, s88, s76
	s_and_not1_b32 s77, s77, exec_lo
	s_and_b32 s88, s78, exec_lo
	s_delay_alu instid0(SALU_CYCLE_1)
	s_or_b32 s77, s77, s88
	s_and_not1_b32 exec_lo, exec_lo, s76
	s_cbranch_execz .LBB12_5958
.LBB12_5954:                            ;   Parent Loop BB12_47 Depth=1
                                        ;     Parent Loop BB12_2999 Depth=2
                                        ; =>    This Inner Loop Header: Depth=3
	s_add_co_i32 s79, s79, 1
	s_delay_alu instid0(SALU_CYCLE_1) | instskip(SKIP_1) | instid1(SALU_CYCLE_1)
	s_cmp_lg_u32 s79, 0x2710
	s_cselect_b32 s88, -1, 0
	s_and_b32 vcc_lo, exec_lo, s88
	s_cbranch_vccz .LBB12_5956
; %bb.5955:                             ;   in Loop: Header=BB12_5954 Depth=3
	s_mov_b32 s90, -1
	s_or_b32 s78, s78, exec_lo
	s_and_saveexec_b32 s89, s88
	s_cbranch_execz .LBB12_5953
	s_branch .LBB12_5957
.LBB12_5956:                            ;   in Loop: Header=BB12_5954 Depth=3
	s_trap 2
	ds_load_b64 v[0:1], v0
	s_and_not1_b32 s88, s88, exec_lo
	s_mov_b32 s79, 0
	s_wait_loadcnt_dscnt 0x0
	flat_load_b32 v0, v[0:1] scope:SCOPE_SYS
	s_wait_loadcnt_dscnt 0x0
	global_inv scope:SCOPE_SYS
	v_cmp_eq_u32_e32 vcc_lo, 0, v0
	s_and_b32 s89, vcc_lo, exec_lo
	s_delay_alu instid0(SALU_CYCLE_1)
	s_or_b32 s88, s88, s89
	s_mov_b32 s90, -1
	s_or_b32 s78, s78, exec_lo
	s_wait_xcnt 0x0
	s_and_saveexec_b32 s89, s88
	s_cbranch_execz .LBB12_5953
.LBB12_5957:                            ;   in Loop: Header=BB12_5954 Depth=3
	s_sleep 1
	s_trap 2
	ds_load_b64 v[0:1], v0
	s_wait_dscnt 0x0
	s_and_not1_b32 s78, s78, exec_lo
	v_cmp_ge_u64_e32 vcc_lo, v[0:1], v[56:57]
	s_or_not1_b32 s90, vcc_lo, exec_lo
	s_branch .LBB12_5953
.LBB12_5958:                            ;   in Loop: Header=BB12_2999 Depth=2
	s_or_b32 exec_lo, exec_lo, s76
	s_and_saveexec_b32 s76, s77
	s_delay_alu instid0(SALU_CYCLE_1)
	s_xor_b32 s76, exec_lo, s76
	s_cbranch_execz .LBB12_5960
; %bb.5959:                             ;   in Loop: Header=BB12_2999 Depth=2
	v_mov_b32_e32 v0, 1
	ds_store_b32 v0, v0
	s_trap 2
.LBB12_5960:                            ;   in Loop: Header=BB12_2999 Depth=2
	s_or_b32 exec_lo, exec_lo, s41
	;;#ASMSTART
	s_wakeup
	;;#ASMEND
.LBB12_5961:                            ;   in Loop: Header=BB12_2999 Depth=2
	s_or_b32 exec_lo, exec_lo, s40
.LBB12_5962:                            ;   in Loop: Header=BB12_2999 Depth=2
	s_and_not1_saveexec_b32 s15, s15
	s_cbranch_execz .LBB12_5964
; %bb.5963:                             ;   in Loop: Header=BB12_2999 Depth=2
	global_wb scope:SCOPE_DEV
	s_wait_storecnt 0x0
	s_wait_loadcnt_dscnt 0x0
	global_inv scope:SCOPE_DEV
	s_barrier_signal -1
	s_barrier_wait -1
.LBB12_5964:                            ;   in Loop: Header=BB12_2999 Depth=2
	s_or_b32 exec_lo, exec_lo, s15
.LBB12_5965:                            ;   in Loop: Header=BB12_2999 Depth=2
	s_delay_alu instid0(SALU_CYCLE_1) | instskip(SKIP_3) | instid1(SALU_CYCLE_1)
	s_or_b32 exec_lo, exec_lo, s14
	s_wait_loadcnt 0x1
	v_and_b32_e32 v0, 16, v126
	s_and_saveexec_b32 s14, s12
	s_xor_b32 s14, exec_lo, s14
	s_cbranch_execz .LBB12_5969
; %bb.5966:                             ;   in Loop: Header=BB12_2999 Depth=2
	v_and_b32_e32 v0, 16, v126
	s_delay_alu instid0(VALU_DEP_1) | instskip(SKIP_2) | instid1(SALU_CYCLE_1)
	v_cmp_ne_u32_e32 vcc_lo, 0, v0
	v_and_b32_e32 v0, 16, v126
	s_and_b32 s15, vcc_lo, s13
	s_and_saveexec_b32 s13, s15
	s_cbranch_execz .LBB12_5968
; %bb.5967:                             ;   in Loop: Header=BB12_2999 Depth=2
	v_mov_b32_e32 v0, 1
	global_wb scope:SCOPE_SYS
	s_wait_storecnt 0x0
	s_wait_loadcnt_dscnt 0x0
	global_inv scope:SCOPE_SYS
.LBB12_5968:                            ;   in Loop: Header=BB12_2999 Depth=2
	s_or_b32 exec_lo, exec_lo, s13
.LBB12_5969:                            ;   in Loop: Header=BB12_2999 Depth=2
	s_and_not1_saveexec_b32 s13, s14
	s_cbranch_execz .LBB12_5988
; %bb.5970:                             ;   in Loop: Header=BB12_2999 Depth=2
	s_and_saveexec_b32 s14, s3
	s_delay_alu instid0(SALU_CYCLE_1)
	s_xor_b32 s14, exec_lo, s14
	s_cbranch_execz .LBB12_5985
; %bb.5971:                             ;   in Loop: Header=BB12_2999 Depth=2
	s_and_saveexec_b32 s15, s6
	s_cbranch_execz .LBB12_5984
; %bb.5972:                             ;   in Loop: Header=BB12_2999 Depth=2
	s_mov_b32 s41, exec_lo
	s_mov_b32 s40, exec_lo
	v_mbcnt_lo_u32_b32 v1, s41, 0
	;;#ASMSTART
	s_waitcnt lgkmcnt(0) vmcnt(0)
	;;#ASMEND
	s_delay_alu instid0(VALU_DEP_1)
	v_cmpx_eq_u32_e32 0, v1
	s_cbranch_execz .LBB12_5974
; %bb.5973:                             ;   in Loop: Header=BB12_2999 Depth=2
	s_bcnt1_i32_b32 s41, s41
	s_delay_alu instid0(SALU_CYCLE_1)
	v_mov_b32_e32 v2, s41
	s_wait_storecnt 0x0
	s_wait_loadcnt_dscnt 0x0
	ds_add_u64 v0, v[2:3]
	s_trap 2
.LBB12_5974:                            ;   in Loop: Header=BB12_2999 Depth=2
	s_or_b32 exec_lo, exec_lo, s40
	s_trap 2
	ds_load_b64 v[4:5], v0
	s_wait_dscnt 0x0
	v_add_nc_u64_e32 v[56:57], v[56:57], v[60:61]
	s_mov_b32 s40, exec_lo
	s_delay_alu instid0(VALU_DEP_1)
	v_cmpx_lt_u64_e64 v[4:5], v[56:57]
	s_cbranch_execz .LBB12_5983
; %bb.5975:                             ;   in Loop: Header=BB12_2999 Depth=2
	s_mov_b32 s41, 0
	s_mov_b32 s78, 0
                                        ; implicit-def: $sgpr76
                                        ; implicit-def: $sgpr77
	s_branch .LBB12_5977
.LBB12_5976:                            ;   in Loop: Header=BB12_5977 Depth=3
	s_or_b32 exec_lo, exec_lo, s88
	s_delay_alu instid0(SALU_CYCLE_1) | instskip(NEXT) | instid1(SALU_CYCLE_1)
	s_and_b32 s79, exec_lo, s89
	s_or_b32 s41, s79, s41
	s_and_not1_b32 s76, s76, exec_lo
	s_and_b32 s79, s77, exec_lo
	s_delay_alu instid0(SALU_CYCLE_1)
	s_or_b32 s76, s76, s79
	s_and_not1_b32 exec_lo, exec_lo, s41
	s_cbranch_execz .LBB12_5981
.LBB12_5977:                            ;   Parent Loop BB12_47 Depth=1
                                        ;     Parent Loop BB12_2999 Depth=2
                                        ; =>    This Inner Loop Header: Depth=3
	s_add_co_i32 s78, s78, 1
	s_delay_alu instid0(SALU_CYCLE_1) | instskip(SKIP_1) | instid1(SALU_CYCLE_1)
	s_cmp_lg_u32 s78, 0x2710
	s_cselect_b32 s79, -1, 0
	s_and_b32 vcc_lo, exec_lo, s79
	s_cbranch_vccz .LBB12_5979
; %bb.5978:                             ;   in Loop: Header=BB12_5977 Depth=3
	s_mov_b32 s89, -1
	s_or_b32 s77, s77, exec_lo
	s_and_saveexec_b32 s88, s79
	s_cbranch_execz .LBB12_5976
	s_branch .LBB12_5980
.LBB12_5979:                            ;   in Loop: Header=BB12_5977 Depth=3
	s_trap 2
	ds_load_b64 v[4:5], v0
	s_and_not1_b32 s79, s79, exec_lo
	s_mov_b32 s78, 0
	s_wait_storecnt 0x0
	s_wait_loadcnt_dscnt 0x0
	flat_load_b32 v1, v[4:5] scope:SCOPE_SYS
	s_wait_loadcnt_dscnt 0x0
	global_inv scope:SCOPE_SYS
	v_cmp_eq_u32_e32 vcc_lo, 0, v1
	s_and_b32 s88, vcc_lo, exec_lo
	s_delay_alu instid0(SALU_CYCLE_1)
	s_or_b32 s79, s79, s88
	s_mov_b32 s89, -1
	s_or_b32 s77, s77, exec_lo
	s_wait_xcnt 0x0
	s_and_saveexec_b32 s88, s79
	s_cbranch_execz .LBB12_5976
.LBB12_5980:                            ;   in Loop: Header=BB12_5977 Depth=3
	s_sleep 1
	s_trap 2
	ds_load_b64 v[4:5], v0
	s_wait_dscnt 0x0
	s_and_not1_b32 s77, s77, exec_lo
	v_cmp_ge_u64_e32 vcc_lo, v[4:5], v[56:57]
	s_or_not1_b32 s89, vcc_lo, exec_lo
	s_branch .LBB12_5976
.LBB12_5981:                            ;   in Loop: Header=BB12_2999 Depth=2
	s_or_b32 exec_lo, exec_lo, s41
	s_and_saveexec_b32 s41, s76
	s_delay_alu instid0(SALU_CYCLE_1)
	s_xor_b32 s41, exec_lo, s41
	s_cbranch_execz .LBB12_5983
; %bb.5982:                             ;   in Loop: Header=BB12_2999 Depth=2
	v_mov_b32_e32 v1, 1
	ds_store_b32 v0, v1
	s_trap 2
.LBB12_5983:                            ;   in Loop: Header=BB12_2999 Depth=2
	s_or_b32 exec_lo, exec_lo, s40
	;;#ASMSTART
	s_wakeup
	;;#ASMEND
.LBB12_5984:                            ;   in Loop: Header=BB12_2999 Depth=2
	s_or_b32 exec_lo, exec_lo, s15
.LBB12_5985:                            ;   in Loop: Header=BB12_2999 Depth=2
	s_and_not1_saveexec_b32 s14, s14
	s_cbranch_execz .LBB12_5987
; %bb.5986:                             ;   in Loop: Header=BB12_2999 Depth=2
	;;#ASMSTART
	s_waitcnt lgkmcnt(0) vmcnt(0)
	;;#ASMEND
	s_barrier_signal -1
	s_barrier_wait -1
.LBB12_5987:                            ;   in Loop: Header=BB12_2999 Depth=2
	s_or_b32 exec_lo, exec_lo, s14
.LBB12_5988:                            ;   in Loop: Header=BB12_2999 Depth=2
	s_delay_alu instid0(SALU_CYCLE_1) | instskip(SKIP_2) | instid1(SALU_CYCLE_1)
	s_or_b32 exec_lo, exec_lo, s13
	v_cmp_ne_u32_e32 vcc_lo, 0, v0
	s_xor_b32 s13, s4, -1
	s_and_b32 s14, vcc_lo, s13
	s_delay_alu instid0(SALU_CYCLE_1)
	s_and_saveexec_b32 s13, s14
	s_cbranch_execz .LBB12_5990
; %bb.5989:                             ;   in Loop: Header=BB12_2999 Depth=2
	scratch_load_b64 v[0:1], off, s33 offset:304 ; 8-byte Folded Reload
	v_mov_b32_e32 v2, 1
	global_wb scope:SCOPE_SYS
	s_wait_storecnt 0x0
	s_wait_xcnt 0x0
	s_wait_loadcnt_dscnt 0x0
	flat_store_b32 v[0:1], v2 scope:SCOPE_SYS
.LBB12_5990:                            ;   in Loop: Header=BB12_2999 Depth=2
	s_wait_xcnt 0x0
	s_or_b32 exec_lo, exec_lo, s13
	v_and_b32_e32 v0, 48, v126
	s_mov_b32 s13, exec_lo
	s_delay_alu instid0(VALU_DEP_1)
	v_cmpx_ne_u32_e32 0, v0
	s_cbranch_execz .LBB12_2998
; %bb.5991:                             ;   in Loop: Header=BB12_2999 Depth=2
	v_add_nc_u64_e32 v[116:117], 2, v[116:117]
	global_wb scope:SCOPE_SYS
	s_wait_storecnt 0x0
	s_wait_loadcnt_dscnt 0x0
	flat_store_b64 v[40:41], v[116:117] scope:SCOPE_SYS
	s_branch .LBB12_2998
.LBB12_5992:                            ;   in Loop: Header=BB12_47 Depth=1
	s_or_b32 exec_lo, exec_lo, s27
.LBB12_5993:                            ;   in Loop: Header=BB12_47 Depth=1
	s_delay_alu instid0(SALU_CYCLE_1) | instskip(NEXT) | instid1(SALU_CYCLE_1)
	s_or_b32 exec_lo, exec_lo, s18
	s_mov_b32 s14, exec_lo
	v_cmpx_gt_i32_e32 2, v0
	s_cbranch_execz .LBB12_6069
; %bb.5994:                             ;   in Loop: Header=BB12_47 Depth=1
	v_cmp_eq_u32_e64 s18, 0, v0
	s_mov_b32 s15, 0
	s_branch .LBB12_5996
.LBB12_5995:                            ;   in Loop: Header=BB12_5996 Depth=2
	s_wait_xcnt 0x0
	s_or_b32 exec_lo, exec_lo, s13
	v_add_nc_u32_e32 v74, v28, v74
	s_mov_b32 s18, 0
	s_and_not1_b32 exec_lo, exec_lo, s15
	s_cbranch_execz .LBB12_6068
.LBB12_5996:                            ;   Parent Loop BB12_47 Depth=1
                                        ; =>  This Loop Header: Depth=2
                                        ;       Child Loop BB12_6002 Depth 3
                                        ;       Child Loop BB12_6030 Depth 3
	;; [unrolled: 1-line block ×3, first 2 shown]
	s_delay_alu instid0(VALU_DEP_1) | instskip(SKIP_2) | instid1(VALU_DEP_2)
	v_sub_nc_u32_e32 v0, v91, v74
	v_and_b32_e32 v1, 12, v126
	s_mov_b32 s27, exec_lo
	v_min_i32_e32 v28, v28, v0
	s_delay_alu instid0(VALU_DEP_2)
	v_cmpx_ne_u32_e32 0, v1
	s_cbranch_execz .LBB12_6022
; %bb.5997:                             ;   in Loop: Header=BB12_5996 Depth=2
	v_and_b32_e32 v2, 8, v126
	v_add_nc_u64_e32 v[4:5], 2, v[116:117]
	s_mov_b32 s40, exec_lo
	s_wait_dscnt 0x1
	s_delay_alu instid0(VALU_DEP_2) | instskip(NEXT) | instid1(VALU_DEP_1)
	v_add_nc_u64_e32 v[0:1], v[58:59], v[2:3]
	v_cmpx_lt_u64_e64 v[0:1], v[4:5]
	s_cbranch_execz .LBB12_6009
; %bb.5998:                             ;   in Loop: Header=BB12_5996 Depth=2
	v_and_b32_e32 v0, 64, v126
	s_mov_b32 s41, 0
	s_mov_b32 s77, 0
                                        ; implicit-def: $sgpr74
                                        ; implicit-def: $sgpr75
                                        ; implicit-def: $sgpr76
	s_delay_alu instid0(VALU_DEP_1)
	v_cmp_eq_u32_e32 vcc_lo, 0, v0
	s_branch .LBB12_6002
.LBB12_5999:                            ;   in Loop: Header=BB12_6002 Depth=3
	s_wait_loadcnt_dscnt 0x0
	v_add_nc_u64_e32 v[6:7], v[58:59], v[2:3]
	s_or_b32 s88, s88, exec_lo
	s_delay_alu instid0(VALU_DEP_1)
	v_cmp_ge_u64_e64 s13, v[6:7], v[4:5]
	s_or_not1_b32 s79, s13, exec_lo
.LBB12_6000:                            ;   in Loop: Header=BB12_6002 Depth=3
	s_or_b32 exec_lo, exec_lo, s90
	s_delay_alu instid0(SALU_CYCLE_1)
	s_and_not1_b32 s13, s76, exec_lo
	s_and_b32 s76, s88, exec_lo
	s_and_not1_b32 s75, s75, exec_lo
	s_and_b32 s79, s79, exec_lo
	s_or_b32 s76, s13, s76
	s_or_b32 s75, s75, s79
.LBB12_6001:                            ;   in Loop: Header=BB12_6002 Depth=3
	s_or_b32 exec_lo, exec_lo, s78
	s_delay_alu instid0(SALU_CYCLE_1) | instskip(NEXT) | instid1(SALU_CYCLE_1)
	s_and_b32 s13, exec_lo, s75
	s_or_b32 s41, s13, s41
	s_and_not1_b32 s13, s74, exec_lo
	s_and_b32 s74, s76, exec_lo
	s_delay_alu instid0(SALU_CYCLE_1)
	s_or_b32 s74, s13, s74
	s_and_not1_b32 exec_lo, exec_lo, s41
	s_cbranch_execz .LBB12_6006
.LBB12_6002:                            ;   Parent Loop BB12_47 Depth=1
                                        ;     Parent Loop BB12_5996 Depth=2
                                        ; =>    This Inner Loop Header: Depth=3
	s_sleep 1
	s_wait_loadcnt_dscnt 0x0
	flat_load_b64 v[58:59], v[40:41] scope:SCOPE_SYS
	s_or_b32 s76, s76, exec_lo
	s_or_b32 s75, s75, exec_lo
                                        ; implicit-def: $vgpr0
	s_wait_xcnt 0x0
	s_and_saveexec_b32 s78, vcc_lo
	s_cbranch_execz .LBB12_6001
; %bb.6003:                             ;   in Loop: Header=BB12_6002 Depth=3
	s_cmp_lt_i32 s77, 0x270f
	s_mov_b32 s79, -1
	s_cselect_b32 s89, -1, 0
	s_cmp_gt_i32 s77, 0x270e
	s_cbranch_scc0 .LBB12_6005
; %bb.6004:                             ;   in Loop: Header=BB12_6002 Depth=3
	s_trap 2
	ds_load_b64 v[0:1], v0
	s_and_not1_b32 s77, s89, exec_lo
	s_mov_b32 s88, 0
	s_wait_storecnt 0x0
	s_wait_loadcnt_dscnt 0x0
	flat_load_b32 v0, v[0:1] scope:SCOPE_SYS
	s_wait_loadcnt_dscnt 0x0
	global_inv scope:SCOPE_SYS
	v_cmp_eq_u32_e64 s13, 0, v0
	s_and_b32 s13, s13, exec_lo
	s_delay_alu instid0(SALU_CYCLE_1)
	s_or_b32 s89, s77, s13
	s_mov_b32 s77, 0
	s_wait_xcnt 0x0
	s_and_saveexec_b32 s90, s89
	s_cbranch_execz .LBB12_6000
	s_branch .LBB12_5999
.LBB12_6005:                            ;   in Loop: Header=BB12_6002 Depth=3
	s_add_co_i32 s77, s77, 1
	s_mov_b32 s88, -1
                                        ; implicit-def: $vgpr0
	s_and_saveexec_b32 s90, s89
	s_cbranch_execz .LBB12_6000
	s_branch .LBB12_5999
.LBB12_6006:                            ;   in Loop: Header=BB12_5996 Depth=2
	s_or_b32 exec_lo, exec_lo, s41
	s_xor_b32 s13, s74, -1
	s_delay_alu instid0(SALU_CYCLE_1) | instskip(NEXT) | instid1(SALU_CYCLE_1)
	s_and_saveexec_b32 s41, s13
	s_xor_b32 s13, exec_lo, s41
	s_cbranch_execz .LBB12_6008
; %bb.6007:                             ;   in Loop: Header=BB12_5996 Depth=2
	v_or_b32_e32 v126, 64, v126
	s_wait_storecnt 0x0
	s_wait_loadcnt_dscnt 0x0
	ds_store_b32 v0, v0
	s_trap 2
.LBB12_6008:                            ;   in Loop: Header=BB12_5996 Depth=2
	s_or_b32 exec_lo, exec_lo, s13
.LBB12_6009:                            ;   in Loop: Header=BB12_5996 Depth=2
	s_delay_alu instid0(SALU_CYCLE_1) | instskip(SKIP_4) | instid1(VALU_DEP_2)
	s_or_b32 exec_lo, exec_lo, s40
	v_and_b32_e32 v0, 0x108, v126
	v_and_b32_e32 v8, 7, v116
	s_mov_b32 s13, exec_lo
	;;#ASMSTART
	s_wakeup
	;;#ASMEND
	v_cmpx_ne_u32_e32 0x108, v0
	s_xor_b32 s13, exec_lo, s13
; %bb.6010:                             ;   in Loop: Header=BB12_5996 Depth=2
	v_mov_b32_e32 v9, v3
; %bb.6011:                             ;   in Loop: Header=BB12_5996 Depth=2
	s_and_not1_saveexec_b32 s13, s13
	s_cbranch_execz .LBB12_6013
; %bb.6012:                             ;   in Loop: Header=BB12_5996 Depth=2
	scratch_load_b128 v[10:13], off, s33 offset:288 ; 16-byte Folded Reload
	v_dual_ashrrev_i32 v29, 31, v28 :: v_dual_mov_b32 v9, v3
	s_delay_alu instid0(VALU_DEP_1)
	v_lshlrev_b64_e32 v[6:7], 1, v[28:29]
	s_wait_loadcnt 0x0
	v_mad_nc_u64_u32 v[0:1], v8, 24, v[10:11]
	flat_store_b64 v[0:1], v[6:7] offset:8
.LBB12_6013:                            ;   in Loop: Header=BB12_5996 Depth=2
	s_wait_xcnt 0x0
	s_or_b32 exec_lo, exec_lo, s13
	v_and_b32_e32 v0, 0x100, v126
	s_mov_b32 s13, -1
	s_mov_b32 s40, exec_lo
                                        ; implicit-def: $vgpr10_vgpr11
	s_delay_alu instid0(VALU_DEP_1)
	v_cmpx_ne_u32_e32 0, v0
	s_cbranch_execz .LBB12_6017
; %bb.6014:                             ;   in Loop: Header=BB12_5996 Depth=2
	scratch_load_b128 v[10:13], off, s33 offset:288 ; 16-byte Folded Reload
	s_mov_b32 s41, exec_lo
	s_wait_loadcnt 0x0
	v_mad_nc_u64_u32 v[12:13], v8, 24, v[10:11]
                                        ; implicit-def: $vgpr10_vgpr11
	s_delay_alu instid0(VALU_DEP_1)
	v_mad_u32 v13, v9, 24, v13
	flat_load_b32 v0, v[12:13]
	s_wait_loadcnt_dscnt 0x0
	v_cmp_ne_u32_e32 vcc_lo, 1, v0
	s_wait_xcnt 0x0
	v_cmpx_eq_u32_e32 1, v0
	s_cbranch_execz .LBB12_6016
; %bb.6015:                             ;   in Loop: Header=BB12_5996 Depth=2
	flat_load_b32 v0, v[12:13] offset:4 scope:SCOPE_SYS
	s_wait_loadcnt_dscnt 0x0
	v_ashrrev_i32_e32 v1, 31, v0
	s_delay_alu instid0(VALU_DEP_1)
	v_lshrrev_b64 v[10:11], 1, v[0:1]
.LBB12_6016:                            ;   in Loop: Header=BB12_5996 Depth=2
	s_wait_xcnt 0x0
	s_or_b32 exec_lo, exec_lo, s41
	s_delay_alu instid0(SALU_CYCLE_1)
	s_or_not1_b32 s13, vcc_lo, exec_lo
.LBB12_6017:                            ;   in Loop: Header=BB12_5996 Depth=2
	s_or_b32 exec_lo, exec_lo, s40
	s_and_saveexec_b32 s40, s13
	s_cbranch_execz .LBB12_6019
; %bb.6018:                             ;   in Loop: Header=BB12_5996 Depth=2
	scratch_load_b64 v[0:1], off, s33 offset:312 ; 8-byte Folded Reload
	s_wait_loadcnt 0x0
	v_mul_u64_e32 v[10:11], v[8:9], v[0:1]
.LBB12_6019:                            ;   in Loop: Header=BB12_5996 Depth=2
	s_wait_xcnt 0x0
	s_or_b32 exec_lo, exec_lo, s40
	v_cmp_eq_u32_e32 vcc_lo, 0, v2
	v_mov_b32_e32 v0, 0x90
	v_and_b32_e32 v6, 0x2000, v126
	s_mov_b32 s13, exec_lo
	s_delay_alu instid0(VALU_DEP_2) | instskip(SKIP_3) | instid1(VALU_DEP_1)
	v_cndmask_b32_e32 v2, 0xd0, v0, vcc_lo
	scratch_load_b64 v[0:1], off, s33 offset:280 ; 8-byte Folded Reload
	s_wait_loadcnt 0x0
	v_lshl_add_u64 v[0:1], v[10:11], 1, v[0:1]
	v_add_nc_u32_e32 v2, v0, v2
	ds_store_b64 v2, v[0:1] offset:584
	s_wait_xcnt 0x0
	v_cmpx_ne_u32_e32 0, v6
	s_cbranch_execz .LBB12_6021
; %bb.6020:                             ;   in Loop: Header=BB12_5996 Depth=2
	ds_load_b64 v[0:1], v0 offset:872
	s_wait_dscnt 0x0
	v_add_nc_u64_e32 v[0:1], 1, v[0:1]
	ds_store_b64 v0, v[0:1] offset:872
.LBB12_6021:                            ;   in Loop: Header=BB12_5996 Depth=2
	s_or_b32 exec_lo, exec_lo, s13
	v_mov_b64_e32 v[116:117], v[4:5]
.LBB12_6022:                            ;   in Loop: Header=BB12_5996 Depth=2
	s_or_b32 exec_lo, exec_lo, s27
	s_xor_b32 s13, s18, -1
	s_delay_alu instid0(SALU_CYCLE_1) | instskip(NEXT) | instid1(SALU_CYCLE_1)
	s_and_b32 s13, exec_lo, s13
	s_or_b32 s15, s13, s15
	s_and_saveexec_b32 s13, s2
	s_cbranch_execz .LBB12_6041
; %bb.6023:                             ;   in Loop: Header=BB12_5996 Depth=2
	s_and_saveexec_b32 s18, s3
	s_delay_alu instid0(SALU_CYCLE_1)
	s_xor_b32 s18, exec_lo, s18
	s_cbranch_execz .LBB12_6038
; %bb.6024:                             ;   in Loop: Header=BB12_5996 Depth=2
	s_and_saveexec_b32 s27, s6
	s_cbranch_execz .LBB12_6037
; %bb.6025:                             ;   in Loop: Header=BB12_5996 Depth=2
	s_mov_b32 s41, exec_lo
	s_mov_b32 s40, exec_lo
	v_mbcnt_lo_u32_b32 v0, s41, 0
	global_wb scope:SCOPE_DEV
	s_wait_storecnt 0x0
	s_wait_loadcnt_dscnt 0x0
	global_inv scope:SCOPE_DEV
	v_cmpx_eq_u32_e32 0, v0
	s_cbranch_execz .LBB12_6027
; %bb.6026:                             ;   in Loop: Header=BB12_5996 Depth=2
	s_bcnt1_i32_b32 s41, s41
	s_delay_alu instid0(SALU_CYCLE_1)
	v_mov_b32_e32 v2, s41
	s_wait_loadcnt 0x0
	ds_add_u64 v0, v[2:3]
	s_trap 2
.LBB12_6027:                            ;   in Loop: Header=BB12_5996 Depth=2
	s_or_b32 exec_lo, exec_lo, s40
	s_trap 2
	ds_load_b64 v[0:1], v0
	s_wait_dscnt 0x0
	v_add_nc_u64_e32 v[56:57], v[56:57], v[60:61]
	s_mov_b32 s40, exec_lo
	s_delay_alu instid0(VALU_DEP_1)
	v_cmpx_lt_u64_e64 v[0:1], v[56:57]
	s_cbranch_execz .LBB12_6036
; %bb.6028:                             ;   in Loop: Header=BB12_5996 Depth=2
	s_mov_b32 s41, 0
	s_mov_b32 s76, 0
                                        ; implicit-def: $sgpr74
                                        ; implicit-def: $sgpr75
	s_branch .LBB12_6030
.LBB12_6029:                            ;   in Loop: Header=BB12_6030 Depth=3
	s_or_b32 exec_lo, exec_lo, s78
	s_delay_alu instid0(SALU_CYCLE_1) | instskip(NEXT) | instid1(SALU_CYCLE_1)
	s_and_b32 s77, exec_lo, s79
	s_or_b32 s41, s77, s41
	s_and_not1_b32 s74, s74, exec_lo
	s_and_b32 s77, s75, exec_lo
	s_delay_alu instid0(SALU_CYCLE_1)
	s_or_b32 s74, s74, s77
	s_and_not1_b32 exec_lo, exec_lo, s41
	s_cbranch_execz .LBB12_6034
.LBB12_6030:                            ;   Parent Loop BB12_47 Depth=1
                                        ;     Parent Loop BB12_5996 Depth=2
                                        ; =>    This Inner Loop Header: Depth=3
	s_add_co_i32 s76, s76, 1
	s_delay_alu instid0(SALU_CYCLE_1) | instskip(SKIP_1) | instid1(SALU_CYCLE_1)
	s_cmp_lg_u32 s76, 0x2710
	s_cselect_b32 s77, -1, 0
	s_and_b32 vcc_lo, exec_lo, s77
	s_cbranch_vccz .LBB12_6032
; %bb.6031:                             ;   in Loop: Header=BB12_6030 Depth=3
	s_mov_b32 s79, -1
	s_or_b32 s75, s75, exec_lo
	s_and_saveexec_b32 s78, s77
	s_cbranch_execz .LBB12_6029
	s_branch .LBB12_6033
.LBB12_6032:                            ;   in Loop: Header=BB12_6030 Depth=3
	s_trap 2
	ds_load_b64 v[0:1], v0
	s_and_not1_b32 s77, s77, exec_lo
	s_mov_b32 s76, 0
	s_wait_loadcnt_dscnt 0x0
	flat_load_b32 v0, v[0:1] scope:SCOPE_SYS
	s_wait_loadcnt_dscnt 0x0
	global_inv scope:SCOPE_SYS
	v_cmp_eq_u32_e32 vcc_lo, 0, v0
	s_and_b32 s78, vcc_lo, exec_lo
	s_delay_alu instid0(SALU_CYCLE_1)
	s_or_b32 s77, s77, s78
	s_mov_b32 s79, -1
	s_or_b32 s75, s75, exec_lo
	s_wait_xcnt 0x0
	s_and_saveexec_b32 s78, s77
	s_cbranch_execz .LBB12_6029
.LBB12_6033:                            ;   in Loop: Header=BB12_6030 Depth=3
	s_sleep 1
	s_trap 2
	ds_load_b64 v[0:1], v0
	s_wait_dscnt 0x0
	s_and_not1_b32 s75, s75, exec_lo
	v_cmp_ge_u64_e32 vcc_lo, v[0:1], v[56:57]
	s_or_not1_b32 s79, vcc_lo, exec_lo
	s_branch .LBB12_6029
.LBB12_6034:                            ;   in Loop: Header=BB12_5996 Depth=2
	s_or_b32 exec_lo, exec_lo, s41
	s_and_saveexec_b32 s41, s74
	s_delay_alu instid0(SALU_CYCLE_1)
	s_xor_b32 s41, exec_lo, s41
	s_cbranch_execz .LBB12_6036
; %bb.6035:                             ;   in Loop: Header=BB12_5996 Depth=2
	v_mov_b32_e32 v0, 1
	ds_store_b32 v0, v0
	s_trap 2
.LBB12_6036:                            ;   in Loop: Header=BB12_5996 Depth=2
	s_or_b32 exec_lo, exec_lo, s40
	;;#ASMSTART
	s_wakeup
	;;#ASMEND
.LBB12_6037:                            ;   in Loop: Header=BB12_5996 Depth=2
	s_or_b32 exec_lo, exec_lo, s27
.LBB12_6038:                            ;   in Loop: Header=BB12_5996 Depth=2
	s_and_not1_saveexec_b32 s18, s18
	s_cbranch_execz .LBB12_6040
; %bb.6039:                             ;   in Loop: Header=BB12_5996 Depth=2
	global_wb scope:SCOPE_DEV
	s_wait_storecnt 0x0
	s_wait_loadcnt_dscnt 0x0
	global_inv scope:SCOPE_DEV
	s_barrier_signal -1
	s_barrier_wait -1
.LBB12_6040:                            ;   in Loop: Header=BB12_5996 Depth=2
	s_or_b32 exec_lo, exec_lo, s18
.LBB12_6041:                            ;   in Loop: Header=BB12_5996 Depth=2
	s_delay_alu instid0(SALU_CYCLE_1) | instskip(SKIP_2) | instid1(SALU_CYCLE_1)
	s_or_b32 exec_lo, exec_lo, s13
	v_and_b32_e32 v0, 16, v126
	s_and_saveexec_b32 s13, s12
	s_xor_b32 s18, exec_lo, s13
	s_cbranch_execz .LBB12_6045
; %bb.6042:                             ;   in Loop: Header=BB12_5996 Depth=2
	s_trap 2
	ds_load_b32 v0, v0
	v_cmp_lt_i32_e32 vcc_lo, 0, v28
	s_wait_dscnt 0x0
	v_readfirstlane_b32 s13, v0
	v_and_b32_e32 v0, 16, v126
	s_cmp_eq_u32 s13, 0
	s_delay_alu instid0(VALU_DEP_1) | instskip(SKIP_3) | instid1(SALU_CYCLE_1)
	v_cmp_ne_u32_e64 s13, 0, v0
	s_cselect_b32 s27, -1, 0
	v_and_b32_e32 v0, 16, v126
	s_and_b32 s27, vcc_lo, s27
	s_and_b32 s27, s13, s27
	s_delay_alu instid0(SALU_CYCLE_1)
	s_and_saveexec_b32 s13, s27
	s_cbranch_execz .LBB12_6044
; %bb.6043:                             ;   in Loop: Header=BB12_5996 Depth=2
	v_mov_b32_e32 v0, 1
	global_wb scope:SCOPE_SYS
	s_wait_loadcnt 0x0
	s_wait_storecnt 0x0
	global_inv scope:SCOPE_SYS
.LBB12_6044:                            ;   in Loop: Header=BB12_5996 Depth=2
	s_or_b32 exec_lo, exec_lo, s13
.LBB12_6045:                            ;   in Loop: Header=BB12_5996 Depth=2
	s_and_not1_saveexec_b32 s13, s18
	s_cbranch_execz .LBB12_6064
; %bb.6046:                             ;   in Loop: Header=BB12_5996 Depth=2
	s_and_saveexec_b32 s18, s3
	s_delay_alu instid0(SALU_CYCLE_1)
	s_xor_b32 s18, exec_lo, s18
	s_cbranch_execz .LBB12_6061
; %bb.6047:                             ;   in Loop: Header=BB12_5996 Depth=2
	s_and_saveexec_b32 s27, s6
	s_cbranch_execz .LBB12_6060
; %bb.6048:                             ;   in Loop: Header=BB12_5996 Depth=2
	s_mov_b32 s41, exec_lo
	s_mov_b32 s40, exec_lo
	v_mbcnt_lo_u32_b32 v1, s41, 0
	;;#ASMSTART
	s_waitcnt lgkmcnt(0) vmcnt(0)
	;;#ASMEND
	s_delay_alu instid0(VALU_DEP_1)
	v_cmpx_eq_u32_e32 0, v1
	s_cbranch_execz .LBB12_6050
; %bb.6049:                             ;   in Loop: Header=BB12_5996 Depth=2
	s_bcnt1_i32_b32 s41, s41
	s_delay_alu instid0(SALU_CYCLE_1)
	v_mov_b32_e32 v2, s41
	s_wait_storecnt 0x0
	s_wait_loadcnt_dscnt 0x0
	ds_add_u64 v0, v[2:3]
	s_trap 2
.LBB12_6050:                            ;   in Loop: Header=BB12_5996 Depth=2
	s_or_b32 exec_lo, exec_lo, s40
	s_trap 2
	ds_load_b64 v[4:5], v0
	s_wait_dscnt 0x0
	v_add_nc_u64_e32 v[56:57], v[56:57], v[60:61]
	s_mov_b32 s40, exec_lo
	s_delay_alu instid0(VALU_DEP_1)
	v_cmpx_lt_u64_e64 v[4:5], v[56:57]
	s_cbranch_execz .LBB12_6059
; %bb.6051:                             ;   in Loop: Header=BB12_5996 Depth=2
	s_mov_b32 s41, 0
	s_mov_b32 s76, 0
                                        ; implicit-def: $sgpr74
                                        ; implicit-def: $sgpr75
	s_branch .LBB12_6053
.LBB12_6052:                            ;   in Loop: Header=BB12_6053 Depth=3
	s_or_b32 exec_lo, exec_lo, s78
	s_delay_alu instid0(SALU_CYCLE_1) | instskip(NEXT) | instid1(SALU_CYCLE_1)
	s_and_b32 s77, exec_lo, s79
	s_or_b32 s41, s77, s41
	s_and_not1_b32 s74, s74, exec_lo
	s_and_b32 s77, s75, exec_lo
	s_delay_alu instid0(SALU_CYCLE_1)
	s_or_b32 s74, s74, s77
	s_and_not1_b32 exec_lo, exec_lo, s41
	s_cbranch_execz .LBB12_6057
.LBB12_6053:                            ;   Parent Loop BB12_47 Depth=1
                                        ;     Parent Loop BB12_5996 Depth=2
                                        ; =>    This Inner Loop Header: Depth=3
	s_add_co_i32 s76, s76, 1
	s_delay_alu instid0(SALU_CYCLE_1) | instskip(SKIP_1) | instid1(SALU_CYCLE_1)
	s_cmp_lg_u32 s76, 0x2710
	s_cselect_b32 s77, -1, 0
	s_and_b32 vcc_lo, exec_lo, s77
	s_cbranch_vccz .LBB12_6055
; %bb.6054:                             ;   in Loop: Header=BB12_6053 Depth=3
	s_mov_b32 s79, -1
	s_or_b32 s75, s75, exec_lo
	s_and_saveexec_b32 s78, s77
	s_cbranch_execz .LBB12_6052
	s_branch .LBB12_6056
.LBB12_6055:                            ;   in Loop: Header=BB12_6053 Depth=3
	s_trap 2
	ds_load_b64 v[4:5], v0
	s_and_not1_b32 s77, s77, exec_lo
	s_mov_b32 s76, 0
	s_wait_storecnt 0x0
	s_wait_loadcnt_dscnt 0x0
	flat_load_b32 v1, v[4:5] scope:SCOPE_SYS
	s_wait_loadcnt_dscnt 0x0
	global_inv scope:SCOPE_SYS
	v_cmp_eq_u32_e32 vcc_lo, 0, v1
	s_and_b32 s78, vcc_lo, exec_lo
	s_delay_alu instid0(SALU_CYCLE_1)
	s_or_b32 s77, s77, s78
	s_mov_b32 s79, -1
	s_or_b32 s75, s75, exec_lo
	s_wait_xcnt 0x0
	s_and_saveexec_b32 s78, s77
	s_cbranch_execz .LBB12_6052
.LBB12_6056:                            ;   in Loop: Header=BB12_6053 Depth=3
	s_sleep 1
	s_trap 2
	ds_load_b64 v[4:5], v0
	s_wait_dscnt 0x0
	s_and_not1_b32 s75, s75, exec_lo
	v_cmp_ge_u64_e32 vcc_lo, v[4:5], v[56:57]
	s_or_not1_b32 s79, vcc_lo, exec_lo
	s_branch .LBB12_6052
.LBB12_6057:                            ;   in Loop: Header=BB12_5996 Depth=2
	s_or_b32 exec_lo, exec_lo, s41
	s_and_saveexec_b32 s41, s74
	s_delay_alu instid0(SALU_CYCLE_1)
	s_xor_b32 s41, exec_lo, s41
	s_cbranch_execz .LBB12_6059
; %bb.6058:                             ;   in Loop: Header=BB12_5996 Depth=2
	v_mov_b32_e32 v1, 1
	ds_store_b32 v0, v1
	s_trap 2
.LBB12_6059:                            ;   in Loop: Header=BB12_5996 Depth=2
	s_or_b32 exec_lo, exec_lo, s40
	;;#ASMSTART
	s_wakeup
	;;#ASMEND
.LBB12_6060:                            ;   in Loop: Header=BB12_5996 Depth=2
	s_or_b32 exec_lo, exec_lo, s27
.LBB12_6061:                            ;   in Loop: Header=BB12_5996 Depth=2
	s_and_not1_saveexec_b32 s18, s18
	s_cbranch_execz .LBB12_6063
; %bb.6062:                             ;   in Loop: Header=BB12_5996 Depth=2
	;;#ASMSTART
	s_waitcnt lgkmcnt(0) vmcnt(0)
	;;#ASMEND
	s_barrier_signal -1
	s_barrier_wait -1
.LBB12_6063:                            ;   in Loop: Header=BB12_5996 Depth=2
	s_or_b32 exec_lo, exec_lo, s18
.LBB12_6064:                            ;   in Loop: Header=BB12_5996 Depth=2
	s_delay_alu instid0(SALU_CYCLE_1) | instskip(SKIP_2) | instid1(SALU_CYCLE_1)
	s_or_b32 exec_lo, exec_lo, s13
	v_cmp_ne_u32_e32 vcc_lo, 0, v0
	s_xor_b32 s13, s4, -1
	s_and_b32 s18, vcc_lo, s13
	s_delay_alu instid0(SALU_CYCLE_1)
	s_and_saveexec_b32 s13, s18
	s_cbranch_execz .LBB12_6066
; %bb.6065:                             ;   in Loop: Header=BB12_5996 Depth=2
	scratch_load_b64 v[0:1], off, s33 offset:304 ; 8-byte Folded Reload
	v_mov_b32_e32 v2, 1
	global_wb scope:SCOPE_SYS
	s_wait_storecnt 0x0
	s_wait_xcnt 0x0
	s_wait_loadcnt_dscnt 0x0
	flat_store_b32 v[0:1], v2 scope:SCOPE_SYS
.LBB12_6066:                            ;   in Loop: Header=BB12_5996 Depth=2
	s_wait_xcnt 0x0
	s_or_b32 exec_lo, exec_lo, s13
	v_and_b32_e32 v0, 48, v126
	s_mov_b32 s13, exec_lo
	s_delay_alu instid0(VALU_DEP_1)
	v_cmpx_ne_u32_e32 0, v0
	s_cbranch_execz .LBB12_5995
; %bb.6067:                             ;   in Loop: Header=BB12_5996 Depth=2
	v_add_nc_u64_e32 v[116:117], 2, v[116:117]
	global_wb scope:SCOPE_SYS
	s_wait_storecnt 0x0
	s_wait_loadcnt_dscnt 0x0
	flat_store_b64 v[40:41], v[116:117] scope:SCOPE_SYS
	s_branch .LBB12_5995
.LBB12_6068:                            ;   in Loop: Header=BB12_47 Depth=1
	s_or_b32 exec_lo, exec_lo, s15
.LBB12_6069:                            ;   in Loop: Header=BB12_47 Depth=1
	s_delay_alu instid0(SALU_CYCLE_1) | instskip(NEXT) | instid1(SALU_CYCLE_1)
	s_or_b32 exec_lo, exec_lo, s14
	s_and_not1_b32 vcc_lo, exec_lo, s46
	s_cbranch_vccnz .LBB12_6392
; %bb.6070:                             ;   in Loop: Header=BB12_47 Depth=1
	s_mov_b32 s18, 1
.LBB12_6071:                            ;   Parent Loop BB12_47 Depth=1
                                        ; =>  This Loop Header: Depth=2
                                        ;       Child Loop BB12_6074 Depth 3
                                        ;         Child Loop BB12_6082 Depth 4
                                        ;         Child Loop BB12_6110 Depth 4
	;; [unrolled: 1-line block ×5, first 2 shown]
                                        ;           Child Loop BB12_6172 Depth 5
                                        ;           Child Loop BB12_6177 Depth 5
                                        ;         Child Loop BB12_6183 Depth 4
                                        ;         Child Loop BB12_6191 Depth 4
	;; [unrolled: 1-line block ×3, first 2 shown]
                                        ;           Child Loop BB12_6203 Depth 5
                                        ;           Child Loop BB12_6208 Depth 5
                                        ;         Child Loop BB12_6212 Depth 4
                                        ;         Child Loop BB12_6224 Depth 4
	;; [unrolled: 1-line block ×7, first 2 shown]
                                        ;       Child Loop BB12_6317 Depth 3
                                        ;         Child Loop BB12_6323 Depth 4
                                        ;         Child Loop BB12_6351 Depth 4
	;; [unrolled: 1-line block ×3, first 2 shown]
	scratch_load_b64 v[4:5], off, s33 offset:380 ; 8-byte Folded Reload
	s_wait_loadcnt 0x1
	scratch_load_b64 v[0:1], off, s33 offset:372 ; 8-byte Folded Reload
	s_sub_co_i32 s13, s44, s18
	s_mov_b32 s74, 0
	s_cmp_ge_i32 s13, s16
	v_mov_b32_e32 v28, 0
	s_cselect_b32 s14, s16, 0
	s_delay_alu instid0(SALU_CYCLE_1) | instskip(NEXT) | instid1(SALU_CYCLE_1)
	s_sub_co_i32 s14, s13, s14
	s_ashr_i32 s15, s14, 31
	s_wait_loadcnt 0x1
	v_mul_u64_e32 v[8:9], s[14:15], v[4:5]
	s_wait_loadcnt 0x0
	s_delay_alu instid0(VALU_DEP_1) | instskip(NEXT) | instid1(VALU_DEP_1)
	v_sub_nc_u64_e32 v[0:1], v[0:1], v[8:9]
	v_min_i64 v[4:5], v[4:5], v[0:1]
	s_delay_alu instid0(VALU_DEP_1) | instskip(SKIP_1) | instid1(VALU_DEP_2)
	v_max_i32_e32 v30, 0, v4
	v_cmp_lt_i32_e32 vcc_lo, 0, v4
	v_add_nc_u32_e32 v0, 31, v30
	s_and_b32 s13, s63, vcc_lo
	s_delay_alu instid0(VALU_DEP_1) | instskip(NEXT) | instid1(VALU_DEP_1)
	v_lshrrev_b32_e32 v0, 1, v0
	v_and_b32_e32 v1, 0x3ffffff0, v0
	s_delay_alu instid0(VALU_DEP_1)
	v_dual_mov_b32 v0, 0 :: v_dual_max_i32 v4, s45, v1
	s_wait_xcnt 0x0
	s_and_saveexec_b32 s27, s13
	s_cbranch_execz .LBB12_6314
; %bb.6072:                             ;   in Loop: Header=BB12_6071 Depth=2
	scratch_load_b64 v[0:1], off, s33 offset:332 ; 8-byte Folded Reload
	v_mov_b32_e32 v28, 0
	s_mov_b32 s76, 1
	s_mov_b32 s75, -1
	s_wait_loadcnt 0x0
	v_add_nc_u64_e32 v[0:1], v[8:9], v[0:1]
	s_delay_alu instid0(VALU_DEP_1)
	v_lshlrev_b64_e32 v[118:119], 1, v[0:1]
	s_branch .LBB12_6074
.LBB12_6073:                            ;   in Loop: Header=BB12_6074 Depth=3
	s_wait_xcnt 0x0
	s_or_b32 exec_lo, exec_lo, s13
	v_dual_add_nc_u32 v28, v4, v28 :: v_dual_mov_b32 v0, s76
	s_xor_b32 s13, s75, -1
	s_mov_b32 s75, 0
	s_mov_b32 s76, 2
	s_delay_alu instid0(VALU_DEP_1) | instskip(SKIP_1) | instid1(SALU_CYCLE_1)
	v_cmp_ge_i32_e32 vcc_lo, v28, v30
	s_or_b32 s13, s13, vcc_lo
	s_and_b32 s13, exec_lo, s13
	s_delay_alu instid0(SALU_CYCLE_1) | instskip(NEXT) | instid1(SALU_CYCLE_1)
	s_or_b32 s74, s13, s74
	s_and_not1_b32 exec_lo, exec_lo, s74
	s_cbranch_execz .LBB12_6313
.LBB12_6074:                            ;   Parent Loop BB12_47 Depth=1
                                        ;     Parent Loop BB12_6071 Depth=2
                                        ; =>    This Loop Header: Depth=3
                                        ;         Child Loop BB12_6082 Depth 4
                                        ;         Child Loop BB12_6110 Depth 4
	;; [unrolled: 1-line block ×5, first 2 shown]
                                        ;           Child Loop BB12_6172 Depth 5
                                        ;           Child Loop BB12_6177 Depth 5
                                        ;         Child Loop BB12_6183 Depth 4
                                        ;         Child Loop BB12_6191 Depth 4
	;; [unrolled: 1-line block ×3, first 2 shown]
                                        ;           Child Loop BB12_6203 Depth 5
                                        ;           Child Loop BB12_6208 Depth 5
                                        ;         Child Loop BB12_6212 Depth 4
                                        ;         Child Loop BB12_6224 Depth 4
	;; [unrolled: 1-line block ×7, first 2 shown]
	s_wait_xcnt 0x0
	s_and_saveexec_b32 s13, s0
	s_cbranch_execz .LBB12_6076
; %bb.6075:                             ;   in Loop: Header=BB12_6074 Depth=3
	s_trap 2
	s_wait_loadcnt 0x0
	ds_load_b128 v[6:9], v0
	s_wait_dscnt 0x0
	v_cmp_ne_u64_e32 vcc_lo, 0, v[8:9]
	v_ashrrev_i32_e32 v29, 31, v28
	v_add_nc_u64_e32 v[10:11], v[8:9], v[118:119]
	v_add_nc_u64_e32 v[6:7], v[6:7], v[118:119]
	s_delay_alu instid0(VALU_DEP_3) | instskip(NEXT) | instid1(VALU_DEP_1)
	v_lshlrev_b64_e32 v[0:1], 1, v[28:29]
	v_add_nc_u64_e32 v[10:11], v[10:11], v[0:1]
	s_delay_alu instid0(VALU_DEP_3) | instskip(NEXT) | instid1(VALU_DEP_2)
	v_add_nc_u64_e32 v[0:1], v[6:7], v[0:1]
	v_dual_cndmask_b32 v7, 0, v11 :: v_dual_cndmask_b32 v6, 0, v10
	ds_store_b64 v0, v[0:1]
	ds_store_b64 v0, v[6:7]
.LBB12_6076:                            ;   in Loop: Header=BB12_6074 Depth=3
	s_or_b32 exec_lo, exec_lo, s13
	s_wait_loadcnt 0x0
	v_dual_sub_nc_u32 v0, v30, v28 :: v_dual_bitop2_b32 v1, 12, v126 bitop3:0x40
	s_mov_b32 s14, exec_lo
	s_delay_alu instid0(VALU_DEP_1) | instskip(NEXT) | instid1(VALU_DEP_2)
	v_min_i32_e32 v4, v4, v0
	v_cmpx_ne_u32_e32 0, v1
	s_cbranch_execz .LBB12_6102
; %bb.6077:                             ;   in Loop: Header=BB12_6074 Depth=3
	v_and_b32_e32 v2, 8, v126
	v_add_nc_u64_e32 v[8:9], 2, v[116:117]
	s_mov_b32 s15, exec_lo
	s_wait_dscnt 0x1
	s_delay_alu instid0(VALU_DEP_2) | instskip(NEXT) | instid1(VALU_DEP_1)
	v_add_nc_u64_e32 v[0:1], v[58:59], v[2:3]
	v_cmpx_lt_u64_e64 v[0:1], v[8:9]
	s_cbranch_execz .LBB12_6089
; %bb.6078:                             ;   in Loop: Header=BB12_6074 Depth=3
	v_and_b32_e32 v0, 64, v126
	s_mov_b32 s40, 0
	s_mov_b32 s79, 0
                                        ; implicit-def: $sgpr41
                                        ; implicit-def: $sgpr77
                                        ; implicit-def: $sgpr78
	s_delay_alu instid0(VALU_DEP_1)
	v_cmp_eq_u32_e32 vcc_lo, 0, v0
	s_branch .LBB12_6082
.LBB12_6079:                            ;   in Loop: Header=BB12_6082 Depth=4
	s_wait_loadcnt_dscnt 0x0
	v_add_nc_u64_e32 v[6:7], v[58:59], v[2:3]
	s_or_b32 s90, s90, exec_lo
	s_delay_alu instid0(VALU_DEP_1)
	v_cmp_ge_u64_e64 s13, v[6:7], v[8:9]
	s_or_not1_b32 s89, s13, exec_lo
.LBB12_6080:                            ;   in Loop: Header=BB12_6082 Depth=4
	s_or_b32 exec_lo, exec_lo, s92
	s_delay_alu instid0(SALU_CYCLE_1)
	s_and_not1_b32 s13, s78, exec_lo
	s_and_b32 s78, s90, exec_lo
	s_and_not1_b32 s77, s77, exec_lo
	s_and_b32 s89, s89, exec_lo
	s_or_b32 s78, s13, s78
	s_or_b32 s77, s77, s89
.LBB12_6081:                            ;   in Loop: Header=BB12_6082 Depth=4
	s_or_b32 exec_lo, exec_lo, s88
	s_delay_alu instid0(SALU_CYCLE_1) | instskip(NEXT) | instid1(SALU_CYCLE_1)
	s_and_b32 s13, exec_lo, s77
	s_or_b32 s40, s13, s40
	s_and_not1_b32 s13, s41, exec_lo
	s_and_b32 s41, s78, exec_lo
	s_delay_alu instid0(SALU_CYCLE_1)
	s_or_b32 s41, s13, s41
	s_and_not1_b32 exec_lo, exec_lo, s40
	s_cbranch_execz .LBB12_6086
.LBB12_6082:                            ;   Parent Loop BB12_47 Depth=1
                                        ;     Parent Loop BB12_6071 Depth=2
                                        ;       Parent Loop BB12_6074 Depth=3
                                        ; =>      This Inner Loop Header: Depth=4
	s_sleep 1
	s_wait_loadcnt_dscnt 0x0
	flat_load_b64 v[58:59], v[40:41] scope:SCOPE_SYS
	s_or_b32 s78, s78, exec_lo
	s_or_b32 s77, s77, exec_lo
                                        ; implicit-def: $vgpr0
	s_wait_xcnt 0x0
	s_and_saveexec_b32 s88, vcc_lo
	s_cbranch_execz .LBB12_6081
; %bb.6083:                             ;   in Loop: Header=BB12_6082 Depth=4
	s_cmp_lt_i32 s79, 0x270f
	s_mov_b32 s89, -1
	s_cselect_b32 s91, -1, 0
	s_cmp_gt_i32 s79, 0x270e
	s_cbranch_scc0 .LBB12_6085
; %bb.6084:                             ;   in Loop: Header=BB12_6082 Depth=4
	s_trap 2
	ds_load_b64 v[0:1], v0
	s_and_not1_b32 s79, s91, exec_lo
	s_mov_b32 s90, 0
	s_wait_storecnt 0x0
	s_wait_loadcnt_dscnt 0x0
	flat_load_b32 v0, v[0:1] scope:SCOPE_SYS
	s_wait_loadcnt_dscnt 0x0
	global_inv scope:SCOPE_SYS
	v_cmp_eq_u32_e64 s13, 0, v0
	s_and_b32 s13, s13, exec_lo
	s_delay_alu instid0(SALU_CYCLE_1)
	s_or_b32 s91, s79, s13
	s_mov_b32 s79, 0
	s_wait_xcnt 0x0
	s_and_saveexec_b32 s92, s91
	s_cbranch_execz .LBB12_6080
	s_branch .LBB12_6079
.LBB12_6085:                            ;   in Loop: Header=BB12_6082 Depth=4
	s_add_co_i32 s79, s79, 1
	s_mov_b32 s90, -1
                                        ; implicit-def: $vgpr0
	s_and_saveexec_b32 s92, s91
	s_cbranch_execz .LBB12_6080
	s_branch .LBB12_6079
.LBB12_6086:                            ;   in Loop: Header=BB12_6074 Depth=3
	s_or_b32 exec_lo, exec_lo, s40
	s_xor_b32 s13, s41, -1
	s_delay_alu instid0(SALU_CYCLE_1) | instskip(NEXT) | instid1(SALU_CYCLE_1)
	s_and_saveexec_b32 s40, s13
	s_xor_b32 s13, exec_lo, s40
	s_cbranch_execz .LBB12_6088
; %bb.6087:                             ;   in Loop: Header=BB12_6074 Depth=3
	v_or_b32_e32 v126, 64, v126
	s_wait_storecnt 0x0
	s_wait_loadcnt_dscnt 0x0
	ds_store_b32 v0, v0
	s_trap 2
.LBB12_6088:                            ;   in Loop: Header=BB12_6074 Depth=3
	s_or_b32 exec_lo, exec_lo, s13
.LBB12_6089:                            ;   in Loop: Header=BB12_6074 Depth=3
	s_delay_alu instid0(SALU_CYCLE_1) | instskip(SKIP_3) | instid1(VALU_DEP_1)
	s_or_b32 exec_lo, exec_lo, s15
	v_and_b32_e32 v0, 0x108, v126
	s_mov_b32 s13, exec_lo
	;;#ASMSTART
	s_wakeup
	;;#ASMEND
                                        ; implicit-def: $vgpr10_vgpr11
	v_cmpx_ne_u32_e32 0x108, v0
	s_xor_b32 s13, exec_lo, s13
; %bb.6090:                             ;   in Loop: Header=BB12_6074 Depth=3
	v_dual_mov_b32 v11, v3 :: v_dual_bitop2_b32 v10, 7, v116 bitop3:0x40
                                        ; implicit-def: $vgpr116_vgpr117
; %bb.6091:                             ;   in Loop: Header=BB12_6074 Depth=3
	s_and_not1_saveexec_b32 s13, s13
	s_cbranch_execz .LBB12_6093
; %bb.6092:                             ;   in Loop: Header=BB12_6074 Depth=3
	scratch_load_b128 v[12:15], off, s33 offset:288 ; 16-byte Folded Reload
	v_dual_mov_b32 v11, v3 :: v_dual_bitop2_b32 v10, 7, v116 bitop3:0x40
	v_ashrrev_i32_e32 v5, 31, v4
	s_delay_alu instid0(VALU_DEP_1) | instskip(SKIP_1) | instid1(VALU_DEP_3)
	v_lshlrev_b64_e32 v[6:7], 1, v[4:5]
	s_wait_loadcnt 0x0
	v_mad_nc_u64_u32 v[0:1], v10, 24, v[12:13]
	flat_store_b64 v[0:1], v[6:7] offset:8
.LBB12_6093:                            ;   in Loop: Header=BB12_6074 Depth=3
	s_wait_xcnt 0x0
	s_or_b32 exec_lo, exec_lo, s13
	v_and_b32_e32 v0, 0x100, v126
	s_mov_b32 s13, -1
	s_mov_b32 s15, exec_lo
                                        ; implicit-def: $vgpr12_vgpr13
	s_delay_alu instid0(VALU_DEP_1)
	v_cmpx_ne_u32_e32 0, v0
	s_cbranch_execz .LBB12_6097
; %bb.6094:                             ;   in Loop: Header=BB12_6074 Depth=3
	scratch_load_b128 v[12:15], off, s33 offset:288 ; 16-byte Folded Reload
	s_mov_b32 s40, exec_lo
	s_wait_loadcnt 0x0
	v_mad_nc_u64_u32 v[14:15], v10, 24, v[12:13]
                                        ; implicit-def: $vgpr12_vgpr13
	s_delay_alu instid0(VALU_DEP_1)
	v_mad_u32 v15, v11, 24, v15
	flat_load_b32 v0, v[14:15]
	s_wait_loadcnt_dscnt 0x0
	v_cmp_ne_u32_e32 vcc_lo, 1, v0
	s_wait_xcnt 0x0
	v_cmpx_eq_u32_e32 1, v0
	s_cbranch_execz .LBB12_6096
; %bb.6095:                             ;   in Loop: Header=BB12_6074 Depth=3
	flat_load_b32 v0, v[14:15] offset:4 scope:SCOPE_SYS
	s_wait_loadcnt_dscnt 0x0
	v_ashrrev_i32_e32 v1, 31, v0
	s_delay_alu instid0(VALU_DEP_1)
	v_lshrrev_b64 v[12:13], 1, v[0:1]
.LBB12_6096:                            ;   in Loop: Header=BB12_6074 Depth=3
	s_wait_xcnt 0x0
	s_or_b32 exec_lo, exec_lo, s40
	s_delay_alu instid0(SALU_CYCLE_1)
	s_or_not1_b32 s13, vcc_lo, exec_lo
.LBB12_6097:                            ;   in Loop: Header=BB12_6074 Depth=3
	s_or_b32 exec_lo, exec_lo, s15
	s_and_saveexec_b32 s15, s13
	s_cbranch_execz .LBB12_6099
; %bb.6098:                             ;   in Loop: Header=BB12_6074 Depth=3
	scratch_load_b64 v[0:1], off, s33 offset:312 ; 8-byte Folded Reload
	s_wait_loadcnt 0x0
	v_mul_u64_e32 v[12:13], v[10:11], v[0:1]
.LBB12_6099:                            ;   in Loop: Header=BB12_6074 Depth=3
	s_wait_xcnt 0x0
	s_or_b32 exec_lo, exec_lo, s15
	v_cmp_eq_u32_e32 vcc_lo, 0, v2
	v_mov_b32_e32 v0, 0x88
	v_and_b32_e32 v5, 0x2000, v126
	s_mov_b32 s13, exec_lo
	s_delay_alu instid0(VALU_DEP_2) | instskip(SKIP_3) | instid1(VALU_DEP_1)
	v_cndmask_b32_e32 v2, 0xd0, v0, vcc_lo
	scratch_load_b64 v[0:1], off, s33 offset:280 ; 8-byte Folded Reload
	s_wait_loadcnt 0x0
	v_lshl_add_u64 v[0:1], v[12:13], 1, v[0:1]
	v_add_nc_u32_e32 v2, v0, v2
	ds_store_b64 v2, v[0:1] offset:584
	s_wait_xcnt 0x0
	v_cmpx_ne_u32_e32 0, v5
	s_cbranch_execz .LBB12_6101
; %bb.6100:                             ;   in Loop: Header=BB12_6074 Depth=3
	ds_load_b64 v[0:1], v0 offset:872
	s_wait_dscnt 0x0
	v_add_nc_u64_e32 v[0:1], 1, v[0:1]
	ds_store_b64 v0, v[0:1] offset:872
.LBB12_6101:                            ;   in Loop: Header=BB12_6074 Depth=3
	s_or_b32 exec_lo, exec_lo, s13
	v_mov_b64_e32 v[116:117], v[8:9]
.LBB12_6102:                            ;   in Loop: Header=BB12_6074 Depth=3
	s_or_b32 exec_lo, exec_lo, s14
	s_and_saveexec_b32 s13, s2
	s_cbranch_execz .LBB12_6121
; %bb.6103:                             ;   in Loop: Header=BB12_6074 Depth=3
	s_and_saveexec_b32 s14, s3
	s_delay_alu instid0(SALU_CYCLE_1)
	s_xor_b32 s14, exec_lo, s14
	s_cbranch_execz .LBB12_6118
; %bb.6104:                             ;   in Loop: Header=BB12_6074 Depth=3
	s_and_saveexec_b32 s15, s6
	s_cbranch_execz .LBB12_6117
; %bb.6105:                             ;   in Loop: Header=BB12_6074 Depth=3
	s_mov_b32 s41, exec_lo
	s_mov_b32 s40, exec_lo
	v_mbcnt_lo_u32_b32 v0, s41, 0
	global_wb scope:SCOPE_DEV
	s_wait_storecnt_dscnt 0x0
	global_inv scope:SCOPE_DEV
	v_cmpx_eq_u32_e32 0, v0
	s_cbranch_execz .LBB12_6107
; %bb.6106:                             ;   in Loop: Header=BB12_6074 Depth=3
	s_bcnt1_i32_b32 s41, s41
	s_delay_alu instid0(SALU_CYCLE_1)
	v_mov_b32_e32 v2, s41
	s_wait_loadcnt 0x0
	ds_add_u64 v0, v[2:3]
	s_trap 2
.LBB12_6107:                            ;   in Loop: Header=BB12_6074 Depth=3
	s_or_b32 exec_lo, exec_lo, s40
	s_trap 2
	ds_load_b64 v[0:1], v0
	s_wait_dscnt 0x0
	v_add_nc_u64_e32 v[56:57], v[56:57], v[60:61]
	s_mov_b32 s40, exec_lo
	s_delay_alu instid0(VALU_DEP_1)
	v_cmpx_lt_u64_e64 v[0:1], v[56:57]
	s_cbranch_execz .LBB12_6116
; %bb.6108:                             ;   in Loop: Header=BB12_6074 Depth=3
	s_mov_b32 s41, 0
	s_mov_b32 s79, 0
                                        ; implicit-def: $sgpr77
                                        ; implicit-def: $sgpr78
	s_branch .LBB12_6110
.LBB12_6109:                            ;   in Loop: Header=BB12_6110 Depth=4
	s_or_b32 exec_lo, exec_lo, s89
	s_delay_alu instid0(SALU_CYCLE_1) | instskip(NEXT) | instid1(SALU_CYCLE_1)
	s_and_b32 s88, exec_lo, s90
	s_or_b32 s41, s88, s41
	s_and_not1_b32 s77, s77, exec_lo
	s_and_b32 s88, s78, exec_lo
	s_delay_alu instid0(SALU_CYCLE_1)
	s_or_b32 s77, s77, s88
	s_and_not1_b32 exec_lo, exec_lo, s41
	s_cbranch_execz .LBB12_6114
.LBB12_6110:                            ;   Parent Loop BB12_47 Depth=1
                                        ;     Parent Loop BB12_6071 Depth=2
                                        ;       Parent Loop BB12_6074 Depth=3
                                        ; =>      This Inner Loop Header: Depth=4
	s_add_co_i32 s79, s79, 1
	s_delay_alu instid0(SALU_CYCLE_1) | instskip(SKIP_1) | instid1(SALU_CYCLE_1)
	s_cmp_lg_u32 s79, 0x2710
	s_cselect_b32 s88, -1, 0
	s_and_b32 vcc_lo, exec_lo, s88
	s_cbranch_vccz .LBB12_6112
; %bb.6111:                             ;   in Loop: Header=BB12_6110 Depth=4
	s_mov_b32 s90, -1
	s_or_b32 s78, s78, exec_lo
	s_and_saveexec_b32 s89, s88
	s_cbranch_execz .LBB12_6109
	s_branch .LBB12_6113
.LBB12_6112:                            ;   in Loop: Header=BB12_6110 Depth=4
	s_trap 2
	ds_load_b64 v[0:1], v0
	s_and_not1_b32 s88, s88, exec_lo
	s_mov_b32 s79, 0
	s_wait_loadcnt_dscnt 0x0
	flat_load_b32 v0, v[0:1] scope:SCOPE_SYS
	s_wait_loadcnt_dscnt 0x0
	global_inv scope:SCOPE_SYS
	v_cmp_eq_u32_e32 vcc_lo, 0, v0
	s_and_b32 s89, vcc_lo, exec_lo
	s_delay_alu instid0(SALU_CYCLE_1)
	s_or_b32 s88, s88, s89
	s_mov_b32 s90, -1
	s_or_b32 s78, s78, exec_lo
	s_wait_xcnt 0x0
	s_and_saveexec_b32 s89, s88
	s_cbranch_execz .LBB12_6109
.LBB12_6113:                            ;   in Loop: Header=BB12_6110 Depth=4
	s_sleep 1
	s_trap 2
	ds_load_b64 v[0:1], v0
	s_wait_dscnt 0x0
	s_and_not1_b32 s78, s78, exec_lo
	v_cmp_ge_u64_e32 vcc_lo, v[0:1], v[56:57]
	s_or_not1_b32 s90, vcc_lo, exec_lo
	s_branch .LBB12_6109
.LBB12_6114:                            ;   in Loop: Header=BB12_6074 Depth=3
	s_or_b32 exec_lo, exec_lo, s41
	s_and_saveexec_b32 s41, s77
	s_delay_alu instid0(SALU_CYCLE_1)
	s_xor_b32 s41, exec_lo, s41
	s_cbranch_execz .LBB12_6116
; %bb.6115:                             ;   in Loop: Header=BB12_6074 Depth=3
	v_mov_b32_e32 v0, 1
	ds_store_b32 v0, v0
	s_trap 2
.LBB12_6116:                            ;   in Loop: Header=BB12_6074 Depth=3
	s_or_b32 exec_lo, exec_lo, s40
	;;#ASMSTART
	s_wakeup
	;;#ASMEND
.LBB12_6117:                            ;   in Loop: Header=BB12_6074 Depth=3
	s_or_b32 exec_lo, exec_lo, s15
.LBB12_6118:                            ;   in Loop: Header=BB12_6074 Depth=3
	s_and_not1_saveexec_b32 s14, s14
	s_cbranch_execz .LBB12_6120
; %bb.6119:                             ;   in Loop: Header=BB12_6074 Depth=3
	global_wb scope:SCOPE_DEV
	s_wait_storecnt 0x0
	s_wait_loadcnt_dscnt 0x0
	global_inv scope:SCOPE_DEV
	s_barrier_signal -1
	s_barrier_wait -1
.LBB12_6120:                            ;   in Loop: Header=BB12_6074 Depth=3
	s_or_b32 exec_lo, exec_lo, s14
.LBB12_6121:                            ;   in Loop: Header=BB12_6074 Depth=3
	s_delay_alu instid0(SALU_CYCLE_1) | instskip(SKIP_4) | instid1(VALU_DEP_1)
	s_or_b32 exec_lo, exec_lo, s13
	s_trap 2
	ds_load_b32 v0, v0
	v_and_b32_e32 v1, 0x4000, v126
	s_xor_b32 s13, s1, -1
	v_cmp_ne_u32_e32 vcc_lo, 0, v1
	s_and_b32 s14, s13, vcc_lo
	s_delay_alu instid0(SALU_CYCLE_1)
	s_and_saveexec_b32 s13, s14
	s_cbranch_execz .LBB12_6140
; %bb.6122:                             ;   in Loop: Header=BB12_6074 Depth=3
	s_and_saveexec_b32 s14, s3
	s_delay_alu instid0(SALU_CYCLE_1)
	s_xor_b32 s14, exec_lo, s14
	s_cbranch_execz .LBB12_6137
; %bb.6123:                             ;   in Loop: Header=BB12_6074 Depth=3
	s_and_saveexec_b32 s15, s6
	s_cbranch_execz .LBB12_6136
; %bb.6124:                             ;   in Loop: Header=BB12_6074 Depth=3
	s_mov_b32 s41, exec_lo
	s_mov_b32 s40, exec_lo
	v_mbcnt_lo_u32_b32 v1, s41, 0
	global_wb scope:SCOPE_DEV
	s_wait_storecnt 0x0
	s_wait_loadcnt_dscnt 0x0
	global_inv scope:SCOPE_DEV
	v_cmpx_eq_u32_e32 0, v1
	s_cbranch_execz .LBB12_6126
; %bb.6125:                             ;   in Loop: Header=BB12_6074 Depth=3
	s_bcnt1_i32_b32 s41, s41
	s_delay_alu instid0(SALU_CYCLE_1)
	v_mov_b32_e32 v2, s41
	s_wait_loadcnt 0x0
	ds_add_u64 v0, v[2:3]
	s_trap 2
.LBB12_6126:                            ;   in Loop: Header=BB12_6074 Depth=3
	s_or_b32 exec_lo, exec_lo, s40
	s_trap 2
	ds_load_b64 v[6:7], v0
	s_wait_dscnt 0x0
	v_add_nc_u64_e32 v[56:57], v[56:57], v[60:61]
	s_mov_b32 s40, exec_lo
	s_delay_alu instid0(VALU_DEP_1)
	v_cmpx_lt_u64_e64 v[6:7], v[56:57]
	s_cbranch_execz .LBB12_6135
; %bb.6127:                             ;   in Loop: Header=BB12_6074 Depth=3
	s_mov_b32 s41, 0
	s_mov_b32 s79, 0
                                        ; implicit-def: $sgpr77
                                        ; implicit-def: $sgpr78
	s_branch .LBB12_6129
.LBB12_6128:                            ;   in Loop: Header=BB12_6129 Depth=4
	s_or_b32 exec_lo, exec_lo, s89
	s_delay_alu instid0(SALU_CYCLE_1) | instskip(NEXT) | instid1(SALU_CYCLE_1)
	s_and_b32 s88, exec_lo, s90
	s_or_b32 s41, s88, s41
	s_and_not1_b32 s77, s77, exec_lo
	s_and_b32 s88, s78, exec_lo
	s_delay_alu instid0(SALU_CYCLE_1)
	s_or_b32 s77, s77, s88
	s_and_not1_b32 exec_lo, exec_lo, s41
	s_cbranch_execz .LBB12_6133
.LBB12_6129:                            ;   Parent Loop BB12_47 Depth=1
                                        ;     Parent Loop BB12_6071 Depth=2
                                        ;       Parent Loop BB12_6074 Depth=3
                                        ; =>      This Inner Loop Header: Depth=4
	s_add_co_i32 s79, s79, 1
	s_delay_alu instid0(SALU_CYCLE_1) | instskip(SKIP_1) | instid1(SALU_CYCLE_1)
	s_cmp_lg_u32 s79, 0x2710
	s_cselect_b32 s88, -1, 0
	s_and_b32 vcc_lo, exec_lo, s88
	s_cbranch_vccz .LBB12_6131
; %bb.6130:                             ;   in Loop: Header=BB12_6129 Depth=4
	s_mov_b32 s90, -1
	s_or_b32 s78, s78, exec_lo
	s_and_saveexec_b32 s89, s88
	s_cbranch_execz .LBB12_6128
	s_branch .LBB12_6132
.LBB12_6131:                            ;   in Loop: Header=BB12_6129 Depth=4
	s_trap 2
	ds_load_b64 v[6:7], v0
	s_and_not1_b32 s88, s88, exec_lo
	s_mov_b32 s79, 0
	s_wait_loadcnt_dscnt 0x0
	flat_load_b32 v1, v[6:7] scope:SCOPE_SYS
	s_wait_loadcnt_dscnt 0x0
	global_inv scope:SCOPE_SYS
	v_cmp_eq_u32_e32 vcc_lo, 0, v1
	s_and_b32 s89, vcc_lo, exec_lo
	s_delay_alu instid0(SALU_CYCLE_1)
	s_or_b32 s88, s88, s89
	s_mov_b32 s90, -1
	s_or_b32 s78, s78, exec_lo
	s_wait_xcnt 0x0
	s_and_saveexec_b32 s89, s88
	s_cbranch_execz .LBB12_6128
.LBB12_6132:                            ;   in Loop: Header=BB12_6129 Depth=4
	s_sleep 1
	s_trap 2
	ds_load_b64 v[6:7], v0
	s_wait_dscnt 0x0
	s_and_not1_b32 s78, s78, exec_lo
	v_cmp_ge_u64_e32 vcc_lo, v[6:7], v[56:57]
	s_or_not1_b32 s90, vcc_lo, exec_lo
	s_branch .LBB12_6128
.LBB12_6133:                            ;   in Loop: Header=BB12_6074 Depth=3
	s_or_b32 exec_lo, exec_lo, s41
	s_and_saveexec_b32 s41, s77
	s_delay_alu instid0(SALU_CYCLE_1)
	s_xor_b32 s41, exec_lo, s41
	s_cbranch_execz .LBB12_6135
; %bb.6134:                             ;   in Loop: Header=BB12_6074 Depth=3
	v_mov_b32_e32 v1, 1
	ds_store_b32 v0, v1
	s_trap 2
.LBB12_6135:                            ;   in Loop: Header=BB12_6074 Depth=3
	s_or_b32 exec_lo, exec_lo, s40
	;;#ASMSTART
	s_wakeup
	;;#ASMEND
.LBB12_6136:                            ;   in Loop: Header=BB12_6074 Depth=3
	s_or_b32 exec_lo, exec_lo, s15
.LBB12_6137:                            ;   in Loop: Header=BB12_6074 Depth=3
	s_and_not1_saveexec_b32 s14, s14
	s_cbranch_execz .LBB12_6139
; %bb.6138:                             ;   in Loop: Header=BB12_6074 Depth=3
	global_wb scope:SCOPE_DEV
	s_wait_storecnt 0x0
	s_wait_loadcnt_dscnt 0x0
	global_inv scope:SCOPE_DEV
	s_barrier_signal -1
	s_barrier_wait -1
.LBB12_6139:                            ;   in Loop: Header=BB12_6074 Depth=3
	s_or_b32 exec_lo, exec_lo, s14
.LBB12_6140:                            ;   in Loop: Header=BB12_6074 Depth=3
	s_delay_alu instid0(SALU_CYCLE_1)
	s_or_b32 exec_lo, exec_lo, s13
	s_trap 2
	s_wait_dscnt 0x0
	ds_load_b64 v[62:63], v0
	s_wait_dscnt 0x0
	v_cmp_eq_u64_e32 vcc_lo, 0, v[62:63]
	s_cbranch_vccnz .LBB12_6156
; %bb.6141:                             ;   in Loop: Header=BB12_6074 Depth=3
	s_trap 2
	ds_load_b64 v[72:73], v0
	s_wait_dscnt 0x0
	v_cmp_eq_u64_e32 vcc_lo, 0, v[72:73]
	s_cbranch_vccnz .LBB12_6156
; %bb.6142:                             ;   in Loop: Header=BB12_6074 Depth=3
	s_trap 2
	ds_load_b64 v[52:53], v0
	v_cmp_eq_u32_e32 vcc_lo, 0, v0
	s_mov_b32 s13, -1
	v_cndmask_b32_e32 v2, 0, v4, vcc_lo
	s_delay_alu instid0(VALU_DEP_1)
	v_lshlrev_b32_e32 v5, 1, v2
	s_wait_dscnt 0x0
	v_cmp_ne_u64_e32 vcc_lo, 0, v[52:53]
	s_cbranch_vccz .LBB12_6214
; %bb.6143:                             ;   in Loop: Header=BB12_6074 Depth=3
	s_and_saveexec_b32 s14, s10
	s_cbranch_execz .LBB12_6145
; %bb.6144:                             ;   in Loop: Header=BB12_6074 Depth=3
	ds_load_b32 v0, v0 offset:720
	s_wait_dscnt 0x0
	v_and_b32_e32 v0, 15, v0
	s_delay_alu instid0(VALU_DEP_1)
	v_cmp_eq_u32_e32 vcc_lo, 0, v0
	s_or_not1_b32 s13, vcc_lo, exec_lo
.LBB12_6145:                            ;   in Loop: Header=BB12_6074 Depth=3
	s_or_b32 exec_lo, exec_lo, s14
	s_and_saveexec_b32 s14, s11
	s_cbranch_execz .LBB12_6147
; %bb.6146:                             ;   in Loop: Header=BB12_6074 Depth=3
	ds_load_b32 v0, v0 offset:784
	s_wait_dscnt 0x0
	v_and_b32_e32 v0, 15, v0
	s_delay_alu instid0(VALU_DEP_1) | instskip(SKIP_3) | instid1(SALU_CYCLE_1)
	v_cmp_eq_u32_e32 vcc_lo, 0, v0
	s_and_b32 s15, s13, vcc_lo
	s_and_not1_b32 s13, s13, exec_lo
	s_and_b32 s15, s15, exec_lo
	s_or_b32 s13, s13, s15
.LBB12_6147:                            ;   in Loop: Header=BB12_6074 Depth=3
	s_or_b32 exec_lo, exec_lo, s14
	s_xor_b32 s13, s13, -1
	s_delay_alu instid0(SALU_CYCLE_1) | instskip(SKIP_1) | instid1(VALU_DEP_1)
	v_cndmask_b32_e64 v0, 0, 1, s13
	s_mov_b32 s13, -1
	v_cmp_ne_u32_e32 vcc_lo, 0, v0
	s_cbranch_vccz .LBB12_6161
; %bb.6148:                             ;   in Loop: Header=BB12_6074 Depth=3
	s_mov_b32 s77, -1
	v_mov_b32_e32 v0, 0
	s_cbranch_execnz .LBB12_6162
.LBB12_6149:                            ;   in Loop: Header=BB12_6074 Depth=3
	s_clause 0x1
	scratch_load_b32 v1, off, s33 offset:360
	scratch_load_b64 v[6:7], off, s33 offset:348
	v_ashrrev_i32_e32 v0, 31, v5
	s_mov_b32 s14, 0
	s_mov_b32 s13, exec_lo
                                        ; implicit-def: $vgpr8_vgpr9
                                        ; implicit-def: $vgpr12_vgpr13
                                        ; implicit-def: $vgpr16_vgpr17
                                        ; implicit-def: $vgpr20_vgpr21
	s_delay_alu instid0(VALU_DEP_1) | instskip(NEXT) | instid1(VALU_DEP_1)
	v_lshrrev_b32_e32 v0, 21, v0
	v_add_nc_u32_e32 v0, v5, v0
	s_delay_alu instid0(VALU_DEP_1) | instskip(SKIP_1) | instid1(VALU_DEP_1)
	v_ashrrev_i32_e32 v0, 11, v0
	s_wait_loadcnt 0x1
	v_sub_nc_u32_e32 v29, v0, v1
	s_wait_loadcnt 0x0
	v_add_nc_u64_e32 v[64:65], v[72:73], v[6:7]
	v_add_nc_u64_e32 v[54:55], v[52:53], v[6:7]
	s_wait_xcnt 0x0
	v_cmpx_lt_i32_e32 0, v29
	s_cbranch_execz .LBB12_6164
; %bb.6150:                             ;   in Loop: Header=BB12_6074 Depth=3
	scratch_load_b64 v[6:7], off, s33 offset:348 ; 8-byte Folded Reload
	s_mov_b32 s40, 0
                                        ; implicit-def: $sgpr15
                                        ; implicit-def: $vgpr8_vgpr9
                                        ; implicit-def: $vgpr12_vgpr13
                                        ; implicit-def: $vgpr16_vgpr17
                                        ; implicit-def: $vgpr20_vgpr21
	s_wait_loadcnt 0x0
	v_add_nc_u64_e32 v[66:67], v[62:63], v[6:7]
	s_branch .LBB12_6152
.LBB12_6151:                            ;   in Loop: Header=BB12_6152 Depth=4
	s_or_b32 exec_lo, exec_lo, s41
	s_wait_loadcnt 0x3
	global_store_b128 v[64:65], v[24:27], off th:TH_STORE_NT
	s_wait_loadcnt 0x2
	global_store_b128 v[64:65], v[32:35], off offset:512 th:TH_STORE_NT
	s_wait_loadcnt 0x1
	global_store_b128 v[64:65], v[36:39], off offset:1024 th:TH_STORE_NT
	;; [unrolled: 2-line block ×3, first 2 shown]
	s_wait_xcnt 0x0
	v_add_nc_u64_e32 v[64:65], 0x800, v[64:65]
	s_clause 0x3
	global_store_b128 v[54:55], v[24:27], off th:TH_STORE_NT
	global_store_b128 v[54:55], v[32:35], off offset:512 th:TH_STORE_NT
	global_store_b128 v[54:55], v[36:39], off offset:1024 th:TH_STORE_NT
	;; [unrolled: 1-line block ×3, first 2 shown]
	s_wait_xcnt 0x3
	v_add_nc_u64_e32 v[24:25], 0x800, v[54:55]
	v_sub_nc_u32_e32 v29, v1, v6
	v_add_nc_u64_e32 v[66:67], v[66:67], v[68:69]
	v_add_nc_u64_e32 v[26:27], v[64:65], v[92:93]
	s_delay_alu instid0(VALU_DEP_3) | instskip(SKIP_3) | instid1(VALU_DEP_3)
	v_cmp_gt_i32_e32 vcc_lo, 1, v29
	s_wait_xcnt 0x2
	v_add_nc_u64_e32 v[32:33], v[24:25], v[92:93]
	s_or_b32 s14, vcc_lo, s14
	v_dual_cndmask_b32 v65, v65, v27, s40 :: v_dual_cndmask_b32 v64, v64, v26, s40
	s_wait_xcnt 0x0
	s_delay_alu instid0(VALU_DEP_2) | instskip(SKIP_2) | instid1(SALU_CYCLE_1)
	v_dual_cndmask_b32 v55, v25, v33, s40 :: v_dual_cndmask_b32 v54, v24, v32, s40
	s_and_not1_b32 s15, s15, exec_lo
	s_and_b32 s41, s40, exec_lo
	s_or_b32 s15, s15, s41
	s_and_not1_b32 exec_lo, exec_lo, s14
	s_cbranch_execz .LBB12_6163
.LBB12_6152:                            ;   Parent Loop BB12_47 Depth=1
                                        ;     Parent Loop BB12_6071 Depth=2
                                        ;       Parent Loop BB12_6074 Depth=3
                                        ; =>      This Inner Loop Header: Depth=4
	s_clause 0x3
	global_load_b128 v[24:27], v[66:67], off th:TH_LOAD_NT
	global_load_b128 v[32:35], v[66:67], off offset:512 th:TH_LOAD_NT
	global_load_b128 v[36:39], v[66:67], off offset:1024 th:TH_LOAD_NT
	;; [unrolled: 1-line block ×3, first 2 shown]
	s_wait_xcnt 0x0
	s_and_saveexec_b32 s41, s40
	s_cbranch_execz .LBB12_6154
; %bb.6153:                             ;   in Loop: Header=BB12_6152 Depth=4
	v_add_nc_u64_e32 v[6:7], 0x800, v[92:93]
	s_clause 0x3
	global_store_b128 v[64:65], v[8:11], off th:TH_STORE_NT
	global_store_b128 v[64:65], v[12:15], off offset:512 th:TH_STORE_NT
	global_store_b128 v[64:65], v[16:19], off offset:1024 th:TH_STORE_NT
	;; [unrolled: 1-line block ×3, first 2 shown]
	s_clause 0x3
	global_store_b128 v[54:55], v[8:11], off th:TH_STORE_NT
	global_store_b128 v[54:55], v[12:15], off offset:512 th:TH_STORE_NT
	global_store_b128 v[54:55], v[16:19], off offset:1024 th:TH_STORE_NT
	;; [unrolled: 1-line block ×3, first 2 shown]
	s_wait_xcnt 0x4
	v_add_nc_u64_e32 v[64:65], v[64:65], v[6:7]
	s_wait_xcnt 0x0
	v_add_nc_u64_e32 v[54:55], v[54:55], v[6:7]
.LBB12_6154:                            ;   in Loop: Header=BB12_6152 Depth=4
	s_or_b32 exec_lo, exec_lo, s41
	v_add_nc_u64_e32 v[6:7], 0x800, v[92:93]
	v_sub_nc_u32_e32 v1, v29, v60
	v_mov_b64_e32 v[68:69], 0
	s_delay_alu instid0(VALU_DEP_3) | instskip(SKIP_1) | instid1(VALU_DEP_4)
	v_add_nc_u64_e32 v[66:67], v[66:67], v[6:7]
	v_mov_b32_e32 v6, 0
	v_cmp_lt_i32_e64 s40, 0, v1
	s_and_saveexec_b32 s41, s40
	s_cbranch_execz .LBB12_6151
; %bb.6155:                             ;   in Loop: Header=BB12_6152 Depth=4
	s_clause 0x3
	global_load_b128 v[8:11], v[66:67], off th:TH_LOAD_NT
	global_load_b128 v[12:15], v[66:67], off offset:512 th:TH_LOAD_NT
	global_load_b128 v[16:19], v[66:67], off offset:1024 th:TH_LOAD_NT
	;; [unrolled: 1-line block ×3, first 2 shown]
	s_wait_xcnt 0x0
	v_add_nc_u64_e32 v[66:67], 0x800, v[66:67]
	v_mov_b64_e32 v[68:69], v[92:93]
	v_mov_b32_e32 v6, v60
	s_branch .LBB12_6151
.LBB12_6156:                            ;   in Loop: Header=BB12_6074 Depth=3
	s_mov_b32 s13, 0
	s_and_saveexec_b32 s14, s2
	s_cbranch_execnz .LBB12_6272
.LBB12_6157:                            ;   in Loop: Header=BB12_6074 Depth=3
	s_or_b32 exec_lo, exec_lo, s14
                                        ; implicit-def: $vgpr0
	s_and_saveexec_b32 s14, s12
	s_delay_alu instid0(SALU_CYCLE_1)
	s_xor_b32 s14, exec_lo, s14
	s_cbranch_execz .LBB12_6290
.LBB12_6158:                            ;   in Loop: Header=BB12_6074 Depth=3
	v_and_b32_e32 v0, 16, v126
	s_delay_alu instid0(VALU_DEP_1) | instskip(SKIP_2) | instid1(SALU_CYCLE_1)
	v_cmp_ne_u32_e32 vcc_lo, 0, v0
	v_and_b32_e32 v0, 16, v126
	s_and_b32 s15, vcc_lo, s13
	s_and_saveexec_b32 s13, s15
	s_cbranch_execz .LBB12_6160
; %bb.6159:                             ;   in Loop: Header=BB12_6074 Depth=3
	v_mov_b32_e32 v0, 1
	global_wb scope:SCOPE_SYS
	s_wait_storecnt 0x0
	s_wait_loadcnt_dscnt 0x0
	global_inv scope:SCOPE_SYS
.LBB12_6160:                            ;   in Loop: Header=BB12_6074 Depth=3
	s_or_b32 exec_lo, exec_lo, s13
	s_and_not1_saveexec_b32 s13, s14
	s_cbranch_execz .LBB12_6309
	s_branch .LBB12_6291
.LBB12_6161:                            ;   in Loop: Header=BB12_6074 Depth=3
	s_mov_b32 s77, 0
	v_mov_b32_e32 v0, 0
	s_and_not1_b32 vcc_lo, exec_lo, s13
	s_cbranch_vccz .LBB12_6149
.LBB12_6162:                            ;   in Loop: Header=BB12_6074 Depth=3
	s_clause 0x1
	scratch_load_b32 v8, off, s33 offset:356
	scratch_load_b32 v6, off, s33 offset:328
	v_mov_b32_e32 v1, v5
	s_wait_xcnt 0x0
	s_and_saveexec_b32 s15, s77
	s_cbranch_execnz .LBB12_6188
	s_branch .LBB12_6213
.LBB12_6163:                            ;   in Loop: Header=BB12_6074 Depth=3
	s_or_b32 exec_lo, exec_lo, s14
	s_delay_alu instid0(SALU_CYCLE_1)
	s_and_b32 s14, s15, exec_lo
.LBB12_6164:                            ;   in Loop: Header=BB12_6074 Depth=3
	s_or_b32 exec_lo, exec_lo, s13
	s_and_saveexec_b32 s13, s14
	s_cbranch_execz .LBB12_6166
; %bb.6165:                             ;   in Loop: Header=BB12_6074 Depth=3
	s_clause 0x3
	global_store_b128 v[64:65], v[8:11], off th:TH_STORE_NT
	global_store_b128 v[64:65], v[12:15], off offset:512 th:TH_STORE_NT
	global_store_b128 v[64:65], v[16:19], off offset:1024 th:TH_STORE_NT
	;; [unrolled: 1-line block ×3, first 2 shown]
	s_clause 0x3
	global_store_b128 v[54:55], v[8:11], off th:TH_STORE_NT
	global_store_b128 v[54:55], v[12:15], off offset:512 th:TH_STORE_NT
	global_store_b128 v[54:55], v[16:19], off offset:1024 th:TH_STORE_NT
	;; [unrolled: 1-line block ×3, first 2 shown]
.LBB12_6166:                            ;   in Loop: Header=BB12_6074 Depth=3
	s_wait_xcnt 0x0
	s_or_b32 exec_lo, exec_lo, s13
	v_lshlrev_b32_e32 v7, 11, v0
	s_mov_b32 s78, exec_lo
                                        ; implicit-def: $vgpr1
                                        ; implicit-def: $vgpr0
                                        ; implicit-def: $vgpr8
                                        ; implicit-def: $vgpr6
	s_delay_alu instid0(VALU_DEP_1)
	v_cmpx_ne_u32_e64 v5, v7
	s_cbranch_execz .LBB12_6187
; %bb.6167:                             ;   in Loop: Header=BB12_6074 Depth=3
	scratch_load_b32 v1, off, s33 offset:328 ; 4-byte Folded Reload
	v_dual_lshlrev_b32 v0, 5, v29 :: v_dual_sub_nc_u32 v6, v5, v7
	s_mov_b32 s14, 0
	s_mov_b32 s79, exec_lo
	s_wait_loadcnt 0x0
	s_delay_alu instid0(VALU_DEP_1) | instskip(NEXT) | instid1(VALU_DEP_1)
	v_dual_ashrrev_i32 v9, 31, v6 :: v_dual_sub_nc_u32 v0, v1, v0
	v_ashrrev_i32_e32 v1, 31, v0
	s_delay_alu instid0(VALU_DEP_1) | instskip(NEXT) | instid1(VALU_DEP_1)
	v_lshrrev_b32_e32 v1, 27, v1
	v_add_nc_u32_e32 v1, v0, v1
	s_delay_alu instid0(VALU_DEP_1) | instskip(NEXT) | instid1(VALU_DEP_1)
	v_and_b32_e32 v8, 0xffffffe0, v1
	v_dual_sub_nc_u32 v22, v0, v8 :: v_dual_lshrrev_b32 v0, 23, v9
	s_delay_alu instid0(VALU_DEP_1) | instskip(NEXT) | instid1(VALU_DEP_2)
	v_dual_lshlrev_b32 v8, 4, v22 :: v_dual_ashrrev_i32 v1, 5, v1
	v_add_nc_u32_e32 v0, v6, v0
	s_delay_alu instid0(VALU_DEP_2) | instskip(NEXT) | instid1(VALU_DEP_2)
	v_lshl_add_u32 v8, v1, 9, v8
	v_and_b32_e32 v23, 0xfffffe00, v0
	s_delay_alu instid0(VALU_DEP_2) | instskip(NEXT) | instid1(VALU_DEP_1)
	v_dual_ashrrev_i32 v0, 9, v0 :: v_dual_add_nc_u32 v10, v8, v7
	v_dual_sub_nc_u32 v24, v6, v23 :: v_dual_ashrrev_i32 v11, 31, v10
	s_delay_alu instid0(VALU_DEP_1) | instskip(NEXT) | instid1(VALU_DEP_2)
	v_cmp_lt_i32_e64 s13, 15, v24
	v_add_nc_u64_e32 v[16:17], v[10:11], v[72:73]
	s_delay_alu instid0(VALU_DEP_2) | instskip(SKIP_1) | instid1(VALU_DEP_2)
	v_add_co_ci_u32_e64 v9, null, 0, v0, s13
	v_add_nc_u64_e32 v[18:19], v[10:11], v[52:53]
	v_dual_sub_nc_u32 v0, v6, v8 :: v_dual_sub_nc_u32 v25, v9, v1
                                        ; implicit-def: $vgpr8_vgpr9
	s_wait_xcnt 0x0
	s_delay_alu instid0(VALU_DEP_1)
	v_cmpx_lt_i32_e32 15, v0
	s_cbranch_execz .LBB12_6181
; %bb.6168:                             ;   in Loop: Header=BB12_6074 Depth=3
	v_add_nc_u64_e32 v[20:21], v[10:11], v[62:63]
	s_mov_b32 s90, 0
	s_mov_b32 s88, 0
                                        ; implicit-def: $sgpr89
                                        ; implicit-def: $vgpr8_vgpr9
	s_branch .LBB12_6170
.LBB12_6169:                            ;   in Loop: Header=BB12_6170 Depth=4
	s_wait_xcnt 0x0
	s_or_b32 exec_lo, exec_lo, s14
	v_cmp_gt_i32_e32 vcc_lo, 16, v0
	s_or_b32 s88, vcc_lo, s88
	s_and_not1_b32 s14, s89, exec_lo
	s_and_b32 s15, s90, exec_lo
	s_delay_alu instid0(SALU_CYCLE_1)
	s_or_b32 s89, s14, s15
	s_and_not1_b32 exec_lo, exec_lo, s88
	s_cbranch_execz .LBB12_6180
.LBB12_6170:                            ;   Parent Loop BB12_47 Depth=1
                                        ;     Parent Loop BB12_6071 Depth=2
                                        ;       Parent Loop BB12_6074 Depth=3
                                        ; =>      This Loop Header: Depth=4
                                        ;           Child Loop BB12_6172 Depth 5
                                        ;           Child Loop BB12_6177 Depth 5
	global_load_b128 v[12:15], v[20:21], off th:TH_LOAD_NT
	s_wait_xcnt 0x0
	s_and_saveexec_b32 s91, s90
	s_cbranch_execz .LBB12_6174
; %bb.6171:                             ;   in Loop: Header=BB12_6170 Depth=4
	s_mov_b64 s[40:41], 0
	s_mov_b32 s90, -1
.LBB12_6172:                            ;   Parent Loop BB12_47 Depth=1
                                        ;     Parent Loop BB12_6071 Depth=2
                                        ;       Parent Loop BB12_6074 Depth=3
                                        ;         Parent Loop BB12_6170 Depth=4
                                        ; =>        This Inner Loop Header: Depth=5
	s_cmp_eq_u32 s40, 1
	s_cselect_b32 vcc_lo, -1, 0
	s_cmp_eq_u32 s40, 0
	s_wait_xcnt 0x0
	v_dual_cndmask_b32 v27, v17, v19 :: v_dual_cndmask_b32 v26, v16, v18
	s_cselect_b32 s14, -1, 0
	s_and_b32 s15, exec_lo, s90
	s_mov_b64 s[40:41], 1
	s_mov_b32 s90, 0
	v_add_nc_u64_e32 v[32:33], 0x200, v[26:27]
	s_wait_loadcnt 0x1
	global_store_b128 v[26:27], v[8:11], off th:TH_STORE_NT
	v_dual_cndmask_b32 v19, v19, v33 :: v_dual_cndmask_b32 v18, v18, v32
	v_dual_cndmask_b32 v17, v17, v33, s14 :: v_dual_cndmask_b32 v16, v16, v32, s14
	s_mov_b32 vcc_lo, s15
	s_cbranch_vccnz .LBB12_6172
; %bb.6173:                             ;   in Loop: Header=BB12_6170 Depth=4
	scratch_load_b64 v[26:27], off, s33 offset:256 ; 8-byte Folded Reload
	s_wait_loadcnt 0x0
	v_add_nc_u64_e32 v[16:17], v[16:17], v[26:27]
	v_add_nc_u64_e32 v[18:19], v[18:19], v[26:27]
.LBB12_6174:                            ;   in Loop: Header=BB12_6170 Depth=4
	s_wait_xcnt 0x0
	s_or_b32 exec_lo, exec_lo, s91
	scratch_load_b64 v[26:27], off, s33 offset:264 ; 8-byte Folded Reload
	v_lshlrev_b32_e32 v1, 9, v60
	s_delay_alu instid0(VALU_DEP_1) | instskip(NEXT) | instid1(VALU_DEP_1)
	v_sub_nc_u32_e32 v0, v0, v1
	v_cmp_lt_i32_e64 s90, 15, v0
	s_wait_loadcnt 0x0
	v_add_nc_u64_e32 v[20:21], v[26:27], v[20:21]
	s_wait_xcnt 0x0
	s_and_saveexec_b32 s14, s90
	s_cbranch_execz .LBB12_6176
; %bb.6175:                             ;   in Loop: Header=BB12_6170 Depth=4
	global_load_b128 v[8:11], v[20:21], off th:TH_LOAD_NT
	s_wait_xcnt 0x0
	v_add_nc_u64_e32 v[20:21], 0x200, v[20:21]
.LBB12_6176:                            ;   in Loop: Header=BB12_6170 Depth=4
	s_or_b32 exec_lo, exec_lo, s14
	s_mov_b64 s[40:41], 0
	s_mov_b32 s91, -1
.LBB12_6177:                            ;   Parent Loop BB12_47 Depth=1
                                        ;     Parent Loop BB12_6071 Depth=2
                                        ;       Parent Loop BB12_6074 Depth=3
                                        ;         Parent Loop BB12_6170 Depth=4
                                        ; =>        This Inner Loop Header: Depth=5
	s_cmp_eq_u32 s40, 1
	s_cselect_b32 vcc_lo, -1, 0
	s_cmp_eq_u32 s40, 0
	s_wait_xcnt 0x0
	v_dual_cndmask_b32 v27, v17, v19 :: v_dual_cndmask_b32 v26, v16, v18
	s_cselect_b32 s14, -1, 0
	s_and_b32 s15, exec_lo, s91
	s_mov_b64 s[40:41], 1
	s_mov_b32 s91, 0
	v_add_nc_u64_e32 v[32:33], 0x200, v[26:27]
	global_store_b128 v[26:27], v[12:15], off th:TH_STORE_NT
	v_dual_cndmask_b32 v19, v19, v33 :: v_dual_cndmask_b32 v18, v18, v32
	v_dual_cndmask_b32 v17, v17, v33, s14 :: v_dual_cndmask_b32 v16, v16, v32, s14
	s_mov_b32 vcc_lo, s15
	s_cbranch_vccnz .LBB12_6177
; %bb.6178:                             ;   in Loop: Header=BB12_6170 Depth=4
	v_sub_nc_u32_e32 v25, v25, v60
	s_wait_xcnt 0x0
	s_and_saveexec_b32 s14, s90
	s_cbranch_execz .LBB12_6169
; %bb.6179:                             ;   in Loop: Header=BB12_6170 Depth=4
	scratch_load_b64 v[12:13], off, s33 offset:256 ; 8-byte Folded Reload
	v_dual_lshlrev_b32 v1, 9, v60 :: v_dual_sub_nc_u32 v25, v25, v60
	s_delay_alu instid0(VALU_DEP_1)
	v_sub_nc_u32_e32 v0, v0, v1
	s_wait_loadcnt 0x0
	v_add_nc_u64_e32 v[16:17], v[16:17], v[12:13]
	v_add_nc_u64_e32 v[18:19], v[18:19], v[12:13]
	;; [unrolled: 1-line block ×3, first 2 shown]
	s_branch .LBB12_6169
.LBB12_6180:                            ;   in Loop: Header=BB12_6074 Depth=3
	s_or_b32 exec_lo, exec_lo, s88
	s_delay_alu instid0(SALU_CYCLE_1)
	s_and_b32 s14, s89, exec_lo
.LBB12_6181:                            ;   in Loop: Header=BB12_6074 Depth=3
	s_or_b32 exec_lo, exec_lo, s79
	s_and_saveexec_b32 s79, s14
	s_cbranch_execz .LBB12_6184
; %bb.6182:                             ;   in Loop: Header=BB12_6074 Depth=3
	s_mov_b64 s[40:41], 0
	s_mov_b32 s88, -1
.LBB12_6183:                            ;   Parent Loop BB12_47 Depth=1
                                        ;     Parent Loop BB12_6071 Depth=2
                                        ;       Parent Loop BB12_6074 Depth=3
                                        ; =>      This Inner Loop Header: Depth=4
	s_cmp_eq_u32 s40, 1
	s_cselect_b32 vcc_lo, -1, 0
	s_cmp_eq_u32 s40, 0
	s_wait_xcnt 0x0
	v_dual_cndmask_b32 v1, v17, v19 :: v_dual_cndmask_b32 v0, v16, v18
	s_cselect_b32 s14, -1, 0
	s_and_b32 s15, exec_lo, s88
	s_mov_b64 s[40:41], 1
	s_mov_b32 s88, 0
	v_add_nc_u64_e32 v[12:13], 0x200, v[0:1]
	s_wait_loadcnt 0x0
	global_store_b128 v[0:1], v[8:11], off th:TH_STORE_NT
	v_dual_cndmask_b32 v19, v19, v13 :: v_dual_cndmask_b32 v18, v18, v12
	v_dual_cndmask_b32 v17, v17, v13, s14 :: v_dual_cndmask_b32 v16, v16, v12, s14
	s_mov_b32 vcc_lo, s15
	s_cbranch_vccnz .LBB12_6183
.LBB12_6184:                            ;   in Loop: Header=BB12_6074 Depth=3
	s_wait_xcnt 0x0
	s_or_b32 exec_lo, exec_lo, s79
	s_wait_loadcnt 0x0
	v_and_b32_e32 v9, 14, v5
	s_mov_b32 s15, s77
	s_mov_b32 s14, exec_lo
                                        ; implicit-def: $vgpr0
                                        ; implicit-def: $vgpr8
                                        ; implicit-def: $vgpr6
	s_delay_alu instid0(VALU_DEP_1) | instskip(NEXT) | instid1(VALU_DEP_1)
	v_cndmask_b32_e64 v1, v24, v9, s13
	v_cmpx_ne_u32_e32 0, v1
	s_cbranch_execz .LBB12_6186
; %bb.6185:                             ;   in Loop: Header=BB12_6074 Depth=3
	v_cmp_lt_i32_e32 vcc_lo, 0, v25
	s_or_b32 s15, s77, exec_lo
	v_dual_sub_nc_u32 v6, v24, v9 :: v_dual_cndmask_b32 v0, 0, v60, vcc_lo
	s_delay_alu instid0(VALU_DEP_1) | instskip(NEXT) | instid1(VALU_DEP_1)
	v_dual_cndmask_b32 v6, 0, v6, s13 :: v_dual_sub_nc_u32 v0, v0, v25
	v_lshl_add_u32 v8, v0, 5, v22
	s_delay_alu instid0(VALU_DEP_1) | instskip(NEXT) | instid1(VALU_DEP_1)
	v_ashrrev_i32_e32 v0, 31, v8
	v_lshrrev_b32_e32 v0, 27, v0
	s_delay_alu instid0(VALU_DEP_1) | instskip(NEXT) | instid1(VALU_DEP_1)
	v_add_nc_u32_e32 v0, v8, v0
	v_and_b32_e32 v9, 0xffffffe0, v0
	v_add3_u32 v0, v23, v7, v6
	s_delay_alu instid0(VALU_DEP_2)
	v_sub_nc_u32_e32 v6, v8, v9
.LBB12_6186:                            ;   in Loop: Header=BB12_6074 Depth=3
	s_or_b32 exec_lo, exec_lo, s14
	s_delay_alu instid0(SALU_CYCLE_1) | instskip(SKIP_1) | instid1(SALU_CYCLE_1)
	s_and_not1_b32 s13, s77, exec_lo
	s_and_b32 s14, s15, exec_lo
	s_or_b32 s77, s13, s14
.LBB12_6187:                            ;   in Loop: Header=BB12_6074 Depth=3
	s_or_b32 exec_lo, exec_lo, s78
	s_and_saveexec_b32 s15, s77
	s_cbranch_execz .LBB12_6213
.LBB12_6188:                            ;   in Loop: Header=BB12_6074 Depth=3
	s_wait_loadcnt 0x1
	v_ashrrev_i32_e32 v7, 31, v8
	s_mov_b32 s14, 0
	s_mov_b32 s13, exec_lo
                                        ; implicit-def: $vgpr16
                                        ; implicit-def: $vgpr17
                                        ; implicit-def: $vgpr18
                                        ; implicit-def: $vgpr19
                                        ; implicit-def: $vgpr20
                                        ; implicit-def: $vgpr21
                                        ; implicit-def: $vgpr22
                                        ; implicit-def: $vgpr23
                                        ; implicit-def: $vgpr24
                                        ; implicit-def: $vgpr25
                                        ; implicit-def: $vgpr26
                                        ; implicit-def: $vgpr27
                                        ; implicit-def: $vgpr29
                                        ; implicit-def: $vgpr31
                                        ; implicit-def: $vgpr32
                                        ; implicit-def: $vgpr33
	s_delay_alu instid0(VALU_DEP_1) | instskip(NEXT) | instid1(VALU_DEP_1)
	v_lshrrev_b32_e32 v7, 27, v7
	v_dual_add_nc_u32 v7, v8, v7 :: v_dual_ashrrev_i32 v8, 31, v1
	s_delay_alu instid0(VALU_DEP_1) | instskip(SKIP_1) | instid1(VALU_DEP_1)
	v_dual_ashrrev_i32 v9, 5, v7 :: v_dual_lshrrev_b32 v7, 22, v8
	s_wait_loadcnt 0x0
	v_dual_lshlrev_b32 v8, 1, v6 :: v_dual_lshlrev_b32 v10, 10, v9
	s_delay_alu instid0(VALU_DEP_1) | instskip(NEXT) | instid1(VALU_DEP_1)
	v_add3_u32 v12, v0, v8, v10
	v_dual_add_nc_u32 v7, v1, v7 :: v_dual_ashrrev_i32 v13, 31, v12
	s_delay_alu instid0(VALU_DEP_1) | instskip(NEXT) | instid1(VALU_DEP_2)
	v_ashrrev_i32_e32 v7, 10, v7
	v_add_nc_u64_e32 v[10:11], v[72:73], v[12:13]
	s_delay_alu instid0(VALU_DEP_2) | instskip(SKIP_1) | instid1(VALU_DEP_2)
	v_sub_nc_u32_e32 v34, v7, v9
	v_add_nc_u64_e32 v[8:9], v[52:53], v[12:13]
	v_cmpx_lt_i32_e32 0, v34
	s_cbranch_execz .LBB12_6196
; %bb.6189:                             ;   in Loop: Header=BB12_6074 Depth=3
	v_add_nc_u64_e32 v[12:13], v[12:13], v[62:63]
	s_mov_b32 s41, 0
                                        ; implicit-def: $sgpr40
                                        ; implicit-def: $vgpr16
                                        ; implicit-def: $vgpr17
                                        ; implicit-def: $vgpr18
                                        ; implicit-def: $vgpr19
                                        ; implicit-def: $vgpr20
                                        ; implicit-def: $vgpr21
                                        ; implicit-def: $vgpr22
                                        ; implicit-def: $vgpr23
                                        ; implicit-def: $vgpr24
                                        ; implicit-def: $vgpr25
                                        ; implicit-def: $vgpr26
                                        ; implicit-def: $vgpr27
                                        ; implicit-def: $vgpr29
                                        ; implicit-def: $vgpr31
                                        ; implicit-def: $vgpr32
                                        ; implicit-def: $vgpr33
	s_branch .LBB12_6191
.LBB12_6190:                            ;   in Loop: Header=BB12_6191 Depth=4
	s_or_b32 exec_lo, exec_lo, s77
	s_wait_loadcnt_dscnt 0xf0f
	flat_store_b16 v[10:11], v51 th:TH_STORE_NT
	s_wait_loadcnt_dscnt 0xe0f
	flat_store_b16 v[10:11], v54 offset:64 th:TH_STORE_NT
	s_wait_loadcnt_dscnt 0xd0f
	flat_store_b16 v[10:11], v55 offset:128 th:TH_STORE_NT
	;; [unrolled: 2-line block ×15, first 2 shown]
	s_wait_xcnt 0x0
	v_add_nc_u64_e32 v[10:11], 0x400, v[10:11]
	v_add_nc_u64_e32 v[70:71], 0x400, v[8:9]
	s_clause 0x7
	flat_store_b16 v[8:9], v51 th:TH_STORE_NT
	flat_store_b16 v[8:9], v54 offset:64 th:TH_STORE_NT
	flat_store_b16 v[8:9], v55 offset:128 th:TH_STORE_NT
	;; [unrolled: 1-line block ×7, first 2 shown]
	v_add_nc_u64_e32 v[12:13], v[12:13], v[14:15]
	s_clause 0x7
	flat_store_b16 v[8:9], v35 offset:512 th:TH_STORE_NT
	flat_store_b16 v[8:9], v36 offset:576 th:TH_STORE_NT
	;; [unrolled: 1-line block ×8, first 2 shown]
	s_wait_xcnt 0xd
	v_add_nc_u64_e32 v[54:55], v[10:11], v[88:89]
	v_sub_nc_u32_e32 v34, v34, v69
	s_wait_xcnt 0xb
	v_add_nc_u64_e32 v[64:65], v[70:71], v[88:89]
	s_delay_alu instid0(VALU_DEP_3) | instskip(NEXT) | instid1(VALU_DEP_3)
	v_cndmask_b32_e64 v11, v11, v55, s41
	v_cmp_gt_i32_e32 vcc_lo, 1, v34
	s_wait_xcnt 0x0
	s_delay_alu instid0(VALU_DEP_3) | instskip(NEXT) | instid1(VALU_DEP_4)
	v_dual_cndmask_b32 v10, v10, v54, s41 :: v_dual_cndmask_b32 v9, v71, v65, s41
	v_cndmask_b32_e64 v8, v70, v64, s41
	s_or_b32 s14, vcc_lo, s14
	s_and_not1_b32 s40, s40, exec_lo
	s_and_b32 s77, s41, exec_lo
	s_delay_alu instid0(SALU_CYCLE_1)
	s_or_b32 s40, s40, s77
	s_and_not1_b32 exec_lo, exec_lo, s14
	s_cbranch_execz .LBB12_6195
.LBB12_6191:                            ;   Parent Loop BB12_47 Depth=1
                                        ;     Parent Loop BB12_6071 Depth=2
                                        ;       Parent Loop BB12_6074 Depth=3
                                        ; =>      This Inner Loop Header: Depth=4
	s_clause 0xf
	flat_load_u16 v51, v[12:13] th:TH_LOAD_NT
	flat_load_u16 v54, v[12:13] offset:64 th:TH_LOAD_NT
	flat_load_u16 v55, v[12:13] offset:128 th:TH_LOAD_NT
	;; [unrolled: 1-line block ×15, first 2 shown]
	s_wait_xcnt 0x0
	s_and_saveexec_b32 s77, s41
	s_cbranch_execz .LBB12_6193
; %bb.6192:                             ;   in Loop: Header=BB12_6191 Depth=4
	s_clause 0xf
	flat_store_b16 v[10:11], v16 th:TH_STORE_NT
	flat_store_b16 v[10:11], v17 offset:64 th:TH_STORE_NT
	flat_store_b16 v[10:11], v18 offset:128 th:TH_STORE_NT
	;; [unrolled: 1-line block ×15, first 2 shown]
	s_clause 0xf
	flat_store_b16 v[8:9], v16 th:TH_STORE_NT
	flat_store_b16 v[8:9], v17 offset:64 th:TH_STORE_NT
	flat_store_b16 v[8:9], v18 offset:128 th:TH_STORE_NT
	;; [unrolled: 1-line block ×15, first 2 shown]
	s_wait_xcnt 0x10
	v_add_nc_u64_e32 v[10:11], v[10:11], v[108:109]
	s_wait_xcnt 0x0
	v_add_nc_u64_e32 v[8:9], v[8:9], v[108:109]
.LBB12_6193:                            ;   in Loop: Header=BB12_6191 Depth=4
	s_or_b32 exec_lo, exec_lo, s77
	v_dual_mov_b32 v69, 0 :: v_dual_sub_nc_u32 v34, v34, v60
	v_add_nc_u64_e32 v[12:13], v[12:13], v[108:109]
	v_mov_b64_e32 v[14:15], 0
	s_delay_alu instid0(VALU_DEP_3)
	v_cmp_lt_i32_e64 s41, 0, v34
	s_and_saveexec_b32 s77, s41
	s_cbranch_execz .LBB12_6190
; %bb.6194:                             ;   in Loop: Header=BB12_6191 Depth=4
	s_clause 0xf
	flat_load_u16 v16, v[12:13] th:TH_LOAD_NT
	flat_load_u16 v17, v[12:13] offset:64 th:TH_LOAD_NT
	flat_load_u16 v18, v[12:13] offset:128 th:TH_LOAD_NT
	;; [unrolled: 1-line block ×15, first 2 shown]
	s_wait_xcnt 0x0
	v_add_nc_u64_e32 v[12:13], 0x400, v[12:13]
	v_mov_b64_e32 v[14:15], v[88:89]
	v_mov_b32_e32 v69, v60
	s_branch .LBB12_6190
.LBB12_6195:                            ;   in Loop: Header=BB12_6074 Depth=3
	s_or_b32 exec_lo, exec_lo, s14
	s_delay_alu instid0(SALU_CYCLE_1)
	s_and_b32 s14, s40, exec_lo
.LBB12_6196:                            ;   in Loop: Header=BB12_6074 Depth=3
	s_or_b32 exec_lo, exec_lo, s13
	s_and_saveexec_b32 s13, s14
	s_cbranch_execz .LBB12_6198
; %bb.6197:                             ;   in Loop: Header=BB12_6074 Depth=3
	s_clause 0xf
	flat_store_b16 v[10:11], v16 th:TH_STORE_NT
	flat_store_b16 v[10:11], v17 offset:64 th:TH_STORE_NT
	flat_store_b16 v[10:11], v18 offset:128 th:TH_STORE_NT
	;; [unrolled: 1-line block ×15, first 2 shown]
	s_clause 0xf
	flat_store_b16 v[8:9], v16 th:TH_STORE_NT
	flat_store_b16 v[8:9], v17 offset:64 th:TH_STORE_NT
	flat_store_b16 v[8:9], v18 offset:128 th:TH_STORE_NT
	flat_store_b16 v[8:9], v19 offset:192 th:TH_STORE_NT
	flat_store_b16 v[8:9], v20 offset:256 th:TH_STORE_NT
	flat_store_b16 v[8:9], v21 offset:320 th:TH_STORE_NT
	flat_store_b16 v[8:9], v22 offset:384 th:TH_STORE_NT
	flat_store_b16 v[8:9], v23 offset:448 th:TH_STORE_NT
	flat_store_b16 v[8:9], v24 offset:512 th:TH_STORE_NT
	flat_store_b16 v[8:9], v25 offset:576 th:TH_STORE_NT
	flat_store_b16 v[8:9], v26 offset:640 th:TH_STORE_NT
	flat_store_b16 v[8:9], v27 offset:704 th:TH_STORE_NT
	flat_store_b16 v[8:9], v29 offset:768 th:TH_STORE_NT
	flat_store_b16 v[8:9], v31 offset:832 th:TH_STORE_NT
	flat_store_b16 v[8:9], v32 offset:896 th:TH_STORE_NT
	flat_store_b16 v[8:9], v33 offset:960 th:TH_STORE_NT
.LBB12_6198:                            ;   in Loop: Header=BB12_6074 Depth=3
	s_wait_xcnt 0x0
	s_or_b32 exec_lo, exec_lo, s13
	v_lshlrev_b32_e32 v7, 10, v7
	s_delay_alu instid0(VALU_DEP_1)
	v_cmp_ne_u32_e32 vcc_lo, v1, v7
	s_and_b32 exec_lo, exec_lo, vcc_lo
	s_cbranch_execz .LBB12_6213
; %bb.6199:                             ;   in Loop: Header=BB12_6074 Depth=3
	v_lshlrev_b32_e32 v8, 5, v34
	s_delay_alu instid0(VALU_DEP_1) | instskip(NEXT) | instid1(VALU_DEP_1)
	v_sub_nc_u32_e32 v6, v6, v8
	v_ashrrev_i32_e32 v8, 31, v6
	s_delay_alu instid0(VALU_DEP_1) | instskip(NEXT) | instid1(VALU_DEP_1)
	v_lshrrev_b32_e32 v8, 27, v8
	v_add_nc_u32_e32 v8, v6, v8
	s_delay_alu instid0(VALU_DEP_1) | instskip(NEXT) | instid1(VALU_DEP_1)
	v_and_b32_e32 v9, 0x7fffffe0, v8
	v_dual_lshlrev_b32 v8, 1, v8 :: v_dual_sub_nc_u32 v6, v6, v9
	s_delay_alu instid0(VALU_DEP_1) | instskip(NEXT) | instid1(VALU_DEP_2)
	v_and_b32_e32 v8, 0xffffffc0, v8
	v_lshlrev_b32_e32 v6, 1, v6
	s_delay_alu instid0(VALU_DEP_1) | instskip(NEXT) | instid1(VALU_DEP_1)
	v_add3_u32 v7, v8, v6, v7
	v_sub_nc_u32_e32 v6, v1, v7
	s_delay_alu instid0(VALU_DEP_1)
	v_cmp_lt_i32_e32 vcc_lo, 1, v6
	s_and_b32 exec_lo, exec_lo, vcc_lo
	s_cbranch_execz .LBB12_6213
; %bb.6200:                             ;   in Loop: Header=BB12_6074 Depth=3
	s_trap 2
	ds_load_b64 v[12:13], v0
	v_add_nc_u32_e32 v0, v7, v0
	s_mov_b32 s79, 0
	s_mov_b32 s77, 0
                                        ; implicit-def: $sgpr78
	s_delay_alu instid0(VALU_DEP_1) | instskip(NEXT) | instid1(VALU_DEP_1)
	v_ashrrev_i32_e32 v1, 31, v0
	v_add_nc_u64_e32 v[8:9], v[72:73], v[0:1]
	v_add_nc_u64_e32 v[10:11], v[52:53], v[0:1]
	s_wait_dscnt 0x0
	v_add_nc_u64_e32 v[12:13], v[12:13], v[0:1]
                                        ; implicit-def: $vgpr0
.LBB12_6201:                            ;   Parent Loop BB12_47 Depth=1
                                        ;     Parent Loop BB12_6071 Depth=2
                                        ;       Parent Loop BB12_6074 Depth=3
                                        ; =>      This Loop Header: Depth=4
                                        ;           Child Loop BB12_6203 Depth 5
                                        ;           Child Loop BB12_6208 Depth 5
	flat_load_u16 v1, v[12:13] th:TH_LOAD_NT
	s_wait_xcnt 0x0
	s_and_saveexec_b32 s88, s79
	s_cbranch_execz .LBB12_6205
; %bb.6202:                             ;   in Loop: Header=BB12_6201 Depth=4
	s_mov_b64 s[40:41], 0
	s_mov_b32 s79, -1
.LBB12_6203:                            ;   Parent Loop BB12_47 Depth=1
                                        ;     Parent Loop BB12_6071 Depth=2
                                        ;       Parent Loop BB12_6074 Depth=3
                                        ;         Parent Loop BB12_6201 Depth=4
                                        ; =>        This Inner Loop Header: Depth=5
	s_cmp_eq_u32 s40, 1
	s_cselect_b32 vcc_lo, -1, 0
	s_cmp_eq_u32 s40, 0
	s_wait_xcnt 0x0
	v_dual_cndmask_b32 v15, v9, v11 :: v_dual_cndmask_b32 v14, v8, v10
	s_cselect_b32 s13, -1, 0
	s_and_b32 s14, exec_lo, s79
	s_mov_b64 s[40:41], 1
	s_mov_b32 s79, 0
	v_add_nc_u64_e32 v[16:17], 64, v[14:15]
	flat_store_b16 v[14:15], v0 th:TH_STORE_NT
	v_dual_cndmask_b32 v11, v11, v17 :: v_dual_cndmask_b32 v10, v10, v16
	v_dual_cndmask_b32 v9, v9, v17, s13 :: v_dual_cndmask_b32 v8, v8, v16, s13
	s_mov_b32 vcc_lo, s14
	s_cbranch_vccnz .LBB12_6203
; %bb.6204:                             ;   in Loop: Header=BB12_6201 Depth=4
	s_delay_alu instid0(VALU_DEP_1)
	v_add_nc_u64_e32 v[8:9], v[8:9], v[104:105]
	v_add_nc_u64_e32 v[10:11], v[10:11], v[104:105]
.LBB12_6205:                            ;   in Loop: Header=BB12_6201 Depth=4
	s_wait_xcnt 0x0
	s_or_b32 exec_lo, exec_lo, s88
	v_add_nc_u64_e32 v[14:15], 64, v[104:105]
	v_sub_nc_u32_e32 v6, v6, v111
	s_delay_alu instid0(VALU_DEP_1) | instskip(NEXT) | instid1(VALU_DEP_3)
	v_cmp_lt_i32_e64 s79, 1, v6
	v_add_nc_u64_e32 v[12:13], v[14:15], v[12:13]
	s_and_saveexec_b32 s13, s79
	s_cbranch_execz .LBB12_6207
; %bb.6206:                             ;   in Loop: Header=BB12_6201 Depth=4
	flat_load_u16 v0, v[12:13] th:TH_LOAD_NT
	s_wait_xcnt 0x0
	v_add_nc_u64_e32 v[12:13], 64, v[12:13]
.LBB12_6207:                            ;   in Loop: Header=BB12_6201 Depth=4
	s_or_b32 exec_lo, exec_lo, s13
	s_mov_b64 s[40:41], 0
	s_mov_b32 s88, -1
.LBB12_6208:                            ;   Parent Loop BB12_47 Depth=1
                                        ;     Parent Loop BB12_6071 Depth=2
                                        ;       Parent Loop BB12_6074 Depth=3
                                        ;         Parent Loop BB12_6201 Depth=4
                                        ; =>        This Inner Loop Header: Depth=5
	s_cmp_eq_u32 s40, 1
	s_cselect_b32 vcc_lo, -1, 0
	s_cmp_eq_u32 s40, 0
	s_wait_xcnt 0x0
	v_dual_cndmask_b32 v15, v9, v11 :: v_dual_cndmask_b32 v14, v8, v10
	s_cselect_b32 s13, -1, 0
	s_and_b32 s14, exec_lo, s88
	s_mov_b64 s[40:41], 1
	s_mov_b32 s88, 0
	v_add_nc_u64_e32 v[16:17], 64, v[14:15]
	s_wait_loadcnt_dscnt 0x0
	flat_store_b16 v[14:15], v1 th:TH_STORE_NT
	v_dual_cndmask_b32 v11, v11, v17 :: v_dual_cndmask_b32 v10, v10, v16
	v_dual_cndmask_b32 v9, v9, v17, s13 :: v_dual_cndmask_b32 v8, v8, v16, s13
	s_mov_b32 vcc_lo, s14
	s_cbranch_vccnz .LBB12_6208
; %bb.6209:                             ;   in Loop: Header=BB12_6201 Depth=4
	s_wait_xcnt 0x0
	v_dual_cndmask_b32 v1, 0, v111, s79 :: v_dual_cndmask_b32 v19, 0, v105, s79
	v_cndmask_b32_e64 v18, 0, v104, s79
	v_add_nc_u64_e32 v[14:15], v[10:11], v[104:105]
	v_add_nc_u64_e32 v[16:17], v[8:9], v[104:105]
	s_delay_alu instid0(VALU_DEP_4) | instskip(NEXT) | instid1(VALU_DEP_4)
	v_sub_nc_u32_e32 v6, v6, v1
	v_add_nc_u64_e32 v[12:13], v[12:13], v[18:19]
	s_delay_alu instid0(VALU_DEP_4) | instskip(NEXT) | instid1(VALU_DEP_3)
	v_dual_cndmask_b32 v11, v11, v15, s79 :: v_dual_cndmask_b32 v10, v10, v14, s79
	v_cmp_gt_i32_e32 vcc_lo, 2, v6
	v_dual_cndmask_b32 v9, v9, v17, s79 :: v_dual_cndmask_b32 v8, v8, v16, s79
	s_or_b32 s77, vcc_lo, s77
	s_and_not1_b32 s13, s78, exec_lo
	s_and_b32 s14, s79, exec_lo
	s_delay_alu instid0(SALU_CYCLE_1)
	s_or_b32 s78, s13, s14
	s_and_not1_b32 exec_lo, exec_lo, s77
	s_cbranch_execnz .LBB12_6201
; %bb.6210:                             ;   in Loop: Header=BB12_6074 Depth=3
	s_or_b32 exec_lo, exec_lo, s77
	s_delay_alu instid0(SALU_CYCLE_1)
	s_and_b32 exec_lo, exec_lo, s78
	s_cbranch_execz .LBB12_6213
; %bb.6211:                             ;   in Loop: Header=BB12_6074 Depth=3
	s_mov_b64 s[40:41], 0
	s_mov_b32 s77, -1
.LBB12_6212:                            ;   Parent Loop BB12_47 Depth=1
                                        ;     Parent Loop BB12_6071 Depth=2
                                        ;       Parent Loop BB12_6074 Depth=3
                                        ; =>      This Inner Loop Header: Depth=4
	s_cmp_eq_u32 s40, 1
	s_cselect_b32 vcc_lo, -1, 0
	s_cmp_eq_u32 s40, 0
	s_wait_xcnt 0x0
	v_dual_cndmask_b32 v7, v17, v15 :: v_dual_cndmask_b32 v6, v16, v14
	s_cselect_b32 s13, -1, 0
	s_and_b32 s14, exec_lo, s77
	s_mov_b64 s[40:41], 1
	s_mov_b32 s77, 0
	v_add_nc_u64_e32 v[8:9], 64, v[6:7]
	flat_store_b16 v[6:7], v0 th:TH_STORE_NT
	v_dual_cndmask_b32 v17, v17, v9, s13 :: v_dual_cndmask_b32 v16, v16, v8, s13
	v_dual_cndmask_b32 v15, v15, v9 :: v_dual_cndmask_b32 v14, v14, v8
	s_mov_b32 vcc_lo, s14
	s_cbranch_vccnz .LBB12_6212
.LBB12_6213:                            ;   in Loop: Header=BB12_6074 Depth=3
	s_wait_xcnt 0x0
	s_or_b32 exec_lo, exec_lo, s15
	s_mov_b32 s13, 0
.LBB12_6214:                            ;   in Loop: Header=BB12_6074 Depth=3
	s_delay_alu instid0(SALU_CYCLE_1)
	s_and_b32 vcc_lo, exec_lo, s13
	s_cbranch_vccz .LBB12_6228
; %bb.6215:                             ;   in Loop: Header=BB12_6074 Depth=3
	s_mov_b32 s13, -1
	s_and_saveexec_b32 s14, s10
	s_cbranch_execz .LBB12_6217
; %bb.6216:                             ;   in Loop: Header=BB12_6074 Depth=3
	ds_load_b32 v0, v0 offset:720
	s_wait_dscnt 0x0
	v_and_b32_e32 v0, 15, v0
	s_delay_alu instid0(VALU_DEP_1)
	v_cmp_eq_u32_e32 vcc_lo, 0, v0
	s_or_not1_b32 s13, vcc_lo, exec_lo
.LBB12_6217:                            ;   in Loop: Header=BB12_6074 Depth=3
	s_or_b32 exec_lo, exec_lo, s14
	s_and_saveexec_b32 s14, s7
	s_cbranch_execz .LBB12_6219
; %bb.6218:                             ;   in Loop: Header=BB12_6074 Depth=3
	ds_load_b32 v0, v0 offset:784
	s_wait_dscnt 0x0
	v_and_b32_e32 v0, 15, v0
	s_delay_alu instid0(VALU_DEP_1) | instskip(SKIP_3) | instid1(SALU_CYCLE_1)
	v_cmp_eq_u32_e32 vcc_lo, 0, v0
	s_and_b32 s15, s13, vcc_lo
	s_and_not1_b32 s13, s13, exec_lo
	s_and_b32 s15, s15, exec_lo
	s_or_b32 s13, s13, s15
.LBB12_6219:                            ;   in Loop: Header=BB12_6074 Depth=3
	s_or_b32 exec_lo, exec_lo, s14
	s_xor_b32 s13, s13, -1
	s_delay_alu instid0(SALU_CYCLE_1) | instskip(SKIP_1) | instid1(VALU_DEP_1)
	v_cndmask_b32_e64 v0, 0, 1, s13
	s_mov_b32 s13, -1
	v_cmp_ne_u32_e32 vcc_lo, 0, v0
	s_cbranch_vccz .LBB12_6229
; %bb.6220:                             ;   in Loop: Header=BB12_6074 Depth=3
	s_mov_b32 s14, -1
	v_mov_b32_e32 v0, 0
	s_cbranch_execnz .LBB12_6230
.LBB12_6221:                            ;   in Loop: Header=BB12_6074 Depth=3
	scratch_load_b32 v1, off, s33 offset:360 ; 4-byte Folded Reload
	s_wait_loadcnt 0x2
	scratch_load_b64 v[8:9], off, s33 offset:364 ; 8-byte Folded Reload
	v_ashrrev_i32_e32 v0, 31, v5
	s_mov_b32 s15, 0
	s_mov_b32 s13, exec_lo
                                        ; implicit-def: $vgpr12_vgpr13
                                        ; implicit-def: $vgpr16_vgpr17
                                        ; implicit-def: $vgpr20_vgpr21
                                        ; implicit-def: $vgpr24_vgpr25
                                        ; implicit-def: $vgpr32_vgpr33
                                        ; implicit-def: $vgpr36_vgpr37
                                        ; implicit-def: $vgpr48_vgpr49
	s_delay_alu instid0(VALU_DEP_1) | instskip(NEXT) | instid1(VALU_DEP_1)
	v_lshrrev_b32_e32 v0, 20, v0
	v_add_nc_u32_e32 v0, v5, v0
	s_delay_alu instid0(VALU_DEP_1) | instskip(SKIP_1) | instid1(VALU_DEP_1)
	v_ashrrev_i32_e32 v0, 12, v0
	s_wait_loadcnt 0x1
	v_sub_nc_u32_e32 v6, v0, v1
	s_wait_loadcnt 0x0
	v_add_nc_u64_e32 v[74:75], v[72:73], v[8:9]
                                        ; implicit-def: $vgpr8_vgpr9
	s_wait_xcnt 0x0
	s_delay_alu instid0(VALU_DEP_2)
	v_cmpx_lt_i32_e32 0, v6
	s_cbranch_execz .LBB12_6232
; %bb.6222:                             ;   in Loop: Header=BB12_6074 Depth=3
	scratch_load_b64 v[8:9], off, s33 offset:364 ; 8-byte Folded Reload
	s_mov_b32 s41, 0
                                        ; implicit-def: $sgpr40
                                        ; implicit-def: $vgpr12_vgpr13
                                        ; implicit-def: $vgpr16_vgpr17
                                        ; implicit-def: $vgpr20_vgpr21
                                        ; implicit-def: $vgpr24_vgpr25
                                        ; implicit-def: $vgpr32_vgpr33
                                        ; implicit-def: $vgpr36_vgpr37
                                        ; implicit-def: $vgpr48_vgpr49
	s_wait_loadcnt 0x0
	v_add_nc_u64_e32 v[76:77], v[62:63], v[8:9]
                                        ; implicit-def: $vgpr8_vgpr9
	s_branch .LBB12_6224
.LBB12_6223:                            ;   in Loop: Header=BB12_6224 Depth=4
	s_wait_xcnt 0x0
	s_or_b32 exec_lo, exec_lo, s77
	s_delay_alu instid0(VALU_DEP_1)
	v_sub_nc_u32_e32 v6, v1, v6
	s_clause 0x1
	global_store_b128 v[74:75], v[100:103], off th:TH_STORE_NT
	global_store_b128 v[74:75], v[112:115], off offset:512 th:TH_STORE_NT
	s_wait_loadcnt 0x0
	s_wait_xcnt 0x1
	v_add_nc_u64_e32 v[100:101], v[74:75], v[124:125]
	s_clause 0x5
	global_store_b128 v[74:75], v[68:71], off offset:1024 th:TH_STORE_NT
	global_store_b128 v[74:75], v[80:83], off offset:1536 th:TH_STORE_NT
	;; [unrolled: 1-line block ×6, first 2 shown]
	v_cmp_gt_i32_e32 vcc_lo, 1, v6
	v_add_nc_u64_e32 v[76:77], v[76:77], v[124:125]
	s_wait_xcnt 0x0
	v_add_nc_u64_e32 v[74:75], 0x1000, v[100:101]
	s_or_b32 s15, vcc_lo, s15
	s_and_not1_b32 s40, s40, exec_lo
	s_and_b32 s77, s41, exec_lo
	s_delay_alu instid0(SALU_CYCLE_1)
	s_or_b32 s40, s40, s77
	s_and_not1_b32 exec_lo, exec_lo, s15
	s_cbranch_execz .LBB12_6231
.LBB12_6224:                            ;   Parent Loop BB12_47 Depth=1
                                        ;     Parent Loop BB12_6071 Depth=2
                                        ;       Parent Loop BB12_6074 Depth=3
                                        ; =>      This Inner Loop Header: Depth=4
	s_clause 0x7
	global_load_b128 v[100:103], v[76:77], off th:TH_LOAD_NT
	global_load_b128 v[112:115], v[76:77], off offset:512 th:TH_LOAD_NT
	global_load_b128 v[68:71], v[76:77], off offset:1024 th:TH_LOAD_NT
	;; [unrolled: 1-line block ×7, first 2 shown]
	s_wait_xcnt 0x0
	s_and_saveexec_b32 s77, s41
	s_cbranch_execz .LBB12_6226
; %bb.6225:                             ;   in Loop: Header=BB12_6224 Depth=4
	s_clause 0x7
	global_store_b128 v[74:75], v[8:11], off th:TH_STORE_NT
	global_store_b128 v[74:75], v[12:15], off offset:512 th:TH_STORE_NT
	global_store_b128 v[74:75], v[16:19], off offset:1024 th:TH_STORE_NT
	;; [unrolled: 1-line block ×7, first 2 shown]
	scratch_load_b64 v[42:43], off, s33 offset:272 ; 8-byte Folded Reload
	s_wait_loadcnt 0x0
	s_wait_xcnt 0x1
	v_add_nc_u64_e32 v[74:75], v[74:75], v[42:43]
.LBB12_6226:                            ;   in Loop: Header=BB12_6224 Depth=4
	s_wait_xcnt 0x0
	s_or_b32 exec_lo, exec_lo, s77
	v_sub_nc_u32_e32 v1, v6, v60
	scratch_load_b64 v[6:7], off, s33 offset:272 ; 8-byte Folded Reload
	v_mov_b64_e32 v[124:125], 0
	s_wait_loadcnt 0x0
	v_add_nc_u64_e32 v[76:77], v[76:77], v[6:7]
	v_mov_b32_e32 v6, 0
	v_cmp_lt_i32_e64 s41, 0, v1
	s_wait_xcnt 0x0
	s_and_saveexec_b32 s77, s41
	s_cbranch_execz .LBB12_6223
; %bb.6227:                             ;   in Loop: Header=BB12_6224 Depth=4
	s_clause 0x7
	global_load_b128 v[8:11], v[76:77], off th:TH_LOAD_NT
	global_load_b128 v[12:15], v[76:77], off offset:512 th:TH_LOAD_NT
	global_load_b128 v[16:19], v[76:77], off offset:1024 th:TH_LOAD_NT
	;; [unrolled: 1-line block ×7, first 2 shown]
	scratch_load_b64 v[124:125], off, s33 offset:320 ; 8-byte Folded Reload
	s_wait_xcnt 0x1
	v_add_nc_u64_e32 v[76:77], 0x1000, v[76:77]
	v_mov_b32_e32 v6, v60
	s_branch .LBB12_6223
.LBB12_6228:                            ;   in Loop: Header=BB12_6074 Depth=3
	v_cmp_lt_i32_e64 s13, 0, v2
	s_and_saveexec_b32 s14, s2
	s_cbranch_execnz .LBB12_6272
	s_branch .LBB12_6157
.LBB12_6229:                            ;   in Loop: Header=BB12_6074 Depth=3
	s_mov_b32 s14, 0
	v_mov_b32_e32 v0, 0
	s_and_not1_b32 vcc_lo, exec_lo, s13
	s_cbranch_vccz .LBB12_6221
.LBB12_6230:                            ;   in Loop: Header=BB12_6074 Depth=3
	s_wait_loadcnt 0x1
	s_clause 0x1
	scratch_load_b32 v8, off, s33 offset:356
	scratch_load_b32 v1, off, s33 offset:328
	s_wait_xcnt 0x0
	s_and_saveexec_b32 s13, s14
	s_cbranch_execnz .LBB12_6251
	s_branch .LBB12_6271
.LBB12_6231:                            ;   in Loop: Header=BB12_6074 Depth=3
	s_or_b32 exec_lo, exec_lo, s15
	s_delay_alu instid0(SALU_CYCLE_1)
	s_and_b32 s15, s40, exec_lo
.LBB12_6232:                            ;   in Loop: Header=BB12_6074 Depth=3
	s_or_b32 exec_lo, exec_lo, s13
	s_and_saveexec_b32 s13, s15
	s_cbranch_execz .LBB12_6234
; %bb.6233:                             ;   in Loop: Header=BB12_6074 Depth=3
	s_clause 0x7
	global_store_b128 v[74:75], v[8:11], off th:TH_STORE_NT
	global_store_b128 v[74:75], v[12:15], off offset:512 th:TH_STORE_NT
	global_store_b128 v[74:75], v[16:19], off offset:1024 th:TH_STORE_NT
	;; [unrolled: 1-line block ×7, first 2 shown]
.LBB12_6234:                            ;   in Loop: Header=BB12_6074 Depth=3
	s_wait_xcnt 0x0
	s_or_b32 exec_lo, exec_lo, s13
	v_lshlrev_b32_e32 v7, 12, v0
	s_mov_b32 s15, exec_lo
                                        ; implicit-def: $vgpr0
                                        ; implicit-def: $vgpr8
                                        ; implicit-def: $vgpr1
	s_delay_alu instid0(VALU_DEP_1)
	v_cmpx_ne_u32_e64 v5, v7
	s_cbranch_execz .LBB12_6250
; %bb.6235:                             ;   in Loop: Header=BB12_6074 Depth=3
	scratch_load_b32 v1, off, s33 offset:328 ; 4-byte Folded Reload
	v_lshlrev_b32_e32 v0, 5, v6
	s_mov_b32 s41, 0
	s_mov_b32 s40, exec_lo
	v_sub_nc_u32_e32 v8, v5, v7
	s_delay_alu instid0(VALU_DEP_1) | instskip(SKIP_2) | instid1(VALU_DEP_1)
	v_ashrrev_i32_e32 v9, 31, v8
	s_wait_loadcnt 0x0
	v_sub_nc_u32_e32 v0, v1, v0
	v_ashrrev_i32_e32 v1, 31, v0
	s_delay_alu instid0(VALU_DEP_1) | instskip(NEXT) | instid1(VALU_DEP_1)
	v_lshrrev_b32_e32 v1, 27, v1
	v_add_nc_u32_e32 v1, v0, v1
	s_delay_alu instid0(VALU_DEP_1) | instskip(NEXT) | instid1(VALU_DEP_1)
	v_and_b32_e32 v6, 0xffffffe0, v1
	v_dual_ashrrev_i32 v1, 5, v1 :: v_dual_sub_nc_u32 v6, v0, v6
	s_delay_alu instid0(VALU_DEP_1) | instskip(NEXT) | instid1(VALU_DEP_1)
	v_dual_lshrrev_b32 v0, 23, v9 :: v_dual_lshlrev_b32 v9, 4, v6
	v_add_nc_u32_e32 v0, v8, v0
	s_delay_alu instid0(VALU_DEP_2) | instskip(NEXT) | instid1(VALU_DEP_2)
	v_lshl_add_u32 v9, v1, 9, v9
	v_and_b32_e32 v20, 0xfffffe00, v0
	s_delay_alu instid0(VALU_DEP_1) | instskip(NEXT) | instid1(VALU_DEP_1)
	v_dual_add_nc_u32 v10, v9, v7 :: v_dual_sub_nc_u32 v21, v8, v20
	v_dual_ashrrev_i32 v0, 9, v0 :: v_dual_ashrrev_i32 v11, 31, v10
	s_delay_alu instid0(VALU_DEP_2) | instskip(NEXT) | instid1(VALU_DEP_2)
	v_cmp_lt_i32_e32 vcc_lo, 15, v21
	v_add_nc_u64_e32 v[16:17], v[10:11], v[72:73]
	s_delay_alu instid0(VALU_DEP_3) | instskip(SKIP_1) | instid1(VALU_DEP_2)
	v_add_co_ci_u32_e64 v12, null, 0, v0, vcc_lo
	v_sub_nc_u32_e32 v0, v8, v9
                                        ; implicit-def: $vgpr8_vgpr9
	v_sub_nc_u32_e32 v22, v12, v1
	s_wait_xcnt 0x0
	s_delay_alu instid0(VALU_DEP_2)
	v_cmpx_lt_i32_e32 15, v0
	s_cbranch_execz .LBB12_6245
; %bb.6236:                             ;   in Loop: Header=BB12_6074 Depth=3
	v_add_nc_u64_e32 v[18:19], v[10:11], v[62:63]
	s_mov_b32 s78, 0
                                        ; implicit-def: $sgpr77
                                        ; implicit-def: $vgpr8_vgpr9
	s_branch .LBB12_6238
.LBB12_6237:                            ;   in Loop: Header=BB12_6238 Depth=4
	s_wait_xcnt 0x0
	s_or_b32 exec_lo, exec_lo, s13
	v_cmp_gt_i32_e64 s13, 16, v0
	s_or_b32 s41, s13, s41
	s_and_not1_b32 s13, s77, exec_lo
	s_and_b32 s77, s78, exec_lo
	s_delay_alu instid0(SALU_CYCLE_1)
	s_or_b32 s77, s13, s77
	s_and_not1_b32 exec_lo, exec_lo, s41
	s_cbranch_execz .LBB12_6244
.LBB12_6238:                            ;   Parent Loop BB12_47 Depth=1
                                        ;     Parent Loop BB12_6071 Depth=2
                                        ;       Parent Loop BB12_6074 Depth=3
                                        ; =>      This Inner Loop Header: Depth=4
	global_load_b128 v[12:15], v[18:19], off th:TH_LOAD_NT
	s_wait_xcnt 0x0
	s_and_saveexec_b32 s13, s78
	s_cbranch_execz .LBB12_6240
; %bb.6239:                             ;   in Loop: Header=BB12_6238 Depth=4
	scratch_load_b64 v[24:25], off, s33 offset:264 ; 8-byte Folded Reload
	s_wait_loadcnt 0x2
	global_store_b128 v[16:17], v[8:11], off th:TH_STORE_NT
	s_wait_loadcnt 0x0
	v_add_nc_u64_e32 v[24:25], v[16:17], v[24:25]
	s_wait_xcnt 0x0
	s_delay_alu instid0(VALU_DEP_1)
	v_mov_b64_e32 v[16:17], v[24:25]
.LBB12_6240:                            ;   in Loop: Header=BB12_6238 Depth=4
	s_or_b32 exec_lo, exec_lo, s13
	scratch_load_b64 v[24:25], off, s33 offset:264 ; 8-byte Folded Reload
	v_lshlrev_b32_e32 v1, 9, v60
	s_delay_alu instid0(VALU_DEP_1) | instskip(NEXT) | instid1(VALU_DEP_1)
	v_sub_nc_u32_e32 v0, v0, v1
	v_cmp_lt_i32_e64 s78, 15, v0
	s_wait_loadcnt 0x0
	v_add_nc_u64_e32 v[18:19], v[18:19], v[24:25]
	s_wait_xcnt 0x0
	s_and_saveexec_b32 s13, s78
	s_cbranch_execz .LBB12_6242
; %bb.6241:                             ;   in Loop: Header=BB12_6238 Depth=4
	global_load_b128 v[8:11], v[18:19], off th:TH_LOAD_NT
	s_wait_xcnt 0x0
	v_add_nc_u64_e32 v[18:19], 0x200, v[18:19]
.LBB12_6242:                            ;   in Loop: Header=BB12_6238 Depth=4
	s_or_b32 exec_lo, exec_lo, s13
	global_store_b128 v[16:17], v[12:15], off th:TH_STORE_NT
	s_wait_xcnt 0x0
	v_add_nc_u64_e32 v[16:17], 0x200, v[16:17]
	v_sub_nc_u32_e32 v22, v22, v60
	s_and_saveexec_b32 s13, s78
	s_cbranch_execz .LBB12_6237
; %bb.6243:                             ;   in Loop: Header=BB12_6238 Depth=4
	scratch_load_b64 v[12:13], off, s33 offset:256 ; 8-byte Folded Reload
	v_dual_sub_nc_u32 v22, v22, v60 :: v_dual_lshlrev_b32 v1, 9, v60
	s_delay_alu instid0(VALU_DEP_1)
	v_sub_nc_u32_e32 v0, v0, v1
	s_wait_loadcnt 0x0
	v_add_nc_u64_e32 v[18:19], v[18:19], v[12:13]
	v_add_nc_u64_e32 v[16:17], v[16:17], v[12:13]
	s_branch .LBB12_6237
.LBB12_6244:                            ;   in Loop: Header=BB12_6074 Depth=3
	s_or_b32 exec_lo, exec_lo, s41
	s_delay_alu instid0(SALU_CYCLE_1)
	s_and_b32 s41, s77, exec_lo
.LBB12_6245:                            ;   in Loop: Header=BB12_6074 Depth=3
	s_or_b32 exec_lo, exec_lo, s40
	s_and_saveexec_b32 s13, s41
	s_cbranch_execz .LBB12_6247
; %bb.6246:                             ;   in Loop: Header=BB12_6074 Depth=3
	s_wait_loadcnt 0x0
	global_store_b128 v[16:17], v[8:11], off th:TH_STORE_NT
.LBB12_6247:                            ;   in Loop: Header=BB12_6074 Depth=3
	s_wait_xcnt 0x0
	s_or_b32 exec_lo, exec_lo, s13
	s_wait_loadcnt 0x0
	v_and_b32_e32 v9, 14, v5
	s_mov_b32 s41, s14
	s_mov_b32 s40, exec_lo
                                        ; implicit-def: $vgpr0
                                        ; implicit-def: $vgpr8
                                        ; implicit-def: $vgpr1
	s_delay_alu instid0(VALU_DEP_1) | instskip(NEXT) | instid1(VALU_DEP_1)
	v_cndmask_b32_e32 v5, v21, v9, vcc_lo
	v_cmpx_ne_u32_e32 0, v5
	s_cbranch_execz .LBB12_6249
; %bb.6248:                             ;   in Loop: Header=BB12_6074 Depth=3
	v_cmp_lt_i32_e64 s13, 0, v22
	s_or_b32 s41, s14, exec_lo
	v_dual_sub_nc_u32 v1, v21, v9 :: v_dual_cndmask_b32 v0, 0, v60, s13
	s_delay_alu instid0(VALU_DEP_1) | instskip(NEXT) | instid1(VALU_DEP_1)
	v_dual_cndmask_b32 v1, 0, v1 :: v_dual_sub_nc_u32 v0, v0, v22
	v_lshl_add_u32 v8, v0, 5, v6
	s_delay_alu instid0(VALU_DEP_1) | instskip(NEXT) | instid1(VALU_DEP_1)
	v_ashrrev_i32_e32 v0, 31, v8
	v_lshrrev_b32_e32 v0, 27, v0
	s_delay_alu instid0(VALU_DEP_1) | instskip(NEXT) | instid1(VALU_DEP_1)
	v_add_nc_u32_e32 v0, v8, v0
	v_and_b32_e32 v6, 0xffffffe0, v0
	v_add3_u32 v0, v20, v7, v1
	s_delay_alu instid0(VALU_DEP_2)
	v_sub_nc_u32_e32 v1, v8, v6
.LBB12_6249:                            ;   in Loop: Header=BB12_6074 Depth=3
	s_or_b32 exec_lo, exec_lo, s40
	s_delay_alu instid0(SALU_CYCLE_1) | instskip(SKIP_1) | instid1(SALU_CYCLE_1)
	s_and_not1_b32 s13, s14, exec_lo
	s_and_b32 s14, s41, exec_lo
	s_or_b32 s14, s13, s14
.LBB12_6250:                            ;   in Loop: Header=BB12_6074 Depth=3
	s_or_b32 exec_lo, exec_lo, s15
	s_and_saveexec_b32 s13, s14
	s_cbranch_execz .LBB12_6271
.LBB12_6251:                            ;   in Loop: Header=BB12_6074 Depth=3
	s_wait_loadcnt 0x1
	v_dual_ashrrev_i32 v6, 31, v8 :: v_dual_ashrrev_i32 v7, 31, v5
	s_mov_b32 s15, 0
	s_mov_b32 s14, exec_lo
                                        ; implicit-def: $vgpr14
                                        ; implicit-def: $vgpr15
                                        ; implicit-def: $vgpr16
                                        ; implicit-def: $vgpr17
                                        ; implicit-def: $vgpr18
                                        ; implicit-def: $vgpr19
                                        ; implicit-def: $vgpr20
                                        ; implicit-def: $vgpr21
                                        ; implicit-def: $vgpr22
                                        ; implicit-def: $vgpr23
                                        ; implicit-def: $vgpr24
                                        ; implicit-def: $vgpr25
                                        ; implicit-def: $vgpr26
                                        ; implicit-def: $vgpr27
                                        ; implicit-def: $vgpr29
	s_wait_loadcnt 0x0
	s_delay_alu instid0(VALU_DEP_1) | instskip(NEXT) | instid1(VALU_DEP_1)
	v_dual_lshlrev_b32 v9, 1, v1 :: v_dual_lshrrev_b32 v6, 27, v6
	v_add_nc_u32_e32 v6, v8, v6
	s_delay_alu instid0(VALU_DEP_1) | instskip(NEXT) | instid1(VALU_DEP_1)
	v_dual_ashrrev_i32 v8, 5, v6 :: v_dual_lshrrev_b32 v6, 22, v7
	v_dual_lshlrev_b32 v7, 10, v8 :: v_dual_add_nc_u32 v6, v5, v6
	s_delay_alu instid0(VALU_DEP_1) | instskip(NEXT) | instid1(VALU_DEP_2)
	v_add3_u32 v10, v0, v9, v7
	v_ashrrev_i32_e32 v6, 10, v6
                                        ; implicit-def: $vgpr7
	s_delay_alu instid0(VALU_DEP_1) | instskip(NEXT) | instid1(VALU_DEP_1)
	v_dual_ashrrev_i32 v11, 31, v10 :: v_dual_sub_nc_u32 v12, v6, v8
	v_add_nc_u64_e32 v[8:9], v[72:73], v[10:11]
	s_delay_alu instid0(VALU_DEP_2)
	v_cmpx_lt_i32_e32 0, v12
	s_cbranch_execz .LBB12_6259
; %bb.6252:                             ;   in Loop: Header=BB12_6074 Depth=3
	v_add_nc_u64_e32 v[10:11], v[10:11], v[62:63]
	s_mov_b32 s41, 0
                                        ; implicit-def: $sgpr40
                                        ; implicit-def: $vgpr7
                                        ; implicit-def: $vgpr14
                                        ; implicit-def: $vgpr15
                                        ; implicit-def: $vgpr16
                                        ; implicit-def: $vgpr17
                                        ; implicit-def: $vgpr18
                                        ; implicit-def: $vgpr19
                                        ; implicit-def: $vgpr20
                                        ; implicit-def: $vgpr21
                                        ; implicit-def: $vgpr22
                                        ; implicit-def: $vgpr23
                                        ; implicit-def: $vgpr24
                                        ; implicit-def: $vgpr25
                                        ; implicit-def: $vgpr26
                                        ; implicit-def: $vgpr27
                                        ; implicit-def: $vgpr29
	s_branch .LBB12_6254
.LBB12_6253:                            ;   in Loop: Header=BB12_6254 Depth=4
	s_or_b32 exec_lo, exec_lo, s77
	s_wait_loadcnt_dscnt 0xf0f
	flat_store_b16 v[8:9], v33 th:TH_STORE_NT
	s_wait_loadcnt_dscnt 0xe0f
	flat_store_b16 v[8:9], v34 offset:64 th:TH_STORE_NT
	s_wait_loadcnt_dscnt 0xd0f
	flat_store_b16 v[8:9], v35 offset:128 th:TH_STORE_NT
	;; [unrolled: 2-line block ×15, first 2 shown]
	s_wait_xcnt 0x0
	v_add_nc_u64_e32 v[8:9], v[8:9], v[12:13]
	v_add_nc_u64_e32 v[10:11], v[10:11], v[12:13]
	v_sub_nc_u32_e32 v12, v31, v32
	s_delay_alu instid0(VALU_DEP_1) | instskip(NEXT) | instid1(VALU_DEP_4)
	v_cmp_gt_i32_e32 vcc_lo, 1, v12
	v_add_nc_u64_e32 v[8:9], 0x400, v[8:9]
	s_or_b32 s15, vcc_lo, s15
	s_and_not1_b32 s40, s40, exec_lo
	s_and_b32 s77, s41, exec_lo
	s_delay_alu instid0(SALU_CYCLE_1)
	s_or_b32 s40, s40, s77
	s_and_not1_b32 exec_lo, exec_lo, s15
	s_cbranch_execz .LBB12_6258
.LBB12_6254:                            ;   Parent Loop BB12_47 Depth=1
                                        ;     Parent Loop BB12_6071 Depth=2
                                        ;       Parent Loop BB12_6074 Depth=3
                                        ; =>      This Inner Loop Header: Depth=4
	s_clause 0xf
	flat_load_u16 v33, v[10:11] th:TH_LOAD_NT
	flat_load_u16 v34, v[10:11] offset:64 th:TH_LOAD_NT
	flat_load_u16 v35, v[10:11] offset:128 th:TH_LOAD_NT
	;; [unrolled: 1-line block ×15, first 2 shown]
	s_wait_xcnt 0x0
	s_and_saveexec_b32 s77, s41
	s_cbranch_execz .LBB12_6256
; %bb.6255:                             ;   in Loop: Header=BB12_6254 Depth=4
	s_clause 0xf
	flat_store_b16 v[8:9], v7 th:TH_STORE_NT
	flat_store_b16 v[8:9], v14 offset:64 th:TH_STORE_NT
	flat_store_b16 v[8:9], v15 offset:128 th:TH_STORE_NT
	;; [unrolled: 1-line block ×15, first 2 shown]
	s_wait_xcnt 0x0
	v_add_nc_u64_e32 v[8:9], v[8:9], v[108:109]
.LBB12_6256:                            ;   in Loop: Header=BB12_6254 Depth=4
	s_or_b32 exec_lo, exec_lo, s77
	v_dual_mov_b32 v32, 0 :: v_dual_sub_nc_u32 v31, v12, v60
	v_add_nc_u64_e32 v[10:11], v[10:11], v[108:109]
	v_mov_b64_e32 v[12:13], 0
	s_delay_alu instid0(VALU_DEP_3)
	v_cmp_lt_i32_e64 s41, 0, v31
	s_and_saveexec_b32 s77, s41
	s_cbranch_execz .LBB12_6253
; %bb.6257:                             ;   in Loop: Header=BB12_6254 Depth=4
	s_clause 0xf
	flat_load_u16 v7, v[10:11] th:TH_LOAD_NT
	flat_load_u16 v14, v[10:11] offset:64 th:TH_LOAD_NT
	flat_load_u16 v15, v[10:11] offset:128 th:TH_LOAD_NT
	;; [unrolled: 1-line block ×15, first 2 shown]
	s_wait_xcnt 0x0
	v_add_nc_u64_e32 v[10:11], 0x400, v[10:11]
	v_mov_b64_e32 v[12:13], v[88:89]
	v_mov_b32_e32 v32, v60
	s_branch .LBB12_6253
.LBB12_6258:                            ;   in Loop: Header=BB12_6074 Depth=3
	s_or_b32 exec_lo, exec_lo, s15
	s_delay_alu instid0(SALU_CYCLE_1)
	s_and_b32 s15, s40, exec_lo
.LBB12_6259:                            ;   in Loop: Header=BB12_6074 Depth=3
	s_or_b32 exec_lo, exec_lo, s14
	s_and_saveexec_b32 s14, s15
	s_cbranch_execz .LBB12_6261
; %bb.6260:                             ;   in Loop: Header=BB12_6074 Depth=3
	s_clause 0xf
	flat_store_b16 v[8:9], v7 th:TH_STORE_NT
	flat_store_b16 v[8:9], v14 offset:64 th:TH_STORE_NT
	flat_store_b16 v[8:9], v15 offset:128 th:TH_STORE_NT
	;; [unrolled: 1-line block ×15, first 2 shown]
.LBB12_6261:                            ;   in Loop: Header=BB12_6074 Depth=3
	s_wait_xcnt 0x0
	s_or_b32 exec_lo, exec_lo, s14
	v_lshlrev_b32_e32 v6, 10, v6
	s_delay_alu instid0(VALU_DEP_1)
	v_cmp_ne_u32_e32 vcc_lo, v5, v6
	s_and_b32 exec_lo, exec_lo, vcc_lo
	s_cbranch_execz .LBB12_6271
; %bb.6262:                             ;   in Loop: Header=BB12_6074 Depth=3
	v_lshlrev_b32_e32 v7, 5, v12
	s_delay_alu instid0(VALU_DEP_1) | instskip(NEXT) | instid1(VALU_DEP_1)
	v_sub_nc_u32_e32 v1, v1, v7
	v_ashrrev_i32_e32 v7, 31, v1
	s_delay_alu instid0(VALU_DEP_1) | instskip(NEXT) | instid1(VALU_DEP_1)
	v_lshrrev_b32_e32 v7, 27, v7
	v_add_nc_u32_e32 v7, v1, v7
	s_delay_alu instid0(VALU_DEP_1) | instskip(NEXT) | instid1(VALU_DEP_1)
	v_and_b32_e32 v8, 0x7fffffe0, v7
	v_dual_lshlrev_b32 v7, 1, v7 :: v_dual_sub_nc_u32 v1, v1, v8
	s_delay_alu instid0(VALU_DEP_1) | instskip(NEXT) | instid1(VALU_DEP_2)
	v_and_b32_e32 v7, 0xffffffc0, v7
	v_lshlrev_b32_e32 v1, 1, v1
	s_delay_alu instid0(VALU_DEP_1) | instskip(NEXT) | instid1(VALU_DEP_1)
	v_add3_u32 v6, v7, v1, v6
	v_sub_nc_u32_e32 v1, v5, v6
	s_delay_alu instid0(VALU_DEP_1)
	v_cmp_lt_i32_e32 vcc_lo, 1, v1
	s_and_b32 exec_lo, exec_lo, vcc_lo
	s_cbranch_execz .LBB12_6271
; %bb.6263:                             ;   in Loop: Header=BB12_6074 Depth=3
	v_add_nc_u32_e32 v6, v6, v0
	s_mov_b32 s40, 0
	s_mov_b32 s14, 0
                                        ; implicit-def: $sgpr15
                                        ; implicit-def: $vgpr0
	s_delay_alu instid0(VALU_DEP_1) | instskip(NEXT) | instid1(VALU_DEP_1)
	v_ashrrev_i32_e32 v7, 31, v6
	v_add_nc_u64_e32 v[8:9], v[72:73], v[6:7]
	v_add_nc_u64_e32 v[10:11], v[6:7], v[62:63]
	s_branch .LBB12_6265
.LBB12_6264:                            ;   in Loop: Header=BB12_6265 Depth=4
	s_or_b32 exec_lo, exec_lo, s41
	s_delay_alu instid0(VALU_DEP_1) | instskip(NEXT) | instid1(VALU_DEP_3)
	v_sub_nc_u32_e32 v1, v1, v6
	v_add_nc_u64_e32 v[6:7], v[8:9], v[12:13]
	s_wait_loadcnt_dscnt 0x0
	flat_store_b16 v[8:9], v5 th:TH_STORE_NT
	v_add_nc_u64_e32 v[10:11], v[10:11], v[12:13]
	v_cmp_gt_i32_e32 vcc_lo, 2, v1
	s_wait_xcnt 0x0
	v_add_nc_u64_e32 v[8:9], 64, v[6:7]
	s_or_b32 s14, vcc_lo, s14
	s_and_not1_b32 s15, s15, exec_lo
	s_and_b32 s41, s40, exec_lo
	s_delay_alu instid0(SALU_CYCLE_1)
	s_or_b32 s15, s15, s41
	s_and_not1_b32 exec_lo, exec_lo, s14
	s_cbranch_execz .LBB12_6269
.LBB12_6265:                            ;   Parent Loop BB12_47 Depth=1
                                        ;     Parent Loop BB12_6071 Depth=2
                                        ;       Parent Loop BB12_6074 Depth=3
                                        ; =>      This Inner Loop Header: Depth=4
	flat_load_u16 v5, v[10:11] th:TH_LOAD_NT
	s_wait_xcnt 0x0
	s_and_saveexec_b32 s41, s40
	s_cbranch_execz .LBB12_6267
; %bb.6266:                             ;   in Loop: Header=BB12_6265 Depth=4
	v_add_nc_u64_e32 v[6:7], 64, v[104:105]
	flat_store_b16 v[8:9], v0 th:TH_STORE_NT
	v_add_nc_u64_e32 v[6:7], v[8:9], v[6:7]
	s_wait_xcnt 0x0
	s_delay_alu instid0(VALU_DEP_1)
	v_mov_b64_e32 v[8:9], v[6:7]
.LBB12_6267:                            ;   in Loop: Header=BB12_6265 Depth=4
	s_or_b32 exec_lo, exec_lo, s41
	v_add_nc_u64_e32 v[6:7], 64, v[104:105]
	v_sub_nc_u32_e32 v1, v1, v111
	v_mov_b64_e32 v[12:13], 0
	s_delay_alu instid0(VALU_DEP_3) | instskip(SKIP_1) | instid1(VALU_DEP_4)
	v_add_nc_u64_e32 v[10:11], v[10:11], v[6:7]
	v_mov_b32_e32 v6, 0
	v_cmp_lt_i32_e64 s40, 1, v1
	s_and_saveexec_b32 s41, s40
	s_cbranch_execz .LBB12_6264
; %bb.6268:                             ;   in Loop: Header=BB12_6265 Depth=4
	flat_load_u16 v0, v[10:11] th:TH_LOAD_NT
	s_wait_xcnt 0x0
	v_add_nc_u64_e32 v[10:11], 64, v[10:11]
	v_mov_b64_e32 v[12:13], v[104:105]
	v_mov_b32_e32 v6, v111
	s_branch .LBB12_6264
.LBB12_6269:                            ;   in Loop: Header=BB12_6074 Depth=3
	s_or_b32 exec_lo, exec_lo, s14
	s_delay_alu instid0(SALU_CYCLE_1)
	s_and_b32 exec_lo, exec_lo, s15
	s_cbranch_execz .LBB12_6271
; %bb.6270:                             ;   in Loop: Header=BB12_6074 Depth=3
	flat_store_b16 v[8:9], v0 th:TH_STORE_NT
.LBB12_6271:                            ;   in Loop: Header=BB12_6074 Depth=3
	s_wait_xcnt 0x0
	s_or_b32 exec_lo, exec_lo, s13
	v_cmp_lt_i32_e64 s13, 0, v2
	s_and_saveexec_b32 s14, s2
	s_cbranch_execz .LBB12_6157
.LBB12_6272:                            ;   in Loop: Header=BB12_6074 Depth=3
	s_and_saveexec_b32 s15, s3
	s_delay_alu instid0(SALU_CYCLE_1)
	s_xor_b32 s15, exec_lo, s15
	s_cbranch_execz .LBB12_6287
; %bb.6273:                             ;   in Loop: Header=BB12_6074 Depth=3
	s_and_saveexec_b32 s40, s6
	s_cbranch_execz .LBB12_6286
; %bb.6274:                             ;   in Loop: Header=BB12_6074 Depth=3
	s_mov_b32 s77, exec_lo
	s_mov_b32 s41, exec_lo
	v_mbcnt_lo_u32_b32 v0, s77, 0
	global_wb scope:SCOPE_DEV
	s_wait_storecnt 0x0
	s_wait_loadcnt_dscnt 0x0
	global_inv scope:SCOPE_DEV
	v_cmpx_eq_u32_e32 0, v0
	s_cbranch_execz .LBB12_6276
; %bb.6275:                             ;   in Loop: Header=BB12_6074 Depth=3
	s_bcnt1_i32_b32 s77, s77
	s_delay_alu instid0(SALU_CYCLE_1)
	v_mov_b32_e32 v2, s77
	s_wait_loadcnt 0x0
	ds_add_u64 v0, v[2:3]
	s_trap 2
.LBB12_6276:                            ;   in Loop: Header=BB12_6074 Depth=3
	s_or_b32 exec_lo, exec_lo, s41
	s_trap 2
	ds_load_b64 v[0:1], v0
	s_wait_dscnt 0x0
	v_add_nc_u64_e32 v[56:57], v[56:57], v[60:61]
	s_mov_b32 s41, exec_lo
	s_delay_alu instid0(VALU_DEP_1)
	v_cmpx_lt_u64_e64 v[0:1], v[56:57]
	s_cbranch_execz .LBB12_6285
; %bb.6277:                             ;   in Loop: Header=BB12_6074 Depth=3
	s_mov_b32 s77, 0
	s_mov_b32 s88, 0
                                        ; implicit-def: $sgpr78
                                        ; implicit-def: $sgpr79
	s_branch .LBB12_6279
.LBB12_6278:                            ;   in Loop: Header=BB12_6279 Depth=4
	s_or_b32 exec_lo, exec_lo, s90
	s_delay_alu instid0(SALU_CYCLE_1) | instskip(NEXT) | instid1(SALU_CYCLE_1)
	s_and_b32 s89, exec_lo, s91
	s_or_b32 s77, s89, s77
	s_and_not1_b32 s78, s78, exec_lo
	s_and_b32 s89, s79, exec_lo
	s_delay_alu instid0(SALU_CYCLE_1)
	s_or_b32 s78, s78, s89
	s_and_not1_b32 exec_lo, exec_lo, s77
	s_cbranch_execz .LBB12_6283
.LBB12_6279:                            ;   Parent Loop BB12_47 Depth=1
                                        ;     Parent Loop BB12_6071 Depth=2
                                        ;       Parent Loop BB12_6074 Depth=3
                                        ; =>      This Inner Loop Header: Depth=4
	s_add_co_i32 s88, s88, 1
	s_delay_alu instid0(SALU_CYCLE_1) | instskip(SKIP_1) | instid1(SALU_CYCLE_1)
	s_cmp_lg_u32 s88, 0x2710
	s_cselect_b32 s89, -1, 0
	s_and_b32 vcc_lo, exec_lo, s89
	s_cbranch_vccz .LBB12_6281
; %bb.6280:                             ;   in Loop: Header=BB12_6279 Depth=4
	s_mov_b32 s91, -1
	s_or_b32 s79, s79, exec_lo
	s_and_saveexec_b32 s90, s89
	s_cbranch_execz .LBB12_6278
	s_branch .LBB12_6282
.LBB12_6281:                            ;   in Loop: Header=BB12_6279 Depth=4
	s_trap 2
	ds_load_b64 v[0:1], v0
	s_and_not1_b32 s89, s89, exec_lo
	s_mov_b32 s88, 0
	s_wait_loadcnt_dscnt 0x0
	flat_load_b32 v0, v[0:1] scope:SCOPE_SYS
	s_wait_loadcnt_dscnt 0x0
	global_inv scope:SCOPE_SYS
	v_cmp_eq_u32_e32 vcc_lo, 0, v0
	s_and_b32 s90, vcc_lo, exec_lo
	s_delay_alu instid0(SALU_CYCLE_1)
	s_or_b32 s89, s89, s90
	s_mov_b32 s91, -1
	s_or_b32 s79, s79, exec_lo
	s_and_saveexec_b32 s90, s89
	s_cbranch_execz .LBB12_6278
.LBB12_6282:                            ;   in Loop: Header=BB12_6279 Depth=4
	s_sleep 1
	s_trap 2
	ds_load_b64 v[0:1], v0
	s_wait_dscnt 0x0
	s_and_not1_b32 s79, s79, exec_lo
	v_cmp_ge_u64_e32 vcc_lo, v[0:1], v[56:57]
	s_or_not1_b32 s91, vcc_lo, exec_lo
	s_branch .LBB12_6278
.LBB12_6283:                            ;   in Loop: Header=BB12_6074 Depth=3
	s_or_b32 exec_lo, exec_lo, s77
	s_and_saveexec_b32 s77, s78
	s_delay_alu instid0(SALU_CYCLE_1)
	s_xor_b32 s77, exec_lo, s77
	s_cbranch_execz .LBB12_6285
; %bb.6284:                             ;   in Loop: Header=BB12_6074 Depth=3
	v_mov_b32_e32 v0, 1
	ds_store_b32 v0, v0
	s_trap 2
.LBB12_6285:                            ;   in Loop: Header=BB12_6074 Depth=3
	s_or_b32 exec_lo, exec_lo, s41
	;;#ASMSTART
	s_wakeup
	;;#ASMEND
.LBB12_6286:                            ;   in Loop: Header=BB12_6074 Depth=3
	s_or_b32 exec_lo, exec_lo, s40
.LBB12_6287:                            ;   in Loop: Header=BB12_6074 Depth=3
	s_and_not1_saveexec_b32 s15, s15
	s_cbranch_execz .LBB12_6289
; %bb.6288:                             ;   in Loop: Header=BB12_6074 Depth=3
	global_wb scope:SCOPE_DEV
	s_wait_storecnt 0x0
	s_wait_loadcnt_dscnt 0x0
	global_inv scope:SCOPE_DEV
	s_barrier_signal -1
	s_barrier_wait -1
.LBB12_6289:                            ;   in Loop: Header=BB12_6074 Depth=3
	s_or_b32 exec_lo, exec_lo, s15
	s_delay_alu instid0(SALU_CYCLE_1) | instskip(SKIP_1) | instid1(SALU_CYCLE_1)
	s_or_b32 exec_lo, exec_lo, s14
                                        ; implicit-def: $vgpr0
	s_and_saveexec_b32 s14, s12
	s_xor_b32 s14, exec_lo, s14
	s_cbranch_execnz .LBB12_6158
.LBB12_6290:                            ;   in Loop: Header=BB12_6074 Depth=3
	s_and_not1_saveexec_b32 s13, s14
	s_cbranch_execz .LBB12_6309
.LBB12_6291:                            ;   in Loop: Header=BB12_6074 Depth=3
	s_and_saveexec_b32 s14, s3
	s_delay_alu instid0(SALU_CYCLE_1)
	s_xor_b32 s14, exec_lo, s14
	s_cbranch_execz .LBB12_6306
; %bb.6292:                             ;   in Loop: Header=BB12_6074 Depth=3
	s_and_saveexec_b32 s15, s6
	s_cbranch_execz .LBB12_6305
; %bb.6293:                             ;   in Loop: Header=BB12_6074 Depth=3
	s_mov_b32 s41, exec_lo
	s_mov_b32 s40, exec_lo
	v_mbcnt_lo_u32_b32 v0, s41, 0
	;;#ASMSTART
	s_waitcnt lgkmcnt(0) vmcnt(0)
	;;#ASMEND
	s_delay_alu instid0(VALU_DEP_1)
	v_cmpx_eq_u32_e32 0, v0
	s_cbranch_execz .LBB12_6295
; %bb.6294:                             ;   in Loop: Header=BB12_6074 Depth=3
	s_bcnt1_i32_b32 s41, s41
	s_delay_alu instid0(SALU_CYCLE_1)
	v_mov_b32_e32 v2, s41
	s_wait_storecnt 0x0
	s_wait_loadcnt_dscnt 0x0
	ds_add_u64 v0, v[2:3]
	s_trap 2
.LBB12_6295:                            ;   in Loop: Header=BB12_6074 Depth=3
	s_or_b32 exec_lo, exec_lo, s40
	s_trap 2
	s_wait_loadcnt 0x0
	ds_load_b64 v[0:1], v0
	s_wait_dscnt 0x0
	v_add_nc_u64_e32 v[56:57], v[56:57], v[60:61]
	s_mov_b32 s40, exec_lo
	s_delay_alu instid0(VALU_DEP_1)
	v_cmpx_lt_u64_e64 v[0:1], v[56:57]
	s_cbranch_execz .LBB12_6304
; %bb.6296:                             ;   in Loop: Header=BB12_6074 Depth=3
	s_mov_b32 s41, 0
	s_mov_b32 s79, 0
                                        ; implicit-def: $sgpr77
                                        ; implicit-def: $sgpr78
	s_branch .LBB12_6298
.LBB12_6297:                            ;   in Loop: Header=BB12_6298 Depth=4
	s_or_b32 exec_lo, exec_lo, s89
	s_delay_alu instid0(SALU_CYCLE_1) | instskip(NEXT) | instid1(SALU_CYCLE_1)
	s_and_b32 s88, exec_lo, s90
	s_or_b32 s41, s88, s41
	s_and_not1_b32 s77, s77, exec_lo
	s_and_b32 s88, s78, exec_lo
	s_delay_alu instid0(SALU_CYCLE_1)
	s_or_b32 s77, s77, s88
	s_and_not1_b32 exec_lo, exec_lo, s41
	s_cbranch_execz .LBB12_6302
.LBB12_6298:                            ;   Parent Loop BB12_47 Depth=1
                                        ;     Parent Loop BB12_6071 Depth=2
                                        ;       Parent Loop BB12_6074 Depth=3
                                        ; =>      This Inner Loop Header: Depth=4
	s_add_co_i32 s79, s79, 1
	s_delay_alu instid0(SALU_CYCLE_1) | instskip(SKIP_1) | instid1(SALU_CYCLE_1)
	s_cmp_lg_u32 s79, 0x2710
	s_cselect_b32 s88, -1, 0
	s_and_b32 vcc_lo, exec_lo, s88
	s_cbranch_vccz .LBB12_6300
; %bb.6299:                             ;   in Loop: Header=BB12_6298 Depth=4
	s_mov_b32 s90, -1
	s_or_b32 s78, s78, exec_lo
	s_and_saveexec_b32 s89, s88
	s_cbranch_execz .LBB12_6297
	s_branch .LBB12_6301
.LBB12_6300:                            ;   in Loop: Header=BB12_6298 Depth=4
	s_trap 2
	ds_load_b64 v[0:1], v0
	s_and_not1_b32 s88, s88, exec_lo
	s_mov_b32 s79, 0
	s_wait_storecnt_dscnt 0x0
	flat_load_b32 v0, v[0:1] scope:SCOPE_SYS
	s_wait_loadcnt_dscnt 0x0
	global_inv scope:SCOPE_SYS
	v_cmp_eq_u32_e32 vcc_lo, 0, v0
	s_and_b32 s89, vcc_lo, exec_lo
	s_delay_alu instid0(SALU_CYCLE_1)
	s_or_b32 s88, s88, s89
	s_mov_b32 s90, -1
	s_or_b32 s78, s78, exec_lo
	s_wait_xcnt 0x0
	s_and_saveexec_b32 s89, s88
	s_cbranch_execz .LBB12_6297
.LBB12_6301:                            ;   in Loop: Header=BB12_6298 Depth=4
	s_sleep 1
	s_trap 2
	ds_load_b64 v[0:1], v0
	s_wait_dscnt 0x0
	s_and_not1_b32 s78, s78, exec_lo
	v_cmp_ge_u64_e32 vcc_lo, v[0:1], v[56:57]
	s_or_not1_b32 s90, vcc_lo, exec_lo
	s_branch .LBB12_6297
.LBB12_6302:                            ;   in Loop: Header=BB12_6074 Depth=3
	s_or_b32 exec_lo, exec_lo, s41
	s_and_saveexec_b32 s41, s77
	s_delay_alu instid0(SALU_CYCLE_1)
	s_xor_b32 s41, exec_lo, s41
	s_cbranch_execz .LBB12_6304
; %bb.6303:                             ;   in Loop: Header=BB12_6074 Depth=3
	v_mov_b32_e32 v0, 1
	ds_store_b32 v0, v0
	s_trap 2
.LBB12_6304:                            ;   in Loop: Header=BB12_6074 Depth=3
	s_or_b32 exec_lo, exec_lo, s40
	;;#ASMSTART
	s_wakeup
	;;#ASMEND
.LBB12_6305:                            ;   in Loop: Header=BB12_6074 Depth=3
	s_or_b32 exec_lo, exec_lo, s15
.LBB12_6306:                            ;   in Loop: Header=BB12_6074 Depth=3
	s_and_not1_saveexec_b32 s14, s14
	s_cbranch_execz .LBB12_6308
; %bb.6307:                             ;   in Loop: Header=BB12_6074 Depth=3
	;;#ASMSTART
	s_waitcnt lgkmcnt(0) vmcnt(0)
	;;#ASMEND
	s_barrier_signal -1
	s_barrier_wait -1
.LBB12_6308:                            ;   in Loop: Header=BB12_6074 Depth=3
	s_or_b32 exec_lo, exec_lo, s14
	v_and_b32_e32 v0, 16, v126
.LBB12_6309:                            ;   in Loop: Header=BB12_6074 Depth=3
	s_or_b32 exec_lo, exec_lo, s13
	s_delay_alu instid0(VALU_DEP_1) | instskip(SKIP_1) | instid1(SALU_CYCLE_1)
	v_cmp_ne_u32_e32 vcc_lo, 0, v0
	s_xor_b32 s13, s4, -1
	s_and_b32 s14, vcc_lo, s13
	s_delay_alu instid0(SALU_CYCLE_1)
	s_and_saveexec_b32 s13, s14
	s_cbranch_execz .LBB12_6311
; %bb.6310:                             ;   in Loop: Header=BB12_6074 Depth=3
	s_wait_loadcnt 0x0
	scratch_load_b64 v[0:1], off, s33 offset:304 ; 8-byte Folded Reload
	v_mov_b32_e32 v2, 1
	global_wb scope:SCOPE_SYS
	s_wait_storecnt 0x0
	s_wait_xcnt 0x0
	s_wait_loadcnt_dscnt 0x0
	flat_store_b32 v[0:1], v2 scope:SCOPE_SYS
.LBB12_6311:                            ;   in Loop: Header=BB12_6074 Depth=3
	s_wait_xcnt 0x0
	s_or_b32 exec_lo, exec_lo, s13
	v_and_b32_e32 v0, 48, v126
	s_mov_b32 s13, exec_lo
	s_delay_alu instid0(VALU_DEP_1)
	v_cmpx_ne_u32_e32 0, v0
	s_cbranch_execz .LBB12_6073
; %bb.6312:                             ;   in Loop: Header=BB12_6074 Depth=3
	v_add_nc_u64_e32 v[116:117], 2, v[116:117]
	global_wb scope:SCOPE_SYS
	s_wait_storecnt 0x0
	s_wait_loadcnt_dscnt 0x0
	flat_store_b64 v[40:41], v[116:117] scope:SCOPE_SYS
	s_branch .LBB12_6073
.LBB12_6313:                            ;   in Loop: Header=BB12_6071 Depth=2
	s_or_b32 exec_lo, exec_lo, s74
.LBB12_6314:                            ;   in Loop: Header=BB12_6071 Depth=2
	s_delay_alu instid0(SALU_CYCLE_1) | instskip(NEXT) | instid1(SALU_CYCLE_1)
	s_or_b32 exec_lo, exec_lo, s27
	s_mov_b32 s14, exec_lo
	v_cmpx_gt_i32_e32 2, v0
	s_cbranch_execz .LBB12_6390
; %bb.6315:                             ;   in Loop: Header=BB12_6071 Depth=2
	v_cmp_eq_u32_e64 s27, 0, v0
	s_mov_b32 s15, 0
	s_branch .LBB12_6317
.LBB12_6316:                            ;   in Loop: Header=BB12_6317 Depth=3
	s_wait_xcnt 0x0
	s_or_b32 exec_lo, exec_lo, s13
	v_add_nc_u32_e32 v28, v4, v28
	s_mov_b32 s27, 0
	s_and_not1_b32 exec_lo, exec_lo, s15
	s_cbranch_execz .LBB12_6389
.LBB12_6317:                            ;   Parent Loop BB12_47 Depth=1
                                        ;     Parent Loop BB12_6071 Depth=2
                                        ; =>    This Loop Header: Depth=3
                                        ;         Child Loop BB12_6323 Depth 4
                                        ;         Child Loop BB12_6351 Depth 4
	;; [unrolled: 1-line block ×3, first 2 shown]
	s_wait_loadcnt 0x0
	v_dual_sub_nc_u32 v0, v30, v28 :: v_dual_bitop2_b32 v1, 12, v126 bitop3:0x40
	s_mov_b32 s40, exec_lo
	s_delay_alu instid0(VALU_DEP_1) | instskip(NEXT) | instid1(VALU_DEP_2)
	v_min_i32_e32 v4, v4, v0
	v_cmpx_ne_u32_e32 0, v1
	s_cbranch_execz .LBB12_6343
; %bb.6318:                             ;   in Loop: Header=BB12_6317 Depth=3
	v_and_b32_e32 v2, 8, v126
	v_add_nc_u64_e32 v[8:9], 2, v[116:117]
	s_mov_b32 s41, exec_lo
	s_wait_dscnt 0x1
	s_delay_alu instid0(VALU_DEP_2) | instskip(NEXT) | instid1(VALU_DEP_1)
	v_add_nc_u64_e32 v[0:1], v[58:59], v[2:3]
	v_cmpx_lt_u64_e64 v[0:1], v[8:9]
	s_cbranch_execz .LBB12_6330
; %bb.6319:                             ;   in Loop: Header=BB12_6317 Depth=3
	v_and_b32_e32 v0, 64, v126
	s_mov_b32 s74, 0
	s_mov_b32 s78, 0
                                        ; implicit-def: $sgpr75
                                        ; implicit-def: $sgpr76
                                        ; implicit-def: $sgpr77
	s_delay_alu instid0(VALU_DEP_1)
	v_cmp_eq_u32_e32 vcc_lo, 0, v0
	s_branch .LBB12_6323
.LBB12_6320:                            ;   in Loop: Header=BB12_6323 Depth=4
	s_wait_loadcnt_dscnt 0x0
	v_add_nc_u64_e32 v[6:7], v[58:59], v[2:3]
	s_or_b32 s89, s89, exec_lo
	s_delay_alu instid0(VALU_DEP_1)
	v_cmp_ge_u64_e64 s13, v[6:7], v[8:9]
	s_or_not1_b32 s88, s13, exec_lo
.LBB12_6321:                            ;   in Loop: Header=BB12_6323 Depth=4
	s_or_b32 exec_lo, exec_lo, s91
	s_delay_alu instid0(SALU_CYCLE_1)
	s_and_not1_b32 s13, s77, exec_lo
	s_and_b32 s77, s89, exec_lo
	s_and_not1_b32 s76, s76, exec_lo
	s_and_b32 s88, s88, exec_lo
	s_or_b32 s77, s13, s77
	s_or_b32 s76, s76, s88
.LBB12_6322:                            ;   in Loop: Header=BB12_6323 Depth=4
	s_or_b32 exec_lo, exec_lo, s79
	s_delay_alu instid0(SALU_CYCLE_1) | instskip(NEXT) | instid1(SALU_CYCLE_1)
	s_and_b32 s13, exec_lo, s76
	s_or_b32 s74, s13, s74
	s_and_not1_b32 s13, s75, exec_lo
	s_and_b32 s75, s77, exec_lo
	s_delay_alu instid0(SALU_CYCLE_1)
	s_or_b32 s75, s13, s75
	s_and_not1_b32 exec_lo, exec_lo, s74
	s_cbranch_execz .LBB12_6327
.LBB12_6323:                            ;   Parent Loop BB12_47 Depth=1
                                        ;     Parent Loop BB12_6071 Depth=2
                                        ;       Parent Loop BB12_6317 Depth=3
                                        ; =>      This Inner Loop Header: Depth=4
	s_sleep 1
	s_wait_loadcnt_dscnt 0x0
	flat_load_b64 v[58:59], v[40:41] scope:SCOPE_SYS
	s_or_b32 s77, s77, exec_lo
	s_or_b32 s76, s76, exec_lo
                                        ; implicit-def: $vgpr0
	s_wait_xcnt 0x0
	s_and_saveexec_b32 s79, vcc_lo
	s_cbranch_execz .LBB12_6322
; %bb.6324:                             ;   in Loop: Header=BB12_6323 Depth=4
	s_cmp_lt_i32 s78, 0x270f
	s_mov_b32 s88, -1
	s_cselect_b32 s90, -1, 0
	s_cmp_gt_i32 s78, 0x270e
	s_cbranch_scc0 .LBB12_6326
; %bb.6325:                             ;   in Loop: Header=BB12_6323 Depth=4
	s_trap 2
	ds_load_b64 v[0:1], v0
	s_and_not1_b32 s78, s90, exec_lo
	s_mov_b32 s89, 0
	s_wait_storecnt 0x0
	s_wait_loadcnt_dscnt 0x0
	flat_load_b32 v0, v[0:1] scope:SCOPE_SYS
	s_wait_loadcnt_dscnt 0x0
	global_inv scope:SCOPE_SYS
	v_cmp_eq_u32_e64 s13, 0, v0
	s_and_b32 s13, s13, exec_lo
	s_delay_alu instid0(SALU_CYCLE_1)
	s_or_b32 s90, s78, s13
	s_mov_b32 s78, 0
	s_and_saveexec_b32 s91, s90
	s_cbranch_execz .LBB12_6321
	s_branch .LBB12_6320
.LBB12_6326:                            ;   in Loop: Header=BB12_6323 Depth=4
	s_add_co_i32 s78, s78, 1
	s_mov_b32 s89, -1
                                        ; implicit-def: $vgpr0
	s_and_saveexec_b32 s91, s90
	s_cbranch_execz .LBB12_6321
	s_branch .LBB12_6320
.LBB12_6327:                            ;   in Loop: Header=BB12_6317 Depth=3
	s_or_b32 exec_lo, exec_lo, s74
	s_xor_b32 s13, s75, -1
	s_delay_alu instid0(SALU_CYCLE_1) | instskip(NEXT) | instid1(SALU_CYCLE_1)
	s_and_saveexec_b32 s74, s13
	s_xor_b32 s13, exec_lo, s74
	s_cbranch_execz .LBB12_6329
; %bb.6328:                             ;   in Loop: Header=BB12_6317 Depth=3
	v_or_b32_e32 v126, 64, v126
	s_wait_storecnt 0x0
	s_wait_loadcnt_dscnt 0x0
	ds_store_b32 v0, v0
	s_trap 2
.LBB12_6329:                            ;   in Loop: Header=BB12_6317 Depth=3
	s_or_b32 exec_lo, exec_lo, s13
.LBB12_6330:                            ;   in Loop: Header=BB12_6317 Depth=3
	s_delay_alu instid0(SALU_CYCLE_1) | instskip(SKIP_3) | instid1(VALU_DEP_1)
	s_or_b32 exec_lo, exec_lo, s41
	v_and_b32_e32 v0, 0x108, v126
	s_mov_b32 s13, exec_lo
	;;#ASMSTART
	s_wakeup
	;;#ASMEND
                                        ; implicit-def: $vgpr10_vgpr11
	v_cmpx_ne_u32_e32 0x108, v0
	s_xor_b32 s13, exec_lo, s13
; %bb.6331:                             ;   in Loop: Header=BB12_6317 Depth=3
	v_dual_mov_b32 v11, v3 :: v_dual_bitop2_b32 v10, 7, v116 bitop3:0x40
                                        ; implicit-def: $vgpr116_vgpr117
; %bb.6332:                             ;   in Loop: Header=BB12_6317 Depth=3
	s_and_not1_saveexec_b32 s13, s13
	s_cbranch_execz .LBB12_6334
; %bb.6333:                             ;   in Loop: Header=BB12_6317 Depth=3
	scratch_load_b128 v[12:15], off, s33 offset:288 ; 16-byte Folded Reload
	v_dual_mov_b32 v11, v3 :: v_dual_bitop2_b32 v10, 7, v116 bitop3:0x40
	v_ashrrev_i32_e32 v5, 31, v4
	s_delay_alu instid0(VALU_DEP_1) | instskip(SKIP_1) | instid1(VALU_DEP_3)
	v_lshlrev_b64_e32 v[6:7], 1, v[4:5]
	s_wait_loadcnt 0x0
	v_mad_nc_u64_u32 v[0:1], v10, 24, v[12:13]
	flat_store_b64 v[0:1], v[6:7] offset:8
.LBB12_6334:                            ;   in Loop: Header=BB12_6317 Depth=3
	s_wait_xcnt 0x0
	s_or_b32 exec_lo, exec_lo, s13
	v_and_b32_e32 v0, 0x100, v126
	s_mov_b32 s13, -1
	s_mov_b32 s41, exec_lo
                                        ; implicit-def: $vgpr12_vgpr13
	s_delay_alu instid0(VALU_DEP_1)
	v_cmpx_ne_u32_e32 0, v0
	s_cbranch_execz .LBB12_6338
; %bb.6335:                             ;   in Loop: Header=BB12_6317 Depth=3
	scratch_load_b128 v[12:15], off, s33 offset:288 ; 16-byte Folded Reload
	s_mov_b32 s74, exec_lo
	s_wait_loadcnt 0x0
	v_mad_nc_u64_u32 v[14:15], v10, 24, v[12:13]
                                        ; implicit-def: $vgpr12_vgpr13
	s_delay_alu instid0(VALU_DEP_1)
	v_mad_u32 v15, v11, 24, v15
	flat_load_b32 v0, v[14:15]
	s_wait_loadcnt_dscnt 0x0
	v_cmp_ne_u32_e32 vcc_lo, 1, v0
	s_wait_xcnt 0x0
	v_cmpx_eq_u32_e32 1, v0
	s_cbranch_execz .LBB12_6337
; %bb.6336:                             ;   in Loop: Header=BB12_6317 Depth=3
	flat_load_b32 v0, v[14:15] offset:4 scope:SCOPE_SYS
	s_wait_loadcnt_dscnt 0x0
	v_ashrrev_i32_e32 v1, 31, v0
	s_delay_alu instid0(VALU_DEP_1)
	v_lshrrev_b64 v[12:13], 1, v[0:1]
.LBB12_6337:                            ;   in Loop: Header=BB12_6317 Depth=3
	s_wait_xcnt 0x0
	s_or_b32 exec_lo, exec_lo, s74
	s_delay_alu instid0(SALU_CYCLE_1)
	s_or_not1_b32 s13, vcc_lo, exec_lo
.LBB12_6338:                            ;   in Loop: Header=BB12_6317 Depth=3
	s_or_b32 exec_lo, exec_lo, s41
	s_and_saveexec_b32 s41, s13
	s_cbranch_execz .LBB12_6340
; %bb.6339:                             ;   in Loop: Header=BB12_6317 Depth=3
	scratch_load_b64 v[0:1], off, s33 offset:312 ; 8-byte Folded Reload
	s_wait_loadcnt 0x0
	v_mul_u64_e32 v[12:13], v[10:11], v[0:1]
.LBB12_6340:                            ;   in Loop: Header=BB12_6317 Depth=3
	s_wait_xcnt 0x0
	s_or_b32 exec_lo, exec_lo, s41
	v_cmp_eq_u32_e32 vcc_lo, 0, v2
	v_mov_b32_e32 v0, 0x88
	v_and_b32_e32 v5, 0x2000, v126
	s_mov_b32 s13, exec_lo
	s_delay_alu instid0(VALU_DEP_2) | instskip(SKIP_3) | instid1(VALU_DEP_1)
	v_cndmask_b32_e32 v2, 0xd0, v0, vcc_lo
	scratch_load_b64 v[0:1], off, s33 offset:280 ; 8-byte Folded Reload
	s_wait_loadcnt 0x0
	v_lshl_add_u64 v[0:1], v[12:13], 1, v[0:1]
	v_add_nc_u32_e32 v2, v0, v2
	ds_store_b64 v2, v[0:1] offset:584
	s_wait_xcnt 0x0
	v_cmpx_ne_u32_e32 0, v5
	s_cbranch_execz .LBB12_6342
; %bb.6341:                             ;   in Loop: Header=BB12_6317 Depth=3
	ds_load_b64 v[0:1], v0 offset:872
	s_wait_dscnt 0x0
	v_add_nc_u64_e32 v[0:1], 1, v[0:1]
	ds_store_b64 v0, v[0:1] offset:872
.LBB12_6342:                            ;   in Loop: Header=BB12_6317 Depth=3
	s_or_b32 exec_lo, exec_lo, s13
	v_mov_b64_e32 v[116:117], v[8:9]
.LBB12_6343:                            ;   in Loop: Header=BB12_6317 Depth=3
	s_or_b32 exec_lo, exec_lo, s40
	s_xor_b32 s13, s27, -1
	s_delay_alu instid0(SALU_CYCLE_1) | instskip(NEXT) | instid1(SALU_CYCLE_1)
	s_and_b32 s13, exec_lo, s13
	s_or_b32 s15, s13, s15
	s_and_saveexec_b32 s13, s2
	s_cbranch_execz .LBB12_6362
; %bb.6344:                             ;   in Loop: Header=BB12_6317 Depth=3
	s_and_saveexec_b32 s27, s3
	s_delay_alu instid0(SALU_CYCLE_1)
	s_xor_b32 s27, exec_lo, s27
	s_cbranch_execz .LBB12_6359
; %bb.6345:                             ;   in Loop: Header=BB12_6317 Depth=3
	s_and_saveexec_b32 s40, s6
	s_cbranch_execz .LBB12_6358
; %bb.6346:                             ;   in Loop: Header=BB12_6317 Depth=3
	s_mov_b32 s74, exec_lo
	s_mov_b32 s41, exec_lo
	v_mbcnt_lo_u32_b32 v0, s74, 0
	global_wb scope:SCOPE_DEV
	s_wait_storecnt_dscnt 0x0
	global_inv scope:SCOPE_DEV
	v_cmpx_eq_u32_e32 0, v0
	s_cbranch_execz .LBB12_6348
; %bb.6347:                             ;   in Loop: Header=BB12_6317 Depth=3
	s_bcnt1_i32_b32 s74, s74
	s_delay_alu instid0(SALU_CYCLE_1)
	v_mov_b32_e32 v2, s74
	s_wait_loadcnt 0x0
	ds_add_u64 v0, v[2:3]
	s_trap 2
.LBB12_6348:                            ;   in Loop: Header=BB12_6317 Depth=3
	s_or_b32 exec_lo, exec_lo, s41
	s_trap 2
	ds_load_b64 v[0:1], v0
	s_wait_dscnt 0x0
	v_add_nc_u64_e32 v[56:57], v[56:57], v[60:61]
	s_mov_b32 s41, exec_lo
	s_delay_alu instid0(VALU_DEP_1)
	v_cmpx_lt_u64_e64 v[0:1], v[56:57]
	s_cbranch_execz .LBB12_6357
; %bb.6349:                             ;   in Loop: Header=BB12_6317 Depth=3
	s_mov_b32 s74, 0
	s_mov_b32 s77, 0
                                        ; implicit-def: $sgpr75
                                        ; implicit-def: $sgpr76
	s_branch .LBB12_6351
.LBB12_6350:                            ;   in Loop: Header=BB12_6351 Depth=4
	s_or_b32 exec_lo, exec_lo, s79
	s_delay_alu instid0(SALU_CYCLE_1) | instskip(NEXT) | instid1(SALU_CYCLE_1)
	s_and_b32 s78, exec_lo, s88
	s_or_b32 s74, s78, s74
	s_and_not1_b32 s75, s75, exec_lo
	s_and_b32 s78, s76, exec_lo
	s_delay_alu instid0(SALU_CYCLE_1)
	s_or_b32 s75, s75, s78
	s_and_not1_b32 exec_lo, exec_lo, s74
	s_cbranch_execz .LBB12_6355
.LBB12_6351:                            ;   Parent Loop BB12_47 Depth=1
                                        ;     Parent Loop BB12_6071 Depth=2
                                        ;       Parent Loop BB12_6317 Depth=3
                                        ; =>      This Inner Loop Header: Depth=4
	s_add_co_i32 s77, s77, 1
	s_delay_alu instid0(SALU_CYCLE_1) | instskip(SKIP_1) | instid1(SALU_CYCLE_1)
	s_cmp_lg_u32 s77, 0x2710
	s_cselect_b32 s78, -1, 0
	s_and_b32 vcc_lo, exec_lo, s78
	s_cbranch_vccz .LBB12_6353
; %bb.6352:                             ;   in Loop: Header=BB12_6351 Depth=4
	s_mov_b32 s88, -1
	s_or_b32 s76, s76, exec_lo
	s_and_saveexec_b32 s79, s78
	s_cbranch_execz .LBB12_6350
	s_branch .LBB12_6354
.LBB12_6353:                            ;   in Loop: Header=BB12_6351 Depth=4
	s_trap 2
	ds_load_b64 v[0:1], v0
	s_and_not1_b32 s78, s78, exec_lo
	s_mov_b32 s77, 0
	s_wait_loadcnt_dscnt 0x0
	flat_load_b32 v0, v[0:1] scope:SCOPE_SYS
	s_wait_loadcnt_dscnt 0x0
	global_inv scope:SCOPE_SYS
	v_cmp_eq_u32_e32 vcc_lo, 0, v0
	s_and_b32 s79, vcc_lo, exec_lo
	s_delay_alu instid0(SALU_CYCLE_1)
	s_or_b32 s78, s78, s79
	s_mov_b32 s88, -1
	s_or_b32 s76, s76, exec_lo
	s_and_saveexec_b32 s79, s78
	s_cbranch_execz .LBB12_6350
.LBB12_6354:                            ;   in Loop: Header=BB12_6351 Depth=4
	s_sleep 1
	s_trap 2
	ds_load_b64 v[0:1], v0
	s_wait_dscnt 0x0
	s_and_not1_b32 s76, s76, exec_lo
	v_cmp_ge_u64_e32 vcc_lo, v[0:1], v[56:57]
	s_or_not1_b32 s88, vcc_lo, exec_lo
	s_branch .LBB12_6350
.LBB12_6355:                            ;   in Loop: Header=BB12_6317 Depth=3
	s_or_b32 exec_lo, exec_lo, s74
	s_and_saveexec_b32 s74, s75
	s_delay_alu instid0(SALU_CYCLE_1)
	s_xor_b32 s74, exec_lo, s74
	s_cbranch_execz .LBB12_6357
; %bb.6356:                             ;   in Loop: Header=BB12_6317 Depth=3
	v_mov_b32_e32 v0, 1
	ds_store_b32 v0, v0
	s_trap 2
.LBB12_6357:                            ;   in Loop: Header=BB12_6317 Depth=3
	s_or_b32 exec_lo, exec_lo, s41
	;;#ASMSTART
	s_wakeup
	;;#ASMEND
.LBB12_6358:                            ;   in Loop: Header=BB12_6317 Depth=3
	s_or_b32 exec_lo, exec_lo, s40
.LBB12_6359:                            ;   in Loop: Header=BB12_6317 Depth=3
	s_and_not1_saveexec_b32 s27, s27
	s_cbranch_execz .LBB12_6361
; %bb.6360:                             ;   in Loop: Header=BB12_6317 Depth=3
	global_wb scope:SCOPE_DEV
	s_wait_storecnt 0x0
	s_wait_loadcnt_dscnt 0x0
	global_inv scope:SCOPE_DEV
	s_barrier_signal -1
	s_barrier_wait -1
.LBB12_6361:                            ;   in Loop: Header=BB12_6317 Depth=3
	s_or_b32 exec_lo, exec_lo, s27
.LBB12_6362:                            ;   in Loop: Header=BB12_6317 Depth=3
	s_delay_alu instid0(SALU_CYCLE_1) | instskip(SKIP_1) | instid1(SALU_CYCLE_1)
	s_or_b32 exec_lo, exec_lo, s13
                                        ; implicit-def: $vgpr0
	s_and_saveexec_b32 s13, s12
	s_xor_b32 s27, exec_lo, s13
	s_cbranch_execz .LBB12_6366
; %bb.6363:                             ;   in Loop: Header=BB12_6317 Depth=3
	s_trap 2
	ds_load_b32 v0, v0
	v_cmp_lt_i32_e32 vcc_lo, 0, v4
	s_wait_dscnt 0x0
	v_readfirstlane_b32 s13, v0
	v_and_b32_e32 v0, 16, v126
	s_cmp_eq_u32 s13, 0
	s_delay_alu instid0(VALU_DEP_1) | instskip(SKIP_3) | instid1(SALU_CYCLE_1)
	v_cmp_ne_u32_e64 s13, 0, v0
	s_cselect_b32 s40, -1, 0
	v_and_b32_e32 v0, 16, v126
	s_and_b32 s40, vcc_lo, s40
	s_and_b32 s40, s13, s40
	s_delay_alu instid0(SALU_CYCLE_1)
	s_and_saveexec_b32 s13, s40
	s_cbranch_execz .LBB12_6365
; %bb.6364:                             ;   in Loop: Header=BB12_6317 Depth=3
	v_mov_b32_e32 v0, 1
	global_wb scope:SCOPE_SYS
	s_wait_loadcnt 0x0
	s_wait_storecnt 0x0
	global_inv scope:SCOPE_SYS
.LBB12_6365:                            ;   in Loop: Header=BB12_6317 Depth=3
	s_or_b32 exec_lo, exec_lo, s13
	s_and_not1_saveexec_b32 s13, s27
	s_cbranch_execz .LBB12_6385
	s_branch .LBB12_6367
.LBB12_6366:                            ;   in Loop: Header=BB12_6317 Depth=3
	s_and_not1_saveexec_b32 s13, s27
	s_cbranch_execz .LBB12_6385
.LBB12_6367:                            ;   in Loop: Header=BB12_6317 Depth=3
	s_and_saveexec_b32 s27, s3
	s_delay_alu instid0(SALU_CYCLE_1)
	s_xor_b32 s27, exec_lo, s27
	s_cbranch_execz .LBB12_6382
; %bb.6368:                             ;   in Loop: Header=BB12_6317 Depth=3
	s_and_saveexec_b32 s40, s6
	s_cbranch_execz .LBB12_6381
; %bb.6369:                             ;   in Loop: Header=BB12_6317 Depth=3
	s_mov_b32 s74, exec_lo
	s_mov_b32 s41, exec_lo
	v_mbcnt_lo_u32_b32 v0, s74, 0
	;;#ASMSTART
	s_waitcnt lgkmcnt(0) vmcnt(0)
	;;#ASMEND
	s_delay_alu instid0(VALU_DEP_1)
	v_cmpx_eq_u32_e32 0, v0
	s_cbranch_execz .LBB12_6371
; %bb.6370:                             ;   in Loop: Header=BB12_6317 Depth=3
	s_bcnt1_i32_b32 s74, s74
	s_delay_alu instid0(SALU_CYCLE_1)
	v_mov_b32_e32 v2, s74
	s_wait_storecnt 0x0
	s_wait_loadcnt_dscnt 0x0
	ds_add_u64 v0, v[2:3]
	s_trap 2
.LBB12_6371:                            ;   in Loop: Header=BB12_6317 Depth=3
	s_or_b32 exec_lo, exec_lo, s41
	s_trap 2
	ds_load_b64 v[0:1], v0
	s_wait_dscnt 0x0
	v_add_nc_u64_e32 v[56:57], v[56:57], v[60:61]
	s_mov_b32 s41, exec_lo
	s_delay_alu instid0(VALU_DEP_1)
	v_cmpx_lt_u64_e64 v[0:1], v[56:57]
	s_cbranch_execz .LBB12_6380
; %bb.6372:                             ;   in Loop: Header=BB12_6317 Depth=3
	s_mov_b32 s74, 0
	s_mov_b32 s77, 0
                                        ; implicit-def: $sgpr75
                                        ; implicit-def: $sgpr76
	s_branch .LBB12_6374
.LBB12_6373:                            ;   in Loop: Header=BB12_6374 Depth=4
	s_or_b32 exec_lo, exec_lo, s79
	s_delay_alu instid0(SALU_CYCLE_1) | instskip(NEXT) | instid1(SALU_CYCLE_1)
	s_and_b32 s78, exec_lo, s88
	s_or_b32 s74, s78, s74
	s_and_not1_b32 s75, s75, exec_lo
	s_and_b32 s78, s76, exec_lo
	s_delay_alu instid0(SALU_CYCLE_1)
	s_or_b32 s75, s75, s78
	s_and_not1_b32 exec_lo, exec_lo, s74
	s_cbranch_execz .LBB12_6378
.LBB12_6374:                            ;   Parent Loop BB12_47 Depth=1
                                        ;     Parent Loop BB12_6071 Depth=2
                                        ;       Parent Loop BB12_6317 Depth=3
                                        ; =>      This Inner Loop Header: Depth=4
	s_add_co_i32 s77, s77, 1
	s_delay_alu instid0(SALU_CYCLE_1) | instskip(SKIP_1) | instid1(SALU_CYCLE_1)
	s_cmp_lg_u32 s77, 0x2710
	s_cselect_b32 s78, -1, 0
	s_and_b32 vcc_lo, exec_lo, s78
	s_cbranch_vccz .LBB12_6376
; %bb.6375:                             ;   in Loop: Header=BB12_6374 Depth=4
	s_mov_b32 s88, -1
	s_or_b32 s76, s76, exec_lo
	s_and_saveexec_b32 s79, s78
	s_cbranch_execz .LBB12_6373
	s_branch .LBB12_6377
.LBB12_6376:                            ;   in Loop: Header=BB12_6374 Depth=4
	s_trap 2
	ds_load_b64 v[0:1], v0
	s_and_not1_b32 s78, s78, exec_lo
	s_mov_b32 s77, 0
	s_wait_storecnt 0x0
	s_wait_loadcnt_dscnt 0x0
	flat_load_b32 v0, v[0:1] scope:SCOPE_SYS
	s_wait_loadcnt_dscnt 0x0
	global_inv scope:SCOPE_SYS
	v_cmp_eq_u32_e32 vcc_lo, 0, v0
	s_and_b32 s79, vcc_lo, exec_lo
	s_delay_alu instid0(SALU_CYCLE_1)
	s_or_b32 s78, s78, s79
	s_mov_b32 s88, -1
	s_or_b32 s76, s76, exec_lo
	s_and_saveexec_b32 s79, s78
	s_cbranch_execz .LBB12_6373
.LBB12_6377:                            ;   in Loop: Header=BB12_6374 Depth=4
	s_sleep 1
	s_trap 2
	ds_load_b64 v[0:1], v0
	s_wait_dscnt 0x0
	s_and_not1_b32 s76, s76, exec_lo
	v_cmp_ge_u64_e32 vcc_lo, v[0:1], v[56:57]
	s_or_not1_b32 s88, vcc_lo, exec_lo
	s_branch .LBB12_6373
.LBB12_6378:                            ;   in Loop: Header=BB12_6317 Depth=3
	s_or_b32 exec_lo, exec_lo, s74
	s_and_saveexec_b32 s74, s75
	s_delay_alu instid0(SALU_CYCLE_1)
	s_xor_b32 s74, exec_lo, s74
	s_cbranch_execz .LBB12_6380
; %bb.6379:                             ;   in Loop: Header=BB12_6317 Depth=3
	v_mov_b32_e32 v0, 1
	ds_store_b32 v0, v0
	s_trap 2
.LBB12_6380:                            ;   in Loop: Header=BB12_6317 Depth=3
	s_or_b32 exec_lo, exec_lo, s41
	;;#ASMSTART
	s_wakeup
	;;#ASMEND
.LBB12_6381:                            ;   in Loop: Header=BB12_6317 Depth=3
	s_or_b32 exec_lo, exec_lo, s40
.LBB12_6382:                            ;   in Loop: Header=BB12_6317 Depth=3
	s_and_not1_saveexec_b32 s27, s27
	s_cbranch_execz .LBB12_6384
; %bb.6383:                             ;   in Loop: Header=BB12_6317 Depth=3
	;;#ASMSTART
	s_waitcnt lgkmcnt(0) vmcnt(0)
	;;#ASMEND
	s_barrier_signal -1
	s_barrier_wait -1
.LBB12_6384:                            ;   in Loop: Header=BB12_6317 Depth=3
	s_or_b32 exec_lo, exec_lo, s27
	v_and_b32_e32 v0, 16, v126
.LBB12_6385:                            ;   in Loop: Header=BB12_6317 Depth=3
	s_or_b32 exec_lo, exec_lo, s13
	s_delay_alu instid0(VALU_DEP_1) | instskip(SKIP_1) | instid1(SALU_CYCLE_1)
	v_cmp_ne_u32_e32 vcc_lo, 0, v0
	s_xor_b32 s13, s4, -1
	s_and_b32 s27, vcc_lo, s13
	s_delay_alu instid0(SALU_CYCLE_1)
	s_and_saveexec_b32 s13, s27
	s_cbranch_execz .LBB12_6387
; %bb.6386:                             ;   in Loop: Header=BB12_6317 Depth=3
	scratch_load_b64 v[0:1], off, s33 offset:304 ; 8-byte Folded Reload
	v_mov_b32_e32 v2, 1
	global_wb scope:SCOPE_SYS
	s_wait_storecnt 0x0
	s_wait_xcnt 0x0
	s_wait_loadcnt_dscnt 0x0
	flat_store_b32 v[0:1], v2 scope:SCOPE_SYS
.LBB12_6387:                            ;   in Loop: Header=BB12_6317 Depth=3
	s_wait_xcnt 0x0
	s_or_b32 exec_lo, exec_lo, s13
	v_and_b32_e32 v0, 48, v126
	s_mov_b32 s13, exec_lo
	s_delay_alu instid0(VALU_DEP_1)
	v_cmpx_ne_u32_e32 0, v0
	s_cbranch_execz .LBB12_6316
; %bb.6388:                             ;   in Loop: Header=BB12_6317 Depth=3
	v_add_nc_u64_e32 v[116:117], 2, v[116:117]
	global_wb scope:SCOPE_SYS
	s_wait_storecnt 0x0
	s_wait_loadcnt_dscnt 0x0
	flat_store_b64 v[40:41], v[116:117] scope:SCOPE_SYS
	s_branch .LBB12_6316
.LBB12_6389:                            ;   in Loop: Header=BB12_6071 Depth=2
	s_or_b32 exec_lo, exec_lo, s15
.LBB12_6390:                            ;   in Loop: Header=BB12_6071 Depth=2
	s_delay_alu instid0(SALU_CYCLE_1)
	s_or_b32 exec_lo, exec_lo, s14
	s_add_co_i32 s13, s18, 1
	s_cmp_eq_u32 s18, s62
	s_cbranch_scc1 .LBB12_6392
; %bb.6391:                             ;   in Loop: Header=BB12_6071 Depth=2
	s_mov_b32 s18, s13
	s_branch .LBB12_6071
.LBB12_6392:                            ;   in Loop: Header=BB12_47 Depth=1
	scratch_load_b64 v[4:5], off, s33 offset:380 ; 8-byte Folded Reload
	s_wait_loadcnt 0x1
	scratch_load_b64 v[0:1], off, s33 offset:372 th:TH_LOAD_LU ; 8-byte Folded Reload
	s_wait_loadcnt 0x1
	v_mul_u64_e32 v[8:9], s[28:29], v[4:5]
	s_wait_loadcnt 0x0
	s_delay_alu instid0(VALU_DEP_1) | instskip(NEXT) | instid1(VALU_DEP_1)
	v_sub_nc_u64_e32 v[0:1], v[0:1], v[8:9]
	v_min_i64 v[4:5], v[4:5], v[0:1]
	s_delay_alu instid0(VALU_DEP_1) | instskip(SKIP_1) | instid1(VALU_DEP_2)
	v_max_i32_e32 v76, 0, v4
	v_cmp_lt_i32_e32 vcc_lo, 0, v4
	v_dual_mov_b32 v4, 0 :: v_dual_add_nc_u32 v0, 31, v76
	s_and_b32 s13, s63, vcc_lo
	s_delay_alu instid0(VALU_DEP_1) | instskip(NEXT) | instid1(VALU_DEP_1)
	v_lshrrev_b32_e32 v0, 1, v0
	v_and_b32_e32 v1, 0x3ffffff0, v0
	s_delay_alu instid0(VALU_DEP_1)
	v_dual_mov_b32 v0, 0 :: v_dual_max_i32 v77, s45, v1
	s_wait_xcnt 0x0
	s_and_saveexec_b32 s14, s13
	s_cbranch_execz .LBB12_6561
; %bb.6393:                             ;   in Loop: Header=BB12_47 Depth=1
	scratch_load_b64 v[0:1], off, s33 offset:332 th:TH_LOAD_LU ; 8-byte Folded Reload
	v_mov_b32_e32 v4, 0
	s_mov_b32 s27, 1
	s_mov_b32 s18, -1
	s_mov_b32 s15, 0
	s_wait_loadcnt 0x0
	v_add_nc_u64_e32 v[0:1], v[8:9], v[0:1]
	s_delay_alu instid0(VALU_DEP_1)
	v_lshlrev_b64_e32 v[28:29], 1, v[0:1]
	s_branch .LBB12_6395
.LBB12_6394:                            ;   in Loop: Header=BB12_6395 Depth=2
	s_wait_xcnt 0x0
	s_or_b32 exec_lo, exec_lo, s13
	v_dual_add_nc_u32 v4, v77, v4 :: v_dual_mov_b32 v0, s27
	s_xor_b32 s13, s18, -1
	s_mov_b32 s18, 0
	s_mov_b32 s27, 2
	s_delay_alu instid0(VALU_DEP_1) | instskip(SKIP_1) | instid1(SALU_CYCLE_1)
	v_cmp_ge_i32_e32 vcc_lo, v4, v76
	s_or_b32 s13, s13, vcc_lo
	s_and_b32 s13, exec_lo, s13
	s_delay_alu instid0(SALU_CYCLE_1) | instskip(NEXT) | instid1(SALU_CYCLE_1)
	s_or_b32 s15, s13, s15
	s_and_not1_b32 exec_lo, exec_lo, s15
	s_cbranch_execz .LBB12_6560
.LBB12_6395:                            ;   Parent Loop BB12_47 Depth=1
                                        ; =>  This Loop Header: Depth=2
                                        ;       Child Loop BB12_6403 Depth 3
                                        ;       Child Loop BB12_6427 Depth 3
	;; [unrolled: 1-line block ×9, first 2 shown]
	s_wait_xcnt 0x0
	s_and_saveexec_b32 s13, s0
	s_cbranch_execz .LBB12_6397
; %bb.6396:                             ;   in Loop: Header=BB12_6395 Depth=2
	s_trap 2
	s_wait_loadcnt 0x1
	ds_load_b128 v[6:9], v0
	s_wait_dscnt 0x0
	v_cmp_ne_u64_e32 vcc_lo, 0, v[8:9]
	s_wait_loadcnt 0x0
	v_ashrrev_i32_e32 v5, 31, v4
	v_add_nc_u64_e32 v[10:11], v[8:9], v[28:29]
	v_add_nc_u64_e32 v[6:7], v[6:7], v[28:29]
	s_delay_alu instid0(VALU_DEP_3) | instskip(NEXT) | instid1(VALU_DEP_1)
	v_lshlrev_b64_e32 v[0:1], 1, v[4:5]
	v_add_nc_u64_e32 v[10:11], v[10:11], v[0:1]
	s_delay_alu instid0(VALU_DEP_3) | instskip(NEXT) | instid1(VALU_DEP_2)
	v_add_nc_u64_e32 v[0:1], v[6:7], v[0:1]
	v_dual_cndmask_b32 v7, 0, v11 :: v_dual_cndmask_b32 v6, 0, v10
	ds_store_b64 v0, v[0:1]
	ds_store_b64 v0, v[6:7]
.LBB12_6397:                            ;   in Loop: Header=BB12_6395 Depth=2
	s_or_b32 exec_lo, exec_lo, s13
	v_and_b32_e32 v0, 4, v126
	s_mov_b32 s40, exec_lo
	s_delay_alu instid0(VALU_DEP_1)
	v_cmpx_ne_u32_e32 0, v0
	s_cbranch_execz .LBB12_6419
; %bb.6398:                             ;   in Loop: Header=BB12_6395 Depth=2
	s_wait_loadcnt 0x1
	v_add_nc_u64_e32 v[8:9], 2, v[116:117]
	s_mov_b32 s41, exec_lo
	s_wait_dscnt 0x1
	s_delay_alu instid0(VALU_DEP_1)
	v_cmpx_lt_u64_e64 v[58:59], v[8:9]
	s_cbranch_execz .LBB12_6410
; %bb.6399:                             ;   in Loop: Header=BB12_6395 Depth=2
	v_and_b32_e32 v0, 64, v126
	s_mov_b32 s74, 0
	s_mov_b32 s78, 0
                                        ; implicit-def: $sgpr75
                                        ; implicit-def: $sgpr76
                                        ; implicit-def: $sgpr77
	s_delay_alu instid0(VALU_DEP_1)
	v_cmp_eq_u32_e32 vcc_lo, 0, v0
	s_branch .LBB12_6403
.LBB12_6400:                            ;   in Loop: Header=BB12_6403 Depth=3
	s_wait_loadcnt_dscnt 0x0
	v_cmp_ge_u64_e64 s13, v[58:59], v[8:9]
	s_or_b32 s89, s89, exec_lo
	s_or_not1_b32 s88, s13, exec_lo
.LBB12_6401:                            ;   in Loop: Header=BB12_6403 Depth=3
	s_or_b32 exec_lo, exec_lo, s91
	s_delay_alu instid0(SALU_CYCLE_1)
	s_and_not1_b32 s13, s77, exec_lo
	s_and_b32 s77, s89, exec_lo
	s_and_not1_b32 s76, s76, exec_lo
	s_and_b32 s88, s88, exec_lo
	s_or_b32 s77, s13, s77
	s_or_b32 s76, s76, s88
.LBB12_6402:                            ;   in Loop: Header=BB12_6403 Depth=3
	s_or_b32 exec_lo, exec_lo, s79
	s_delay_alu instid0(SALU_CYCLE_1) | instskip(NEXT) | instid1(SALU_CYCLE_1)
	s_and_b32 s13, exec_lo, s76
	s_or_b32 s74, s13, s74
	s_and_not1_b32 s13, s75, exec_lo
	s_and_b32 s75, s77, exec_lo
	s_delay_alu instid0(SALU_CYCLE_1)
	s_or_b32 s75, s13, s75
	s_and_not1_b32 exec_lo, exec_lo, s74
	s_cbranch_execz .LBB12_6407
.LBB12_6403:                            ;   Parent Loop BB12_47 Depth=1
                                        ;     Parent Loop BB12_6395 Depth=2
                                        ; =>    This Inner Loop Header: Depth=3
	s_sleep 1
	s_wait_loadcnt_dscnt 0x0
	flat_load_b64 v[58:59], v[40:41] scope:SCOPE_SYS
	s_or_b32 s77, s77, exec_lo
	s_or_b32 s76, s76, exec_lo
                                        ; implicit-def: $vgpr0
	s_wait_xcnt 0x0
	s_and_saveexec_b32 s79, vcc_lo
	s_cbranch_execz .LBB12_6402
; %bb.6404:                             ;   in Loop: Header=BB12_6403 Depth=3
	s_cmp_lt_i32 s78, 0x270f
	s_mov_b32 s88, -1
	s_cselect_b32 s90, -1, 0
	s_cmp_gt_i32 s78, 0x270e
	s_cbranch_scc0 .LBB12_6406
; %bb.6405:                             ;   in Loop: Header=BB12_6403 Depth=3
	s_trap 2
	ds_load_b64 v[0:1], v0
	s_and_not1_b32 s78, s90, exec_lo
	s_mov_b32 s89, 0
	s_wait_storecnt 0x0
	s_wait_loadcnt_dscnt 0x0
	flat_load_b32 v0, v[0:1] scope:SCOPE_SYS
	s_wait_loadcnt_dscnt 0x0
	global_inv scope:SCOPE_SYS
	v_cmp_eq_u32_e64 s13, 0, v0
	s_and_b32 s13, s13, exec_lo
	s_delay_alu instid0(SALU_CYCLE_1)
	s_or_b32 s90, s78, s13
	s_mov_b32 s78, 0
	s_wait_xcnt 0x0
	s_and_saveexec_b32 s91, s90
	s_cbranch_execz .LBB12_6401
	s_branch .LBB12_6400
.LBB12_6406:                            ;   in Loop: Header=BB12_6403 Depth=3
	s_add_co_i32 s78, s78, 1
	s_mov_b32 s89, -1
                                        ; implicit-def: $vgpr0
	s_and_saveexec_b32 s91, s90
	s_cbranch_execz .LBB12_6401
	s_branch .LBB12_6400
.LBB12_6407:                            ;   in Loop: Header=BB12_6395 Depth=2
	s_or_b32 exec_lo, exec_lo, s74
	s_xor_b32 s13, s75, -1
	s_delay_alu instid0(SALU_CYCLE_1) | instskip(NEXT) | instid1(SALU_CYCLE_1)
	s_and_saveexec_b32 s74, s13
	s_xor_b32 s13, exec_lo, s74
	s_cbranch_execz .LBB12_6409
; %bb.6408:                             ;   in Loop: Header=BB12_6395 Depth=2
	v_or_b32_e32 v126, 64, v126
	s_wait_storecnt 0x0
	s_wait_loadcnt_dscnt 0x0
	ds_store_b32 v0, v0
	s_trap 2
.LBB12_6409:                            ;   in Loop: Header=BB12_6395 Depth=2
	s_or_b32 exec_lo, exec_lo, s13
.LBB12_6410:                            ;   in Loop: Header=BB12_6395 Depth=2
	s_delay_alu instid0(SALU_CYCLE_1)
	s_or_b32 exec_lo, exec_lo, s41
	v_and_b32_e32 v0, 0x100, v126
	v_and_b32_e32 v2, 7, v116
	s_mov_b32 s13, -1
	s_mov_b32 s41, exec_lo
	;;#ASMSTART
	s_wakeup
	;;#ASMEND
                                        ; implicit-def: $vgpr10_vgpr11
	v_cmpx_ne_u32_e32 0, v0
	s_cbranch_execz .LBB12_6414
; %bb.6411:                             ;   in Loop: Header=BB12_6395 Depth=2
	scratch_load_b128 v[10:13], off, s33 offset:288 ; 16-byte Folded Reload
	s_mov_b32 s74, exec_lo
	s_wait_loadcnt 0x0
	v_mad_nc_u64_u32 v[12:13], v2, 24, v[10:11]
                                        ; implicit-def: $vgpr10_vgpr11
	flat_load_b32 v0, v[12:13]
	s_wait_loadcnt_dscnt 0x0
	v_cmp_ne_u32_e32 vcc_lo, 1, v0
	s_wait_xcnt 0x0
	v_cmpx_eq_u32_e32 1, v0
	s_cbranch_execz .LBB12_6413
; %bb.6412:                             ;   in Loop: Header=BB12_6395 Depth=2
	flat_load_b32 v0, v[12:13] offset:4 scope:SCOPE_SYS
	s_wait_loadcnt_dscnt 0x0
	v_ashrrev_i32_e32 v1, 31, v0
	s_delay_alu instid0(VALU_DEP_1)
	v_lshrrev_b64 v[10:11], 1, v[0:1]
.LBB12_6413:                            ;   in Loop: Header=BB12_6395 Depth=2
	s_wait_xcnt 0x0
	s_or_b32 exec_lo, exec_lo, s74
	s_delay_alu instid0(SALU_CYCLE_1)
	s_or_not1_b32 s13, vcc_lo, exec_lo
.LBB12_6414:                            ;   in Loop: Header=BB12_6395 Depth=2
	s_or_b32 exec_lo, exec_lo, s41
	s_and_saveexec_b32 s41, s13
	s_cbranch_execz .LBB12_6416
; %bb.6415:                             ;   in Loop: Header=BB12_6395 Depth=2
	scratch_load_b64 v[0:1], off, s33 offset:312 ; 8-byte Folded Reload
	s_wait_loadcnt 0x0
	v_mul_u64_e32 v[10:11], v[2:3], v[0:1]
.LBB12_6416:                            ;   in Loop: Header=BB12_6395 Depth=2
	s_wait_xcnt 0x0
	s_or_b32 exec_lo, exec_lo, s41
	scratch_load_b64 v[0:1], off, s33 offset:280 ; 8-byte Folded Reload
	v_and_b32_e32 v2, 0x2000, v126
	s_mov_b32 s13, exec_lo
	s_wait_loadcnt 0x0
	v_lshl_add_u64 v[0:1], v[10:11], 1, v[0:1]
	ds_store_b64 v0, v[0:1] offset:720
	s_wait_xcnt 0x0
	v_cmpx_ne_u32_e32 0, v2
	s_cbranch_execz .LBB12_6418
; %bb.6417:                             ;   in Loop: Header=BB12_6395 Depth=2
	ds_load_b64 v[0:1], v0 offset:872
	s_wait_dscnt 0x0
	v_add_nc_u64_e32 v[0:1], 1, v[0:1]
	ds_store_b64 v0, v[0:1] offset:872
.LBB12_6418:                            ;   in Loop: Header=BB12_6395 Depth=2
	s_or_b32 exec_lo, exec_lo, s13
	v_mov_b64_e32 v[116:117], v[8:9]
.LBB12_6419:                            ;   in Loop: Header=BB12_6395 Depth=2
	s_or_b32 exec_lo, exec_lo, s40
	s_and_saveexec_b32 s13, s2
	s_cbranch_execz .LBB12_6438
; %bb.6420:                             ;   in Loop: Header=BB12_6395 Depth=2
	s_and_saveexec_b32 s40, s3
	s_delay_alu instid0(SALU_CYCLE_1)
	s_xor_b32 s40, exec_lo, s40
	s_cbranch_execz .LBB12_6435
; %bb.6421:                             ;   in Loop: Header=BB12_6395 Depth=2
	s_and_saveexec_b32 s41, s6
	s_cbranch_execz .LBB12_6434
; %bb.6422:                             ;   in Loop: Header=BB12_6395 Depth=2
	s_mov_b32 s75, exec_lo
	s_mov_b32 s74, exec_lo
	v_mbcnt_lo_u32_b32 v0, s75, 0
	global_wb scope:SCOPE_DEV
	s_wait_storecnt_dscnt 0x0
	global_inv scope:SCOPE_DEV
	v_cmpx_eq_u32_e32 0, v0
	s_cbranch_execz .LBB12_6424
; %bb.6423:                             ;   in Loop: Header=BB12_6395 Depth=2
	s_bcnt1_i32_b32 s75, s75
	s_delay_alu instid0(SALU_CYCLE_1)
	v_mov_b32_e32 v2, s75
	s_wait_loadcnt 0x0
	ds_add_u64 v0, v[2:3]
	s_trap 2
.LBB12_6424:                            ;   in Loop: Header=BB12_6395 Depth=2
	s_or_b32 exec_lo, exec_lo, s74
	s_trap 2
	ds_load_b64 v[0:1], v0
	s_wait_dscnt 0x0
	v_add_nc_u64_e32 v[56:57], v[56:57], v[60:61]
	s_mov_b32 s74, exec_lo
	s_delay_alu instid0(VALU_DEP_1)
	v_cmpx_lt_u64_e64 v[0:1], v[56:57]
	s_cbranch_execz .LBB12_6433
; %bb.6425:                             ;   in Loop: Header=BB12_6395 Depth=2
	s_mov_b32 s75, 0
	s_mov_b32 s78, 0
                                        ; implicit-def: $sgpr76
                                        ; implicit-def: $sgpr77
	s_branch .LBB12_6427
.LBB12_6426:                            ;   in Loop: Header=BB12_6427 Depth=3
	s_or_b32 exec_lo, exec_lo, s88
	s_delay_alu instid0(SALU_CYCLE_1) | instskip(NEXT) | instid1(SALU_CYCLE_1)
	s_and_b32 s79, exec_lo, s89
	s_or_b32 s75, s79, s75
	s_and_not1_b32 s76, s76, exec_lo
	s_and_b32 s79, s77, exec_lo
	s_delay_alu instid0(SALU_CYCLE_1)
	s_or_b32 s76, s76, s79
	s_and_not1_b32 exec_lo, exec_lo, s75
	s_cbranch_execz .LBB12_6431
.LBB12_6427:                            ;   Parent Loop BB12_47 Depth=1
                                        ;     Parent Loop BB12_6395 Depth=2
                                        ; =>    This Inner Loop Header: Depth=3
	s_add_co_i32 s78, s78, 1
	s_delay_alu instid0(SALU_CYCLE_1) | instskip(SKIP_1) | instid1(SALU_CYCLE_1)
	s_cmp_lg_u32 s78, 0x2710
	s_cselect_b32 s79, -1, 0
	s_and_b32 vcc_lo, exec_lo, s79
	s_cbranch_vccz .LBB12_6429
; %bb.6428:                             ;   in Loop: Header=BB12_6427 Depth=3
	s_mov_b32 s89, -1
	s_or_b32 s77, s77, exec_lo
	s_and_saveexec_b32 s88, s79
	s_cbranch_execz .LBB12_6426
	s_branch .LBB12_6430
.LBB12_6429:                            ;   in Loop: Header=BB12_6427 Depth=3
	s_trap 2
	ds_load_b64 v[0:1], v0
	s_and_not1_b32 s79, s79, exec_lo
	s_mov_b32 s78, 0
	s_wait_loadcnt_dscnt 0x0
	flat_load_b32 v0, v[0:1] scope:SCOPE_SYS
	s_wait_loadcnt_dscnt 0x0
	global_inv scope:SCOPE_SYS
	v_cmp_eq_u32_e32 vcc_lo, 0, v0
	s_and_b32 s88, vcc_lo, exec_lo
	s_delay_alu instid0(SALU_CYCLE_1)
	s_or_b32 s79, s79, s88
	s_mov_b32 s89, -1
	s_or_b32 s77, s77, exec_lo
	s_wait_xcnt 0x0
	s_and_saveexec_b32 s88, s79
	s_cbranch_execz .LBB12_6426
.LBB12_6430:                            ;   in Loop: Header=BB12_6427 Depth=3
	s_sleep 1
	s_trap 2
	ds_load_b64 v[0:1], v0
	s_wait_dscnt 0x0
	s_and_not1_b32 s77, s77, exec_lo
	v_cmp_ge_u64_e32 vcc_lo, v[0:1], v[56:57]
	s_or_not1_b32 s89, vcc_lo, exec_lo
	s_branch .LBB12_6426
.LBB12_6431:                            ;   in Loop: Header=BB12_6395 Depth=2
	s_or_b32 exec_lo, exec_lo, s75
	s_and_saveexec_b32 s75, s76
	s_delay_alu instid0(SALU_CYCLE_1)
	s_xor_b32 s75, exec_lo, s75
	s_cbranch_execz .LBB12_6433
; %bb.6432:                             ;   in Loop: Header=BB12_6395 Depth=2
	v_mov_b32_e32 v0, 1
	ds_store_b32 v0, v0
	s_trap 2
.LBB12_6433:                            ;   in Loop: Header=BB12_6395 Depth=2
	s_or_b32 exec_lo, exec_lo, s74
	;;#ASMSTART
	s_wakeup
	;;#ASMEND
.LBB12_6434:                            ;   in Loop: Header=BB12_6395 Depth=2
	s_or_b32 exec_lo, exec_lo, s41
.LBB12_6435:                            ;   in Loop: Header=BB12_6395 Depth=2
	s_and_not1_saveexec_b32 s40, s40
	s_cbranch_execz .LBB12_6437
; %bb.6436:                             ;   in Loop: Header=BB12_6395 Depth=2
	global_wb scope:SCOPE_DEV
	s_wait_storecnt 0x0
	s_wait_loadcnt_dscnt 0x0
	global_inv scope:SCOPE_DEV
	s_barrier_signal -1
	s_barrier_wait -1
.LBB12_6437:                            ;   in Loop: Header=BB12_6395 Depth=2
	s_or_b32 exec_lo, exec_lo, s40
.LBB12_6438:                            ;   in Loop: Header=BB12_6395 Depth=2
	s_delay_alu instid0(SALU_CYCLE_1) | instskip(SKIP_4) | instid1(VALU_DEP_1)
	s_or_b32 exec_lo, exec_lo, s13
	s_trap 2
	ds_load_b32 v0, v0
	v_and_b32_e32 v1, 0x4000, v126
	s_xor_b32 s13, s1, -1
	v_cmp_ne_u32_e32 vcc_lo, 0, v1
	s_and_b32 s40, s13, vcc_lo
	s_delay_alu instid0(SALU_CYCLE_1)
	s_and_saveexec_b32 s13, s40
	s_cbranch_execz .LBB12_6457
; %bb.6439:                             ;   in Loop: Header=BB12_6395 Depth=2
	s_and_saveexec_b32 s40, s3
	s_delay_alu instid0(SALU_CYCLE_1)
	s_xor_b32 s40, exec_lo, s40
	s_cbranch_execz .LBB12_6454
; %bb.6440:                             ;   in Loop: Header=BB12_6395 Depth=2
	s_and_saveexec_b32 s41, s6
	s_cbranch_execz .LBB12_6453
; %bb.6441:                             ;   in Loop: Header=BB12_6395 Depth=2
	s_mov_b32 s75, exec_lo
	s_mov_b32 s74, exec_lo
	v_mbcnt_lo_u32_b32 v1, s75, 0
	global_wb scope:SCOPE_DEV
	s_wait_storecnt 0x0
	s_wait_loadcnt_dscnt 0x0
	global_inv scope:SCOPE_DEV
	v_cmpx_eq_u32_e32 0, v1
	s_cbranch_execz .LBB12_6443
; %bb.6442:                             ;   in Loop: Header=BB12_6395 Depth=2
	s_bcnt1_i32_b32 s75, s75
	s_delay_alu instid0(SALU_CYCLE_1)
	v_mov_b32_e32 v2, s75
	s_wait_loadcnt 0x0
	ds_add_u64 v0, v[2:3]
	s_trap 2
.LBB12_6443:                            ;   in Loop: Header=BB12_6395 Depth=2
	s_or_b32 exec_lo, exec_lo, s74
	s_trap 2
	ds_load_b64 v[6:7], v0
	s_wait_dscnt 0x0
	v_add_nc_u64_e32 v[56:57], v[56:57], v[60:61]
	s_mov_b32 s74, exec_lo
	s_delay_alu instid0(VALU_DEP_1)
	v_cmpx_lt_u64_e64 v[6:7], v[56:57]
	s_cbranch_execz .LBB12_6452
; %bb.6444:                             ;   in Loop: Header=BB12_6395 Depth=2
	s_mov_b32 s75, 0
	s_mov_b32 s78, 0
                                        ; implicit-def: $sgpr76
                                        ; implicit-def: $sgpr77
	s_branch .LBB12_6446
.LBB12_6445:                            ;   in Loop: Header=BB12_6446 Depth=3
	s_or_b32 exec_lo, exec_lo, s88
	s_delay_alu instid0(SALU_CYCLE_1) | instskip(NEXT) | instid1(SALU_CYCLE_1)
	s_and_b32 s79, exec_lo, s89
	s_or_b32 s75, s79, s75
	s_and_not1_b32 s76, s76, exec_lo
	s_and_b32 s79, s77, exec_lo
	s_delay_alu instid0(SALU_CYCLE_1)
	s_or_b32 s76, s76, s79
	s_and_not1_b32 exec_lo, exec_lo, s75
	s_cbranch_execz .LBB12_6450
.LBB12_6446:                            ;   Parent Loop BB12_47 Depth=1
                                        ;     Parent Loop BB12_6395 Depth=2
                                        ; =>    This Inner Loop Header: Depth=3
	s_add_co_i32 s78, s78, 1
	s_delay_alu instid0(SALU_CYCLE_1) | instskip(SKIP_1) | instid1(SALU_CYCLE_1)
	s_cmp_lg_u32 s78, 0x2710
	s_cselect_b32 s79, -1, 0
	s_and_b32 vcc_lo, exec_lo, s79
	s_cbranch_vccz .LBB12_6448
; %bb.6447:                             ;   in Loop: Header=BB12_6446 Depth=3
	s_mov_b32 s89, -1
	s_or_b32 s77, s77, exec_lo
	s_and_saveexec_b32 s88, s79
	s_cbranch_execz .LBB12_6445
	s_branch .LBB12_6449
.LBB12_6448:                            ;   in Loop: Header=BB12_6446 Depth=3
	s_trap 2
	ds_load_b64 v[6:7], v0
	s_and_not1_b32 s79, s79, exec_lo
	s_mov_b32 s78, 0
	s_wait_loadcnt_dscnt 0x0
	flat_load_b32 v1, v[6:7] scope:SCOPE_SYS
	s_wait_loadcnt_dscnt 0x0
	global_inv scope:SCOPE_SYS
	v_cmp_eq_u32_e32 vcc_lo, 0, v1
	s_and_b32 s88, vcc_lo, exec_lo
	s_delay_alu instid0(SALU_CYCLE_1)
	s_or_b32 s79, s79, s88
	s_mov_b32 s89, -1
	s_or_b32 s77, s77, exec_lo
	s_wait_xcnt 0x0
	s_and_saveexec_b32 s88, s79
	s_cbranch_execz .LBB12_6445
.LBB12_6449:                            ;   in Loop: Header=BB12_6446 Depth=3
	s_sleep 1
	s_trap 2
	ds_load_b64 v[6:7], v0
	s_wait_dscnt 0x0
	s_and_not1_b32 s77, s77, exec_lo
	v_cmp_ge_u64_e32 vcc_lo, v[6:7], v[56:57]
	s_or_not1_b32 s89, vcc_lo, exec_lo
	s_branch .LBB12_6445
.LBB12_6450:                            ;   in Loop: Header=BB12_6395 Depth=2
	s_or_b32 exec_lo, exec_lo, s75
	s_and_saveexec_b32 s75, s76
	s_delay_alu instid0(SALU_CYCLE_1)
	s_xor_b32 s75, exec_lo, s75
	s_cbranch_execz .LBB12_6452
; %bb.6451:                             ;   in Loop: Header=BB12_6395 Depth=2
	v_mov_b32_e32 v1, 1
	ds_store_b32 v0, v1
	s_trap 2
.LBB12_6452:                            ;   in Loop: Header=BB12_6395 Depth=2
	s_or_b32 exec_lo, exec_lo, s74
	;;#ASMSTART
	s_wakeup
	;;#ASMEND
.LBB12_6453:                            ;   in Loop: Header=BB12_6395 Depth=2
	s_or_b32 exec_lo, exec_lo, s41
.LBB12_6454:                            ;   in Loop: Header=BB12_6395 Depth=2
	s_and_not1_saveexec_b32 s40, s40
	s_cbranch_execz .LBB12_6456
; %bb.6455:                             ;   in Loop: Header=BB12_6395 Depth=2
	global_wb scope:SCOPE_DEV
	s_wait_storecnt 0x0
	s_wait_loadcnt_dscnt 0x0
	global_inv scope:SCOPE_DEV
	s_barrier_signal -1
	s_barrier_wait -1
.LBB12_6456:                            ;   in Loop: Header=BB12_6395 Depth=2
	s_or_b32 exec_lo, exec_lo, s40
.LBB12_6457:                            ;   in Loop: Header=BB12_6395 Depth=2
	s_delay_alu instid0(SALU_CYCLE_1) | instskip(SKIP_4) | instid1(VALU_DEP_1)
	s_or_b32 exec_lo, exec_lo, s13
	s_trap 2
	s_wait_dscnt 0x0
	ds_load_b64 v[30:31], v0
	v_sub_nc_u32_e32 v1, v76, v4
	v_min_i32_e32 v77, v77, v1
	s_wait_dscnt 0x0
	v_cmp_eq_u64_e32 vcc_lo, 0, v[30:31]
	s_cbranch_vccnz .LBB12_6465
; %bb.6458:                             ;   in Loop: Header=BB12_6395 Depth=2
	s_trap 2
	ds_load_b64 v[118:119], v0
	s_wait_dscnt 0x0
	v_cmp_eq_u64_e32 vcc_lo, 0, v[118:119]
	s_cbranch_vccnz .LBB12_6465
; %bb.6459:                             ;   in Loop: Header=BB12_6395 Depth=2
	s_mov_b32 s13, -1
	s_and_saveexec_b32 s40, s10
	s_cbranch_execz .LBB12_6461
; %bb.6460:                             ;   in Loop: Header=BB12_6395 Depth=2
	ds_load_b32 v1, v0 offset:720
	s_wait_dscnt 0x0
	v_and_b32_e32 v1, 15, v1
	s_delay_alu instid0(VALU_DEP_1)
	v_cmp_eq_u32_e32 vcc_lo, 0, v1
	s_or_not1_b32 s13, vcc_lo, exec_lo
.LBB12_6461:                            ;   in Loop: Header=BB12_6395 Depth=2
	s_or_b32 exec_lo, exec_lo, s40
	s_and_saveexec_b32 s40, s7
	s_cbranch_execz .LBB12_6463
; %bb.6462:                             ;   in Loop: Header=BB12_6395 Depth=2
	ds_load_b32 v1, v0 offset:784
	s_wait_dscnt 0x0
	v_and_b32_e32 v1, 15, v1
	s_delay_alu instid0(VALU_DEP_1) | instskip(SKIP_3) | instid1(SALU_CYCLE_1)
	v_cmp_eq_u32_e32 vcc_lo, 0, v1
	s_and_b32 s41, s13, vcc_lo
	s_and_not1_b32 s13, s13, exec_lo
	s_and_b32 s41, s41, exec_lo
	s_or_b32 s13, s13, s41
.LBB12_6463:                            ;   in Loop: Header=BB12_6395 Depth=2
	s_or_b32 exec_lo, exec_lo, s40
	s_xor_b32 s13, s13, -1
	s_mov_b32 s41, -1
	v_cndmask_b32_e64 v1, 0, 1, s13
	v_cmp_eq_u32_e64 s13, 0, v0
	s_delay_alu instid0(VALU_DEP_2)
	v_cmp_ne_u32_e32 vcc_lo, 0, v1
	s_cbranch_vccz .LBB12_6470
; %bb.6464:                             ;   in Loop: Header=BB12_6395 Depth=2
	s_mov_b32 s41, 0
	s_mov_b32 s40, -1
	s_branch .LBB12_6471
.LBB12_6465:                            ;   in Loop: Header=BB12_6395 Depth=2
	s_mov_b32 s13, 0
	s_and_saveexec_b32 s40, s2
	s_cbranch_execnz .LBB12_6521
.LBB12_6466:                            ;   in Loop: Header=BB12_6395 Depth=2
	s_or_b32 exec_lo, exec_lo, s40
	s_and_saveexec_b32 s40, s12
	s_delay_alu instid0(SALU_CYCLE_1)
	s_xor_b32 s40, exec_lo, s40
	s_cbranch_execz .LBB12_6539
.LBB12_6467:                            ;   in Loop: Header=BB12_6395 Depth=2
	v_and_b32_e32 v0, 16, v126
	s_delay_alu instid0(VALU_DEP_1) | instskip(SKIP_1) | instid1(SALU_CYCLE_1)
	v_cmp_ne_u32_e32 vcc_lo, 0, v0
	s_and_b32 s41, vcc_lo, s13
	s_and_saveexec_b32 s13, s41
	s_cbranch_execz .LBB12_6469
; %bb.6468:                             ;   in Loop: Header=BB12_6395 Depth=2
	global_wb scope:SCOPE_SYS
	s_wait_storecnt 0x0
	s_wait_loadcnt_dscnt 0x0
	global_inv scope:SCOPE_SYS
.LBB12_6469:                            ;   in Loop: Header=BB12_6395 Depth=2
	s_or_b32 exec_lo, exec_lo, s13
	s_and_not1_saveexec_b32 s13, s40
	s_cbranch_execz .LBB12_6558
	s_branch .LBB12_6540
.LBB12_6470:                            ;   in Loop: Header=BB12_6395 Depth=2
	s_mov_b32 s40, 0
.LBB12_6471:                            ;   in Loop: Header=BB12_6395 Depth=2
	v_dual_cndmask_b32 v1, 0, v77, s13 :: v_dual_mov_b32 v2, 0
	s_and_not1_b32 vcc_lo, exec_lo, s41
	s_delay_alu instid0(VALU_DEP_1)
	v_lshlrev_b32_e32 v0, 1, v1
	s_cbranch_vccnz .LBB12_6479
; %bb.6472:                             ;   in Loop: Header=BB12_6395 Depth=2
	s_wait_loadcnt 0x0
	s_clause 0x1
	scratch_load_b32 v5, off, s33 offset:360
	scratch_load_b64 v[8:9], off, s33 offset:364
	v_ashrrev_i32_e32 v2, 31, v0
	s_mov_b32 s41, 0
	s_mov_b32 s13, exec_lo
                                        ; implicit-def: $vgpr12_vgpr13
                                        ; implicit-def: $vgpr16_vgpr17
                                        ; implicit-def: $vgpr20_vgpr21
                                        ; implicit-def: $vgpr24_vgpr25
                                        ; implicit-def: $vgpr32_vgpr33
                                        ; implicit-def: $vgpr36_vgpr37
                                        ; implicit-def: $vgpr48_vgpr49
	s_delay_alu instid0(VALU_DEP_1) | instskip(NEXT) | instid1(VALU_DEP_1)
	v_lshrrev_b32_e32 v2, 20, v2
	v_add_nc_u32_e32 v2, v0, v2
	s_delay_alu instid0(VALU_DEP_1) | instskip(SKIP_1) | instid1(VALU_DEP_1)
	v_ashrrev_i32_e32 v2, 12, v2
	s_wait_loadcnt 0x1
	v_sub_nc_u32_e32 v6, v2, v5
	s_wait_loadcnt 0x0
	v_add_nc_u64_e32 v[62:63], v[118:119], v[8:9]
                                        ; implicit-def: $vgpr8_vgpr9
	s_wait_xcnt 0x0
	s_delay_alu instid0(VALU_DEP_2)
	v_cmpx_lt_i32_e32 0, v6
	s_cbranch_execz .LBB12_6481
; %bb.6473:                             ;   in Loop: Header=BB12_6395 Depth=2
	scratch_load_b64 v[8:9], off, s33 offset:364 ; 8-byte Folded Reload
	s_mov_b32 s75, 0
                                        ; implicit-def: $sgpr74
                                        ; implicit-def: $vgpr12_vgpr13
                                        ; implicit-def: $vgpr16_vgpr17
                                        ; implicit-def: $vgpr20_vgpr21
                                        ; implicit-def: $vgpr24_vgpr25
                                        ; implicit-def: $vgpr32_vgpr33
                                        ; implicit-def: $vgpr36_vgpr37
                                        ; implicit-def: $vgpr48_vgpr49
	s_wait_loadcnt 0x0
	v_add_nc_u64_e32 v[72:73], v[30:31], v[8:9]
                                        ; implicit-def: $vgpr8_vgpr9
	s_branch .LBB12_6475
.LBB12_6474:                            ;   in Loop: Header=BB12_6475 Depth=3
	s_wait_xcnt 0x0
	s_or_b32 exec_lo, exec_lo, s76
	s_delay_alu instid0(VALU_DEP_1)
	v_sub_nc_u32_e32 v6, v5, v6
	s_clause 0x1
	global_store_b128 v[62:63], v[100:103], off th:TH_STORE_NT
	global_store_b128 v[62:63], v[112:115], off offset:512 th:TH_STORE_NT
	s_wait_loadcnt 0x0
	s_wait_xcnt 0x1
	v_add_nc_u64_e32 v[100:101], v[62:63], v[74:75]
	s_clause 0x5
	global_store_b128 v[62:63], v[68:71], off offset:1024 th:TH_STORE_NT
	global_store_b128 v[62:63], v[80:83], off offset:1536 th:TH_STORE_NT
	;; [unrolled: 1-line block ×6, first 2 shown]
	v_cmp_gt_i32_e32 vcc_lo, 1, v6
	v_add_nc_u64_e32 v[72:73], v[72:73], v[74:75]
	s_wait_xcnt 0x0
	v_add_nc_u64_e32 v[62:63], 0x1000, v[100:101]
	s_or_b32 s41, vcc_lo, s41
	s_and_not1_b32 s74, s74, exec_lo
	s_and_b32 s76, s75, exec_lo
	s_delay_alu instid0(SALU_CYCLE_1)
	s_or_b32 s74, s74, s76
	s_and_not1_b32 exec_lo, exec_lo, s41
	s_cbranch_execz .LBB12_6480
.LBB12_6475:                            ;   Parent Loop BB12_47 Depth=1
                                        ;     Parent Loop BB12_6395 Depth=2
                                        ; =>    This Inner Loop Header: Depth=3
	s_clause 0x7
	global_load_b128 v[100:103], v[72:73], off th:TH_LOAD_NT
	global_load_b128 v[112:115], v[72:73], off offset:512 th:TH_LOAD_NT
	global_load_b128 v[68:71], v[72:73], off offset:1024 th:TH_LOAD_NT
	;; [unrolled: 1-line block ×7, first 2 shown]
	s_wait_xcnt 0x0
	s_and_saveexec_b32 s76, s75
	s_cbranch_execz .LBB12_6477
; %bb.6476:                             ;   in Loop: Header=BB12_6475 Depth=3
	s_clause 0x7
	global_store_b128 v[62:63], v[8:11], off th:TH_STORE_NT
	global_store_b128 v[62:63], v[12:15], off offset:512 th:TH_STORE_NT
	global_store_b128 v[62:63], v[16:19], off offset:1024 th:TH_STORE_NT
	;; [unrolled: 1-line block ×7, first 2 shown]
	scratch_load_b64 v[42:43], off, s33 offset:272 ; 8-byte Folded Reload
	s_wait_loadcnt 0x0
	s_wait_xcnt 0x1
	v_add_nc_u64_e32 v[62:63], v[62:63], v[42:43]
.LBB12_6477:                            ;   in Loop: Header=BB12_6475 Depth=3
	s_wait_xcnt 0x0
	s_or_b32 exec_lo, exec_lo, s76
	v_sub_nc_u32_e32 v5, v6, v60
	scratch_load_b64 v[6:7], off, s33 offset:272 ; 8-byte Folded Reload
	v_mov_b64_e32 v[74:75], 0
	s_wait_loadcnt 0x0
	v_add_nc_u64_e32 v[72:73], v[72:73], v[6:7]
	v_mov_b32_e32 v6, 0
	v_cmp_lt_i32_e64 s75, 0, v5
	s_wait_xcnt 0x0
	s_and_saveexec_b32 s76, s75
	s_cbranch_execz .LBB12_6474
; %bb.6478:                             ;   in Loop: Header=BB12_6475 Depth=3
	s_clause 0x7
	global_load_b128 v[8:11], v[72:73], off th:TH_LOAD_NT
	global_load_b128 v[12:15], v[72:73], off offset:512 th:TH_LOAD_NT
	global_load_b128 v[16:19], v[72:73], off offset:1024 th:TH_LOAD_NT
	;; [unrolled: 1-line block ×7, first 2 shown]
	scratch_load_b64 v[74:75], off, s33 offset:320 ; 8-byte Folded Reload
	s_wait_xcnt 0x1
	v_add_nc_u64_e32 v[72:73], 0x1000, v[72:73]
	v_mov_b32_e32 v6, v60
	s_branch .LBB12_6474
.LBB12_6479:                            ;   in Loop: Header=BB12_6395 Depth=2
	s_wait_loadcnt 0x1
	scratch_load_b32 v8, off, s33 offset:356 ; 4-byte Folded Reload
	s_wait_loadcnt 0x1
	scratch_load_b32 v5, off, s33 offset:328 ; 4-byte Folded Reload
	s_wait_xcnt 0x0
	s_and_saveexec_b32 s13, s40
	s_cbranch_execnz .LBB12_6500
	s_branch .LBB12_6520
.LBB12_6480:                            ;   in Loop: Header=BB12_6395 Depth=2
	s_or_b32 exec_lo, exec_lo, s41
	s_delay_alu instid0(SALU_CYCLE_1)
	s_and_b32 s41, s74, exec_lo
.LBB12_6481:                            ;   in Loop: Header=BB12_6395 Depth=2
	s_or_b32 exec_lo, exec_lo, s13
	s_and_saveexec_b32 s13, s41
	s_cbranch_execz .LBB12_6483
; %bb.6482:                             ;   in Loop: Header=BB12_6395 Depth=2
	s_clause 0x7
	global_store_b128 v[62:63], v[8:11], off th:TH_STORE_NT
	global_store_b128 v[62:63], v[12:15], off offset:512 th:TH_STORE_NT
	global_store_b128 v[62:63], v[16:19], off offset:1024 th:TH_STORE_NT
	;; [unrolled: 1-line block ×7, first 2 shown]
.LBB12_6483:                            ;   in Loop: Header=BB12_6395 Depth=2
	s_wait_xcnt 0x0
	s_or_b32 exec_lo, exec_lo, s13
	v_lshlrev_b32_e32 v7, 12, v2
	s_mov_b32 s41, exec_lo
                                        ; implicit-def: $vgpr2
                                        ; implicit-def: $vgpr8
                                        ; implicit-def: $vgpr5
	s_delay_alu instid0(VALU_DEP_1)
	v_cmpx_ne_u32_e64 v0, v7
	s_cbranch_execz .LBB12_6499
; %bb.6484:                             ;   in Loop: Header=BB12_6395 Depth=2
	scratch_load_b32 v5, off, s33 offset:328 ; 4-byte Folded Reload
	v_lshlrev_b32_e32 v2, 5, v6
	s_mov_b32 s75, 0
	s_mov_b32 s74, exec_lo
	v_sub_nc_u32_e32 v8, v0, v7
	s_wait_loadcnt 0x0
	s_delay_alu instid0(VALU_DEP_1) | instskip(NEXT) | instid1(VALU_DEP_1)
	v_dual_ashrrev_i32 v9, 31, v8 :: v_dual_sub_nc_u32 v2, v5, v2
	v_ashrrev_i32_e32 v5, 31, v2
	s_delay_alu instid0(VALU_DEP_1) | instskip(NEXT) | instid1(VALU_DEP_1)
	v_lshrrev_b32_e32 v5, 27, v5
	v_add_nc_u32_e32 v5, v2, v5
	s_delay_alu instid0(VALU_DEP_1) | instskip(NEXT) | instid1(VALU_DEP_1)
	v_and_b32_e32 v6, 0xffffffe0, v5
	v_dual_sub_nc_u32 v6, v2, v6 :: v_dual_lshrrev_b32 v2, 23, v9
	s_delay_alu instid0(VALU_DEP_1) | instskip(NEXT) | instid1(VALU_DEP_2)
	v_dual_lshlrev_b32 v9, 4, v6 :: v_dual_ashrrev_i32 v5, 5, v5
	v_add_nc_u32_e32 v2, v8, v2
	s_delay_alu instid0(VALU_DEP_2) | instskip(NEXT) | instid1(VALU_DEP_2)
	v_lshl_add_u32 v9, v5, 9, v9
	v_and_b32_e32 v20, 0xfffffe00, v2
	s_delay_alu instid0(VALU_DEP_2) | instskip(NEXT) | instid1(VALU_DEP_1)
	v_dual_ashrrev_i32 v2, 9, v2 :: v_dual_add_nc_u32 v10, v9, v7
	v_dual_sub_nc_u32 v21, v8, v20 :: v_dual_ashrrev_i32 v11, 31, v10
	s_delay_alu instid0(VALU_DEP_1) | instskip(NEXT) | instid1(VALU_DEP_3)
	v_cmp_lt_i32_e32 vcc_lo, 15, v21
	v_add_co_ci_u32_e64 v12, null, 0, v2, vcc_lo
	v_sub_nc_u32_e32 v2, v8, v9
	s_delay_alu instid0(VALU_DEP_4) | instskip(NEXT) | instid1(VALU_DEP_3)
	v_add_nc_u64_e32 v[16:17], v[10:11], v[118:119]
                                        ; implicit-def: $vgpr8_vgpr9
	v_sub_nc_u32_e32 v22, v12, v5
	s_wait_xcnt 0x0
	s_delay_alu instid0(VALU_DEP_3)
	v_cmpx_lt_i32_e32 15, v2
	s_cbranch_execz .LBB12_6494
; %bb.6485:                             ;   in Loop: Header=BB12_6395 Depth=2
	v_add_nc_u64_e32 v[18:19], v[10:11], v[30:31]
	s_mov_b32 s77, 0
                                        ; implicit-def: $sgpr76
                                        ; implicit-def: $vgpr8_vgpr9
	s_branch .LBB12_6487
.LBB12_6486:                            ;   in Loop: Header=BB12_6487 Depth=3
	s_wait_xcnt 0x0
	s_or_b32 exec_lo, exec_lo, s13
	v_cmp_gt_i32_e64 s13, 16, v2
	s_or_b32 s75, s13, s75
	s_and_not1_b32 s13, s76, exec_lo
	s_and_b32 s76, s77, exec_lo
	s_delay_alu instid0(SALU_CYCLE_1)
	s_or_b32 s76, s13, s76
	s_and_not1_b32 exec_lo, exec_lo, s75
	s_cbranch_execz .LBB12_6493
.LBB12_6487:                            ;   Parent Loop BB12_47 Depth=1
                                        ;     Parent Loop BB12_6395 Depth=2
                                        ; =>    This Inner Loop Header: Depth=3
	global_load_b128 v[12:15], v[18:19], off th:TH_LOAD_NT
	s_wait_xcnt 0x0
	s_and_saveexec_b32 s13, s77
	s_cbranch_execz .LBB12_6489
; %bb.6488:                             ;   in Loop: Header=BB12_6487 Depth=3
	scratch_load_b64 v[24:25], off, s33 offset:264 ; 8-byte Folded Reload
	s_wait_loadcnt 0x2
	global_store_b128 v[16:17], v[8:11], off th:TH_STORE_NT
	s_wait_loadcnt 0x0
	v_add_nc_u64_e32 v[24:25], v[16:17], v[24:25]
	s_wait_xcnt 0x0
	s_delay_alu instid0(VALU_DEP_1)
	v_mov_b64_e32 v[16:17], v[24:25]
.LBB12_6489:                            ;   in Loop: Header=BB12_6487 Depth=3
	s_or_b32 exec_lo, exec_lo, s13
	scratch_load_b64 v[24:25], off, s33 offset:264 ; 8-byte Folded Reload
	v_lshlrev_b32_e32 v5, 9, v60
	s_delay_alu instid0(VALU_DEP_1) | instskip(NEXT) | instid1(VALU_DEP_1)
	v_sub_nc_u32_e32 v2, v2, v5
	v_cmp_lt_i32_e64 s77, 15, v2
	s_wait_loadcnt 0x0
	v_add_nc_u64_e32 v[18:19], v[18:19], v[24:25]
	s_wait_xcnt 0x0
	s_and_saveexec_b32 s13, s77
	s_cbranch_execz .LBB12_6491
; %bb.6490:                             ;   in Loop: Header=BB12_6487 Depth=3
	global_load_b128 v[8:11], v[18:19], off th:TH_LOAD_NT
	s_wait_xcnt 0x0
	v_add_nc_u64_e32 v[18:19], 0x200, v[18:19]
.LBB12_6491:                            ;   in Loop: Header=BB12_6487 Depth=3
	s_or_b32 exec_lo, exec_lo, s13
	global_store_b128 v[16:17], v[12:15], off th:TH_STORE_NT
	s_wait_xcnt 0x0
	v_add_nc_u64_e32 v[16:17], 0x200, v[16:17]
	v_sub_nc_u32_e32 v22, v22, v60
	s_and_saveexec_b32 s13, s77
	s_cbranch_execz .LBB12_6486
; %bb.6492:                             ;   in Loop: Header=BB12_6487 Depth=3
	scratch_load_b64 v[12:13], off, s33 offset:256 ; 8-byte Folded Reload
	v_dual_sub_nc_u32 v22, v22, v60 :: v_dual_lshlrev_b32 v5, 9, v60
	s_delay_alu instid0(VALU_DEP_1)
	v_sub_nc_u32_e32 v2, v2, v5
	s_wait_loadcnt 0x0
	v_add_nc_u64_e32 v[18:19], v[18:19], v[12:13]
	v_add_nc_u64_e32 v[16:17], v[16:17], v[12:13]
	s_branch .LBB12_6486
.LBB12_6493:                            ;   in Loop: Header=BB12_6395 Depth=2
	s_or_b32 exec_lo, exec_lo, s75
	s_delay_alu instid0(SALU_CYCLE_1)
	s_and_b32 s75, s76, exec_lo
.LBB12_6494:                            ;   in Loop: Header=BB12_6395 Depth=2
	s_or_b32 exec_lo, exec_lo, s74
	s_and_saveexec_b32 s13, s75
	s_cbranch_execz .LBB12_6496
; %bb.6495:                             ;   in Loop: Header=BB12_6395 Depth=2
	s_wait_loadcnt 0x0
	global_store_b128 v[16:17], v[8:11], off th:TH_STORE_NT
.LBB12_6496:                            ;   in Loop: Header=BB12_6395 Depth=2
	s_wait_xcnt 0x0
	s_or_b32 exec_lo, exec_lo, s13
	s_wait_loadcnt 0x0
	v_and_b32_e32 v9, 14, v0
	s_mov_b32 s75, s40
	s_mov_b32 s74, exec_lo
                                        ; implicit-def: $vgpr2
                                        ; implicit-def: $vgpr8
                                        ; implicit-def: $vgpr5
	s_delay_alu instid0(VALU_DEP_1) | instskip(NEXT) | instid1(VALU_DEP_1)
	v_cndmask_b32_e32 v0, v21, v9, vcc_lo
	v_cmpx_ne_u32_e32 0, v0
	s_cbranch_execz .LBB12_6498
; %bb.6497:                             ;   in Loop: Header=BB12_6395 Depth=2
	v_cmp_lt_i32_e64 s13, 0, v22
	s_or_b32 s75, s40, exec_lo
	v_dual_sub_nc_u32 v5, v21, v9 :: v_dual_cndmask_b32 v2, 0, v60, s13
	s_delay_alu instid0(VALU_DEP_1) | instskip(NEXT) | instid1(VALU_DEP_1)
	v_dual_cndmask_b32 v5, 0, v5 :: v_dual_sub_nc_u32 v2, v2, v22
	v_lshl_add_u32 v8, v2, 5, v6
	s_delay_alu instid0(VALU_DEP_1) | instskip(NEXT) | instid1(VALU_DEP_1)
	v_ashrrev_i32_e32 v2, 31, v8
	v_lshrrev_b32_e32 v2, 27, v2
	s_delay_alu instid0(VALU_DEP_1) | instskip(NEXT) | instid1(VALU_DEP_1)
	v_add_nc_u32_e32 v2, v8, v2
	v_and_b32_e32 v6, 0xffffffe0, v2
	v_add3_u32 v2, v20, v7, v5
	s_delay_alu instid0(VALU_DEP_2)
	v_sub_nc_u32_e32 v5, v8, v6
.LBB12_6498:                            ;   in Loop: Header=BB12_6395 Depth=2
	s_or_b32 exec_lo, exec_lo, s74
	s_delay_alu instid0(SALU_CYCLE_1) | instskip(SKIP_1) | instid1(SALU_CYCLE_1)
	s_and_not1_b32 s13, s40, exec_lo
	s_and_b32 s40, s75, exec_lo
	s_or_b32 s40, s13, s40
.LBB12_6499:                            ;   in Loop: Header=BB12_6395 Depth=2
	s_or_b32 exec_lo, exec_lo, s41
	s_and_saveexec_b32 s13, s40
	s_cbranch_execz .LBB12_6520
.LBB12_6500:                            ;   in Loop: Header=BB12_6395 Depth=2
	s_wait_loadcnt 0x1
	v_ashrrev_i32_e32 v6, 31, v8
	s_mov_b32 s41, 0
	s_mov_b32 s40, exec_lo
                                        ; implicit-def: $vgpr14
                                        ; implicit-def: $vgpr15
                                        ; implicit-def: $vgpr16
                                        ; implicit-def: $vgpr17
                                        ; implicit-def: $vgpr18
                                        ; implicit-def: $vgpr19
                                        ; implicit-def: $vgpr20
                                        ; implicit-def: $vgpr21
                                        ; implicit-def: $vgpr22
                                        ; implicit-def: $vgpr23
                                        ; implicit-def: $vgpr24
                                        ; implicit-def: $vgpr25
                                        ; implicit-def: $vgpr26
                                        ; implicit-def: $vgpr27
                                        ; implicit-def: $vgpr32
	s_wait_loadcnt 0x0
	v_dual_ashrrev_i32 v7, 31, v0 :: v_dual_lshlrev_b32 v9, 1, v5
	v_lshrrev_b32_e32 v6, 27, v6
	s_delay_alu instid0(VALU_DEP_1) | instskip(NEXT) | instid1(VALU_DEP_1)
	v_add_nc_u32_e32 v6, v8, v6
	v_dual_ashrrev_i32 v8, 5, v6 :: v_dual_lshrrev_b32 v6, 22, v7
	s_delay_alu instid0(VALU_DEP_1) | instskip(NEXT) | instid1(VALU_DEP_1)
	v_dual_lshlrev_b32 v7, 10, v8 :: v_dual_add_nc_u32 v6, v0, v6
	v_add3_u32 v10, v2, v9, v7
	s_delay_alu instid0(VALU_DEP_2) | instskip(NEXT) | instid1(VALU_DEP_1)
	v_ashrrev_i32_e32 v6, 10, v6
                                        ; implicit-def: $vgpr7
	v_dual_ashrrev_i32 v11, 31, v10 :: v_dual_sub_nc_u32 v33, v6, v8
	s_delay_alu instid0(VALU_DEP_1) | instskip(NEXT) | instid1(VALU_DEP_2)
	v_add_nc_u64_e32 v[8:9], v[118:119], v[10:11]
	v_cmpx_lt_i32_e32 0, v33
	s_cbranch_execz .LBB12_6508
; %bb.6501:                             ;   in Loop: Header=BB12_6395 Depth=2
	v_add_nc_u64_e32 v[10:11], v[10:11], v[30:31]
	s_mov_b32 s75, 0
                                        ; implicit-def: $sgpr74
                                        ; implicit-def: $vgpr7
                                        ; implicit-def: $vgpr14
                                        ; implicit-def: $vgpr15
                                        ; implicit-def: $vgpr16
                                        ; implicit-def: $vgpr17
                                        ; implicit-def: $vgpr18
                                        ; implicit-def: $vgpr19
                                        ; implicit-def: $vgpr20
                                        ; implicit-def: $vgpr21
                                        ; implicit-def: $vgpr22
                                        ; implicit-def: $vgpr23
                                        ; implicit-def: $vgpr24
                                        ; implicit-def: $vgpr25
                                        ; implicit-def: $vgpr26
                                        ; implicit-def: $vgpr27
                                        ; implicit-def: $vgpr32
	s_branch .LBB12_6503
.LBB12_6502:                            ;   in Loop: Header=BB12_6503 Depth=3
	s_or_b32 exec_lo, exec_lo, s76
	s_delay_alu instid0(VALU_DEP_1)
	v_sub_nc_u32_e32 v33, v33, v66
	s_wait_loadcnt_dscnt 0xf0f
	flat_store_b16 v[8:9], v50 th:TH_STORE_NT
	s_wait_loadcnt_dscnt 0xe0f
	flat_store_b16 v[8:9], v51 offset:64 th:TH_STORE_NT
	s_wait_loadcnt_dscnt 0xd0f
	flat_store_b16 v[8:9], v52 offset:128 th:TH_STORE_NT
	;; [unrolled: 2-line block ×7, first 2 shown]
	s_wait_xcnt 0x6
	v_add_nc_u64_e32 v[50:51], v[8:9], v[12:13]
	s_wait_loadcnt_dscnt 0x70f
	flat_store_b16 v[8:9], v34 offset:512 th:TH_STORE_NT
	s_wait_loadcnt_dscnt 0x60f
	flat_store_b16 v[8:9], v35 offset:576 th:TH_STORE_NT
	;; [unrolled: 2-line block ×8, first 2 shown]
	v_add_nc_u64_e32 v[10:11], v[10:11], v[12:13]
	v_cmp_gt_i32_e32 vcc_lo, 1, v33
	s_wait_xcnt 0x0
	v_add_nc_u64_e32 v[8:9], 0x400, v[50:51]
	s_or_b32 s41, vcc_lo, s41
	s_and_not1_b32 s74, s74, exec_lo
	s_and_b32 s76, s75, exec_lo
	s_delay_alu instid0(SALU_CYCLE_1)
	s_or_b32 s74, s74, s76
	s_and_not1_b32 exec_lo, exec_lo, s41
	s_cbranch_execz .LBB12_6507
.LBB12_6503:                            ;   Parent Loop BB12_47 Depth=1
                                        ;     Parent Loop BB12_6395 Depth=2
                                        ; =>    This Inner Loop Header: Depth=3
	s_clause 0xf
	flat_load_u16 v50, v[10:11] th:TH_LOAD_NT
	flat_load_u16 v51, v[10:11] offset:64 th:TH_LOAD_NT
	flat_load_u16 v52, v[10:11] offset:128 th:TH_LOAD_NT
	;; [unrolled: 1-line block ×15, first 2 shown]
	s_wait_xcnt 0x0
	s_and_saveexec_b32 s76, s75
	s_cbranch_execz .LBB12_6505
; %bb.6504:                             ;   in Loop: Header=BB12_6503 Depth=3
	s_clause 0xf
	flat_store_b16 v[8:9], v7 th:TH_STORE_NT
	flat_store_b16 v[8:9], v14 offset:64 th:TH_STORE_NT
	flat_store_b16 v[8:9], v15 offset:128 th:TH_STORE_NT
	flat_store_b16 v[8:9], v16 offset:192 th:TH_STORE_NT
	flat_store_b16 v[8:9], v17 offset:256 th:TH_STORE_NT
	flat_store_b16 v[8:9], v18 offset:320 th:TH_STORE_NT
	flat_store_b16 v[8:9], v19 offset:384 th:TH_STORE_NT
	flat_store_b16 v[8:9], v20 offset:448 th:TH_STORE_NT
	flat_store_b16 v[8:9], v21 offset:512 th:TH_STORE_NT
	flat_store_b16 v[8:9], v22 offset:576 th:TH_STORE_NT
	flat_store_b16 v[8:9], v23 offset:640 th:TH_STORE_NT
	flat_store_b16 v[8:9], v24 offset:704 th:TH_STORE_NT
	flat_store_b16 v[8:9], v25 offset:768 th:TH_STORE_NT
	flat_store_b16 v[8:9], v26 offset:832 th:TH_STORE_NT
	flat_store_b16 v[8:9], v27 offset:896 th:TH_STORE_NT
	flat_store_b16 v[8:9], v32 offset:960 th:TH_STORE_NT
	s_wait_xcnt 0x0
	v_add_nc_u64_e32 v[8:9], v[8:9], v[108:109]
.LBB12_6505:                            ;   in Loop: Header=BB12_6503 Depth=3
	s_or_b32 exec_lo, exec_lo, s76
	v_dual_mov_b32 v66, 0 :: v_dual_sub_nc_u32 v33, v33, v60
	v_add_nc_u64_e32 v[10:11], v[10:11], v[108:109]
	v_mov_b64_e32 v[12:13], 0
	s_delay_alu instid0(VALU_DEP_3)
	v_cmp_lt_i32_e64 s75, 0, v33
	s_and_saveexec_b32 s76, s75
	s_cbranch_execz .LBB12_6502
; %bb.6506:                             ;   in Loop: Header=BB12_6503 Depth=3
	s_clause 0xf
	flat_load_u16 v7, v[10:11] th:TH_LOAD_NT
	flat_load_u16 v14, v[10:11] offset:64 th:TH_LOAD_NT
	flat_load_u16 v15, v[10:11] offset:128 th:TH_LOAD_NT
	;; [unrolled: 1-line block ×15, first 2 shown]
	s_wait_xcnt 0x0
	v_add_nc_u64_e32 v[10:11], 0x400, v[10:11]
	v_mov_b64_e32 v[12:13], v[88:89]
	v_mov_b32_e32 v66, v60
	s_branch .LBB12_6502
.LBB12_6507:                            ;   in Loop: Header=BB12_6395 Depth=2
	s_or_b32 exec_lo, exec_lo, s41
	s_delay_alu instid0(SALU_CYCLE_1)
	s_and_b32 s41, s74, exec_lo
.LBB12_6508:                            ;   in Loop: Header=BB12_6395 Depth=2
	s_or_b32 exec_lo, exec_lo, s40
	s_and_saveexec_b32 s40, s41
	s_cbranch_execz .LBB12_6510
; %bb.6509:                             ;   in Loop: Header=BB12_6395 Depth=2
	s_clause 0xf
	flat_store_b16 v[8:9], v7 th:TH_STORE_NT
	flat_store_b16 v[8:9], v14 offset:64 th:TH_STORE_NT
	flat_store_b16 v[8:9], v15 offset:128 th:TH_STORE_NT
	;; [unrolled: 1-line block ×15, first 2 shown]
.LBB12_6510:                            ;   in Loop: Header=BB12_6395 Depth=2
	s_wait_xcnt 0x0
	s_or_b32 exec_lo, exec_lo, s40
	v_lshlrev_b32_e32 v6, 10, v6
	s_delay_alu instid0(VALU_DEP_1)
	v_cmp_ne_u32_e32 vcc_lo, v0, v6
	s_and_b32 exec_lo, exec_lo, vcc_lo
	s_cbranch_execz .LBB12_6520
; %bb.6511:                             ;   in Loop: Header=BB12_6395 Depth=2
	v_lshlrev_b32_e32 v7, 5, v33
	s_delay_alu instid0(VALU_DEP_1) | instskip(NEXT) | instid1(VALU_DEP_1)
	v_sub_nc_u32_e32 v5, v5, v7
	v_ashrrev_i32_e32 v7, 31, v5
	s_delay_alu instid0(VALU_DEP_1) | instskip(NEXT) | instid1(VALU_DEP_1)
	v_lshrrev_b32_e32 v7, 27, v7
	v_add_nc_u32_e32 v7, v5, v7
	s_delay_alu instid0(VALU_DEP_1) | instskip(NEXT) | instid1(VALU_DEP_1)
	v_and_b32_e32 v8, 0x7fffffe0, v7
	v_dual_lshlrev_b32 v7, 1, v7 :: v_dual_sub_nc_u32 v5, v5, v8
	s_delay_alu instid0(VALU_DEP_1) | instskip(NEXT) | instid1(VALU_DEP_2)
	v_and_b32_e32 v7, 0xffffffc0, v7
	v_lshlrev_b32_e32 v5, 1, v5
	s_delay_alu instid0(VALU_DEP_1) | instskip(NEXT) | instid1(VALU_DEP_1)
	v_add3_u32 v6, v7, v5, v6
	v_sub_nc_u32_e32 v5, v0, v6
	s_delay_alu instid0(VALU_DEP_1)
	v_cmp_lt_i32_e32 vcc_lo, 1, v5
	s_and_b32 exec_lo, exec_lo, vcc_lo
	s_cbranch_execz .LBB12_6520
; %bb.6512:                             ;   in Loop: Header=BB12_6395 Depth=2
	v_add_nc_u32_e32 v6, v6, v2
	s_mov_b32 s74, 0
	s_mov_b32 s40, 0
                                        ; implicit-def: $sgpr41
                                        ; implicit-def: $vgpr0
	s_delay_alu instid0(VALU_DEP_1) | instskip(NEXT) | instid1(VALU_DEP_1)
	v_ashrrev_i32_e32 v7, 31, v6
	v_add_nc_u64_e32 v[8:9], v[118:119], v[6:7]
	v_add_nc_u64_e32 v[10:11], v[6:7], v[30:31]
	s_branch .LBB12_6514
.LBB12_6513:                            ;   in Loop: Header=BB12_6514 Depth=3
	s_or_b32 exec_lo, exec_lo, s75
	s_delay_alu instid0(VALU_DEP_1) | instskip(NEXT) | instid1(VALU_DEP_3)
	v_sub_nc_u32_e32 v5, v5, v6
	v_add_nc_u64_e32 v[6:7], v[8:9], v[12:13]
	s_wait_loadcnt_dscnt 0x0
	flat_store_b16 v[8:9], v2 th:TH_STORE_NT
	v_add_nc_u64_e32 v[10:11], v[10:11], v[12:13]
	v_cmp_gt_i32_e32 vcc_lo, 2, v5
	s_wait_xcnt 0x0
	v_add_nc_u64_e32 v[8:9], 64, v[6:7]
	s_or_b32 s40, vcc_lo, s40
	s_and_not1_b32 s41, s41, exec_lo
	s_and_b32 s75, s74, exec_lo
	s_delay_alu instid0(SALU_CYCLE_1)
	s_or_b32 s41, s41, s75
	s_and_not1_b32 exec_lo, exec_lo, s40
	s_cbranch_execz .LBB12_6518
.LBB12_6514:                            ;   Parent Loop BB12_47 Depth=1
                                        ;     Parent Loop BB12_6395 Depth=2
                                        ; =>    This Inner Loop Header: Depth=3
	flat_load_u16 v2, v[10:11] th:TH_LOAD_NT
	s_wait_xcnt 0x0
	s_and_saveexec_b32 s75, s74
	s_cbranch_execz .LBB12_6516
; %bb.6515:                             ;   in Loop: Header=BB12_6514 Depth=3
	v_add_nc_u64_e32 v[6:7], 64, v[104:105]
	flat_store_b16 v[8:9], v0 th:TH_STORE_NT
	v_add_nc_u64_e32 v[6:7], v[8:9], v[6:7]
	s_wait_xcnt 0x0
	s_delay_alu instid0(VALU_DEP_1)
	v_mov_b64_e32 v[8:9], v[6:7]
.LBB12_6516:                            ;   in Loop: Header=BB12_6514 Depth=3
	s_or_b32 exec_lo, exec_lo, s75
	v_add_nc_u64_e32 v[6:7], 64, v[104:105]
	v_sub_nc_u32_e32 v5, v5, v111
	v_mov_b64_e32 v[12:13], 0
	s_delay_alu instid0(VALU_DEP_3) | instskip(SKIP_1) | instid1(VALU_DEP_4)
	v_add_nc_u64_e32 v[10:11], v[10:11], v[6:7]
	v_mov_b32_e32 v6, 0
	v_cmp_lt_i32_e64 s74, 1, v5
	s_and_saveexec_b32 s75, s74
	s_cbranch_execz .LBB12_6513
; %bb.6517:                             ;   in Loop: Header=BB12_6514 Depth=3
	flat_load_u16 v0, v[10:11] th:TH_LOAD_NT
	s_wait_xcnt 0x0
	v_add_nc_u64_e32 v[10:11], 64, v[10:11]
	v_mov_b64_e32 v[12:13], v[104:105]
	v_mov_b32_e32 v6, v111
	s_branch .LBB12_6513
.LBB12_6518:                            ;   in Loop: Header=BB12_6395 Depth=2
	s_or_b32 exec_lo, exec_lo, s40
	s_delay_alu instid0(SALU_CYCLE_1)
	s_and_b32 exec_lo, exec_lo, s41
	s_cbranch_execz .LBB12_6520
; %bb.6519:                             ;   in Loop: Header=BB12_6395 Depth=2
	flat_store_b16 v[8:9], v0 th:TH_STORE_NT
.LBB12_6520:                            ;   in Loop: Header=BB12_6395 Depth=2
	s_wait_xcnt 0x0
	s_or_b32 exec_lo, exec_lo, s13
	v_cmp_lt_i32_e64 s13, 0, v1
	s_and_saveexec_b32 s40, s2
	s_cbranch_execz .LBB12_6466
.LBB12_6521:                            ;   in Loop: Header=BB12_6395 Depth=2
	s_and_saveexec_b32 s41, s3
	s_delay_alu instid0(SALU_CYCLE_1)
	s_xor_b32 s41, exec_lo, s41
	s_cbranch_execz .LBB12_6536
; %bb.6522:                             ;   in Loop: Header=BB12_6395 Depth=2
	s_and_saveexec_b32 s74, s6
	s_cbranch_execz .LBB12_6535
; %bb.6523:                             ;   in Loop: Header=BB12_6395 Depth=2
	s_mov_b32 s76, exec_lo
	s_mov_b32 s75, exec_lo
	v_mbcnt_lo_u32_b32 v0, s76, 0
	global_wb scope:SCOPE_DEV
	s_wait_storecnt 0x0
	s_wait_loadcnt_dscnt 0x0
	global_inv scope:SCOPE_DEV
	v_cmpx_eq_u32_e32 0, v0
	s_cbranch_execz .LBB12_6525
; %bb.6524:                             ;   in Loop: Header=BB12_6395 Depth=2
	s_bcnt1_i32_b32 s76, s76
	s_delay_alu instid0(SALU_CYCLE_1)
	v_mov_b32_e32 v2, s76
	s_wait_loadcnt 0x0
	ds_add_u64 v0, v[2:3]
	s_trap 2
.LBB12_6525:                            ;   in Loop: Header=BB12_6395 Depth=2
	s_or_b32 exec_lo, exec_lo, s75
	s_trap 2
	ds_load_b64 v[0:1], v0
	s_wait_dscnt 0x0
	v_add_nc_u64_e32 v[56:57], v[56:57], v[60:61]
	s_mov_b32 s75, exec_lo
	s_delay_alu instid0(VALU_DEP_1)
	v_cmpx_lt_u64_e64 v[0:1], v[56:57]
	s_cbranch_execz .LBB12_6534
; %bb.6526:                             ;   in Loop: Header=BB12_6395 Depth=2
	s_mov_b32 s76, 0
	s_mov_b32 s79, 0
                                        ; implicit-def: $sgpr77
                                        ; implicit-def: $sgpr78
	s_branch .LBB12_6528
.LBB12_6527:                            ;   in Loop: Header=BB12_6528 Depth=3
	s_or_b32 exec_lo, exec_lo, s89
	s_delay_alu instid0(SALU_CYCLE_1) | instskip(NEXT) | instid1(SALU_CYCLE_1)
	s_and_b32 s88, exec_lo, s90
	s_or_b32 s76, s88, s76
	s_and_not1_b32 s77, s77, exec_lo
	s_and_b32 s88, s78, exec_lo
	s_delay_alu instid0(SALU_CYCLE_1)
	s_or_b32 s77, s77, s88
	s_and_not1_b32 exec_lo, exec_lo, s76
	s_cbranch_execz .LBB12_6532
.LBB12_6528:                            ;   Parent Loop BB12_47 Depth=1
                                        ;     Parent Loop BB12_6395 Depth=2
                                        ; =>    This Inner Loop Header: Depth=3
	s_add_co_i32 s79, s79, 1
	s_delay_alu instid0(SALU_CYCLE_1) | instskip(SKIP_1) | instid1(SALU_CYCLE_1)
	s_cmp_lg_u32 s79, 0x2710
	s_cselect_b32 s88, -1, 0
	s_and_b32 vcc_lo, exec_lo, s88
	s_cbranch_vccz .LBB12_6530
; %bb.6529:                             ;   in Loop: Header=BB12_6528 Depth=3
	s_mov_b32 s90, -1
	s_or_b32 s78, s78, exec_lo
	s_and_saveexec_b32 s89, s88
	s_cbranch_execz .LBB12_6527
	s_branch .LBB12_6531
.LBB12_6530:                            ;   in Loop: Header=BB12_6528 Depth=3
	s_trap 2
	ds_load_b64 v[0:1], v0
	s_and_not1_b32 s88, s88, exec_lo
	s_mov_b32 s79, 0
	s_wait_loadcnt_dscnt 0x0
	flat_load_b32 v0, v[0:1] scope:SCOPE_SYS
	s_wait_loadcnt_dscnt 0x0
	global_inv scope:SCOPE_SYS
	v_cmp_eq_u32_e32 vcc_lo, 0, v0
	s_and_b32 s89, vcc_lo, exec_lo
	s_delay_alu instid0(SALU_CYCLE_1)
	s_or_b32 s88, s88, s89
	s_mov_b32 s90, -1
	s_or_b32 s78, s78, exec_lo
	s_and_saveexec_b32 s89, s88
	s_cbranch_execz .LBB12_6527
.LBB12_6531:                            ;   in Loop: Header=BB12_6528 Depth=3
	s_sleep 1
	s_trap 2
	ds_load_b64 v[0:1], v0
	s_wait_dscnt 0x0
	s_and_not1_b32 s78, s78, exec_lo
	v_cmp_ge_u64_e32 vcc_lo, v[0:1], v[56:57]
	s_or_not1_b32 s90, vcc_lo, exec_lo
	s_branch .LBB12_6527
.LBB12_6532:                            ;   in Loop: Header=BB12_6395 Depth=2
	s_or_b32 exec_lo, exec_lo, s76
	s_and_saveexec_b32 s76, s77
	s_delay_alu instid0(SALU_CYCLE_1)
	s_xor_b32 s76, exec_lo, s76
	s_cbranch_execz .LBB12_6534
; %bb.6533:                             ;   in Loop: Header=BB12_6395 Depth=2
	v_mov_b32_e32 v0, 1
	ds_store_b32 v0, v0
	s_trap 2
.LBB12_6534:                            ;   in Loop: Header=BB12_6395 Depth=2
	s_or_b32 exec_lo, exec_lo, s75
	;;#ASMSTART
	s_wakeup
	;;#ASMEND
.LBB12_6535:                            ;   in Loop: Header=BB12_6395 Depth=2
	s_or_b32 exec_lo, exec_lo, s74
.LBB12_6536:                            ;   in Loop: Header=BB12_6395 Depth=2
	s_and_not1_saveexec_b32 s41, s41
	s_cbranch_execz .LBB12_6538
; %bb.6537:                             ;   in Loop: Header=BB12_6395 Depth=2
	global_wb scope:SCOPE_DEV
	s_wait_storecnt 0x0
	s_wait_loadcnt_dscnt 0x0
	global_inv scope:SCOPE_DEV
	s_barrier_signal -1
	s_barrier_wait -1
.LBB12_6538:                            ;   in Loop: Header=BB12_6395 Depth=2
	s_or_b32 exec_lo, exec_lo, s41
	s_delay_alu instid0(SALU_CYCLE_1) | instskip(SKIP_1) | instid1(SALU_CYCLE_1)
	s_or_b32 exec_lo, exec_lo, s40
	s_and_saveexec_b32 s40, s12
	s_xor_b32 s40, exec_lo, s40
	s_cbranch_execnz .LBB12_6467
.LBB12_6539:                            ;   in Loop: Header=BB12_6395 Depth=2
	s_and_not1_saveexec_b32 s13, s40
	s_cbranch_execz .LBB12_6558
.LBB12_6540:                            ;   in Loop: Header=BB12_6395 Depth=2
	s_and_saveexec_b32 s40, s3
	s_delay_alu instid0(SALU_CYCLE_1)
	s_xor_b32 s40, exec_lo, s40
	s_cbranch_execz .LBB12_6555
; %bb.6541:                             ;   in Loop: Header=BB12_6395 Depth=2
	s_and_saveexec_b32 s41, s6
	s_cbranch_execz .LBB12_6554
; %bb.6542:                             ;   in Loop: Header=BB12_6395 Depth=2
	s_mov_b32 s75, exec_lo
	s_mov_b32 s74, exec_lo
	v_mbcnt_lo_u32_b32 v0, s75, 0
	;;#ASMSTART
	s_waitcnt lgkmcnt(0) vmcnt(0)
	;;#ASMEND
	s_delay_alu instid0(VALU_DEP_1)
	v_cmpx_eq_u32_e32 0, v0
	s_cbranch_execz .LBB12_6544
; %bb.6543:                             ;   in Loop: Header=BB12_6395 Depth=2
	s_bcnt1_i32_b32 s75, s75
	s_delay_alu instid0(SALU_CYCLE_1)
	v_mov_b32_e32 v2, s75
	s_wait_storecnt 0x0
	s_wait_loadcnt_dscnt 0x0
	ds_add_u64 v0, v[2:3]
	s_trap 2
.LBB12_6544:                            ;   in Loop: Header=BB12_6395 Depth=2
	s_or_b32 exec_lo, exec_lo, s74
	s_trap 2
	ds_load_b64 v[0:1], v0
	s_wait_dscnt 0x0
	v_add_nc_u64_e32 v[56:57], v[56:57], v[60:61]
	s_mov_b32 s74, exec_lo
	s_delay_alu instid0(VALU_DEP_1)
	v_cmpx_lt_u64_e64 v[0:1], v[56:57]
	s_cbranch_execz .LBB12_6553
; %bb.6545:                             ;   in Loop: Header=BB12_6395 Depth=2
	s_mov_b32 s75, 0
	s_mov_b32 s78, 0
                                        ; implicit-def: $sgpr76
                                        ; implicit-def: $sgpr77
	s_branch .LBB12_6547
.LBB12_6546:                            ;   in Loop: Header=BB12_6547 Depth=3
	s_or_b32 exec_lo, exec_lo, s88
	s_delay_alu instid0(SALU_CYCLE_1) | instskip(NEXT) | instid1(SALU_CYCLE_1)
	s_and_b32 s79, exec_lo, s89
	s_or_b32 s75, s79, s75
	s_and_not1_b32 s76, s76, exec_lo
	s_and_b32 s79, s77, exec_lo
	s_delay_alu instid0(SALU_CYCLE_1)
	s_or_b32 s76, s76, s79
	s_and_not1_b32 exec_lo, exec_lo, s75
	s_cbranch_execz .LBB12_6551
.LBB12_6547:                            ;   Parent Loop BB12_47 Depth=1
                                        ;     Parent Loop BB12_6395 Depth=2
                                        ; =>    This Inner Loop Header: Depth=3
	s_add_co_i32 s78, s78, 1
	s_delay_alu instid0(SALU_CYCLE_1) | instskip(SKIP_1) | instid1(SALU_CYCLE_1)
	s_cmp_lg_u32 s78, 0x2710
	s_cselect_b32 s79, -1, 0
	s_and_b32 vcc_lo, exec_lo, s79
	s_cbranch_vccz .LBB12_6549
; %bb.6548:                             ;   in Loop: Header=BB12_6547 Depth=3
	s_mov_b32 s89, -1
	s_or_b32 s77, s77, exec_lo
	s_and_saveexec_b32 s88, s79
	s_cbranch_execz .LBB12_6546
	s_branch .LBB12_6550
.LBB12_6549:                            ;   in Loop: Header=BB12_6547 Depth=3
	s_trap 2
	ds_load_b64 v[0:1], v0
	s_and_not1_b32 s79, s79, exec_lo
	s_mov_b32 s78, 0
	s_wait_storecnt 0x0
	s_wait_loadcnt_dscnt 0x0
	flat_load_b32 v0, v[0:1] scope:SCOPE_SYS
	s_wait_loadcnt_dscnt 0x0
	global_inv scope:SCOPE_SYS
	v_cmp_eq_u32_e32 vcc_lo, 0, v0
	s_and_b32 s88, vcc_lo, exec_lo
	s_delay_alu instid0(SALU_CYCLE_1)
	s_or_b32 s79, s79, s88
	s_mov_b32 s89, -1
	s_or_b32 s77, s77, exec_lo
	s_and_saveexec_b32 s88, s79
	s_cbranch_execz .LBB12_6546
.LBB12_6550:                            ;   in Loop: Header=BB12_6547 Depth=3
	s_sleep 1
	s_trap 2
	ds_load_b64 v[0:1], v0
	s_wait_dscnt 0x0
	s_and_not1_b32 s77, s77, exec_lo
	v_cmp_ge_u64_e32 vcc_lo, v[0:1], v[56:57]
	s_or_not1_b32 s89, vcc_lo, exec_lo
	s_branch .LBB12_6546
.LBB12_6551:                            ;   in Loop: Header=BB12_6395 Depth=2
	s_or_b32 exec_lo, exec_lo, s75
	s_and_saveexec_b32 s75, s76
	s_delay_alu instid0(SALU_CYCLE_1)
	s_xor_b32 s75, exec_lo, s75
	s_cbranch_execz .LBB12_6553
; %bb.6552:                             ;   in Loop: Header=BB12_6395 Depth=2
	v_mov_b32_e32 v0, 1
	ds_store_b32 v0, v0
	s_trap 2
.LBB12_6553:                            ;   in Loop: Header=BB12_6395 Depth=2
	s_or_b32 exec_lo, exec_lo, s74
	;;#ASMSTART
	s_wakeup
	;;#ASMEND
.LBB12_6554:                            ;   in Loop: Header=BB12_6395 Depth=2
	s_or_b32 exec_lo, exec_lo, s41
.LBB12_6555:                            ;   in Loop: Header=BB12_6395 Depth=2
	s_and_not1_saveexec_b32 s40, s40
	s_cbranch_execz .LBB12_6557
; %bb.6556:                             ;   in Loop: Header=BB12_6395 Depth=2
	;;#ASMSTART
	s_waitcnt lgkmcnt(0) vmcnt(0)
	;;#ASMEND
	s_barrier_signal -1
	s_barrier_wait -1
.LBB12_6557:                            ;   in Loop: Header=BB12_6395 Depth=2
	s_or_b32 exec_lo, exec_lo, s40
.LBB12_6558:                            ;   in Loop: Header=BB12_6395 Depth=2
	s_delay_alu instid0(SALU_CYCLE_1) | instskip(SKIP_2) | instid1(VALU_DEP_1)
	s_or_b32 exec_lo, exec_lo, s13
	v_and_b32_e32 v0, 32, v126
	s_mov_b32 s13, exec_lo
	v_cmpx_ne_u32_e32 0, v0
	s_cbranch_execz .LBB12_6394
; %bb.6559:                             ;   in Loop: Header=BB12_6395 Depth=2
	v_add_nc_u64_e32 v[116:117], 2, v[116:117]
	global_wb scope:SCOPE_SYS
	s_wait_storecnt 0x0
	s_wait_loadcnt_dscnt 0x0
	flat_store_b64 v[40:41], v[116:117] scope:SCOPE_SYS
	s_branch .LBB12_6394
.LBB12_6560:                            ;   in Loop: Header=BB12_47 Depth=1
	s_or_b32 exec_lo, exec_lo, s15
.LBB12_6561:                            ;   in Loop: Header=BB12_47 Depth=1
	s_delay_alu instid0(SALU_CYCLE_1) | instskip(NEXT) | instid1(SALU_CYCLE_1)
	s_or_b32 exec_lo, exec_lo, s14
	s_mov_b32 s14, exec_lo
	v_cmpx_gt_i32_e32 2, v0
	s_cbranch_execnz .LBB12_6562
; %bb.6674:                             ;   in Loop: Header=BB12_47 Depth=1
	s_add_pc_i64 .LBB12_46-.Lpost_addpc8
.Lpost_addpc8:
.LBB12_6562:                            ;   in Loop: Header=BB12_47 Depth=1
	v_cmp_eq_u32_e64 s18, 0, v0
	s_mov_b32 s15, 0
	s_branch .LBB12_6564
.LBB12_6563:                            ;   in Loop: Header=BB12_6564 Depth=2
	s_wait_xcnt 0x0
	s_or_b32 exec_lo, exec_lo, s13
	v_add_nc_u32_e32 v4, v77, v4
	s_mov_b32 s18, 0
	s_and_not1_b32 exec_lo, exec_lo, s15
	s_cbranch_execnz .LBB12_6564
; %bb.6676:                             ;   in Loop: Header=BB12_47 Depth=1
	s_add_pc_i64 .LBB12_45-.Lpost_addpc9
.Lpost_addpc9:
.LBB12_6564:                            ;   Parent Loop BB12_47 Depth=1
                                        ; =>  This Loop Header: Depth=2
                                        ;       Child Loop BB12_6570 Depth 3
                                        ;       Child Loop BB12_6594 Depth 3
	;; [unrolled: 1-line block ×3, first 2 shown]
	v_and_b32_e32 v0, 4, v126
	s_mov_b32 s27, exec_lo
	s_delay_alu instid0(VALU_DEP_1)
	v_cmpx_ne_u32_e32 0, v0
	s_cbranch_execz .LBB12_6586
; %bb.6565:                             ;   in Loop: Header=BB12_6564 Depth=2
	s_wait_loadcnt 0x1
	v_add_nc_u64_e32 v[8:9], 2, v[116:117]
	s_mov_b32 s40, exec_lo
	s_wait_dscnt 0x1
	s_delay_alu instid0(VALU_DEP_1)
	v_cmpx_lt_u64_e64 v[58:59], v[8:9]
	s_cbranch_execz .LBB12_6577
; %bb.6566:                             ;   in Loop: Header=BB12_6564 Depth=2
	v_and_b32_e32 v0, 64, v126
	s_mov_b32 s41, 0
	s_mov_b32 s77, 0
                                        ; implicit-def: $sgpr74
                                        ; implicit-def: $sgpr75
                                        ; implicit-def: $sgpr76
	s_delay_alu instid0(VALU_DEP_1)
	v_cmp_eq_u32_e32 vcc_lo, 0, v0
	s_branch .LBB12_6570
.LBB12_6567:                            ;   in Loop: Header=BB12_6570 Depth=3
	s_wait_loadcnt_dscnt 0x0
	v_cmp_ge_u64_e64 s13, v[58:59], v[8:9]
	s_or_b32 s88, s88, exec_lo
	s_or_not1_b32 s79, s13, exec_lo
.LBB12_6568:                            ;   in Loop: Header=BB12_6570 Depth=3
	s_or_b32 exec_lo, exec_lo, s90
	s_delay_alu instid0(SALU_CYCLE_1)
	s_and_not1_b32 s13, s76, exec_lo
	s_and_b32 s76, s88, exec_lo
	s_and_not1_b32 s75, s75, exec_lo
	s_and_b32 s79, s79, exec_lo
	s_or_b32 s76, s13, s76
	s_or_b32 s75, s75, s79
.LBB12_6569:                            ;   in Loop: Header=BB12_6570 Depth=3
	s_or_b32 exec_lo, exec_lo, s78
	s_delay_alu instid0(SALU_CYCLE_1) | instskip(NEXT) | instid1(SALU_CYCLE_1)
	s_and_b32 s13, exec_lo, s75
	s_or_b32 s41, s13, s41
	s_and_not1_b32 s13, s74, exec_lo
	s_and_b32 s74, s76, exec_lo
	s_delay_alu instid0(SALU_CYCLE_1)
	s_or_b32 s74, s13, s74
	s_and_not1_b32 exec_lo, exec_lo, s41
	s_cbranch_execz .LBB12_6574
.LBB12_6570:                            ;   Parent Loop BB12_47 Depth=1
                                        ;     Parent Loop BB12_6564 Depth=2
                                        ; =>    This Inner Loop Header: Depth=3
	s_sleep 1
	s_wait_loadcnt_dscnt 0x0
	flat_load_b64 v[58:59], v[40:41] scope:SCOPE_SYS
	s_or_b32 s76, s76, exec_lo
	s_or_b32 s75, s75, exec_lo
                                        ; implicit-def: $vgpr0
	s_wait_xcnt 0x0
	s_and_saveexec_b32 s78, vcc_lo
	s_cbranch_execz .LBB12_6569
; %bb.6571:                             ;   in Loop: Header=BB12_6570 Depth=3
	s_cmp_lt_i32 s77, 0x270f
	s_mov_b32 s79, -1
	s_cselect_b32 s89, -1, 0
	s_cmp_gt_i32 s77, 0x270e
	s_cbranch_scc0 .LBB12_6573
; %bb.6572:                             ;   in Loop: Header=BB12_6570 Depth=3
	s_trap 2
	ds_load_b64 v[0:1], v0
	s_and_not1_b32 s77, s89, exec_lo
	s_mov_b32 s88, 0
	s_wait_storecnt 0x0
	s_wait_loadcnt_dscnt 0x0
	flat_load_b32 v0, v[0:1] scope:SCOPE_SYS
	s_wait_loadcnt_dscnt 0x0
	global_inv scope:SCOPE_SYS
	v_cmp_eq_u32_e64 s13, 0, v0
	s_and_b32 s13, s13, exec_lo
	s_delay_alu instid0(SALU_CYCLE_1)
	s_or_b32 s89, s77, s13
	s_mov_b32 s77, 0
	s_and_saveexec_b32 s90, s89
	s_cbranch_execz .LBB12_6568
	s_branch .LBB12_6567
.LBB12_6573:                            ;   in Loop: Header=BB12_6570 Depth=3
	s_add_co_i32 s77, s77, 1
	s_mov_b32 s88, -1
                                        ; implicit-def: $vgpr0
	s_and_saveexec_b32 s90, s89
	s_cbranch_execz .LBB12_6568
	s_branch .LBB12_6567
.LBB12_6574:                            ;   in Loop: Header=BB12_6564 Depth=2
	s_or_b32 exec_lo, exec_lo, s41
	s_xor_b32 s13, s74, -1
	s_delay_alu instid0(SALU_CYCLE_1) | instskip(NEXT) | instid1(SALU_CYCLE_1)
	s_and_saveexec_b32 s41, s13
	s_xor_b32 s13, exec_lo, s41
	s_cbranch_execz .LBB12_6576
; %bb.6575:                             ;   in Loop: Header=BB12_6564 Depth=2
	v_or_b32_e32 v126, 64, v126
	s_wait_storecnt 0x0
	s_wait_loadcnt_dscnt 0x0
	ds_store_b32 v0, v0
	s_trap 2
.LBB12_6576:                            ;   in Loop: Header=BB12_6564 Depth=2
	s_or_b32 exec_lo, exec_lo, s13
.LBB12_6577:                            ;   in Loop: Header=BB12_6564 Depth=2
	s_delay_alu instid0(SALU_CYCLE_1)
	s_or_b32 exec_lo, exec_lo, s40
	v_and_b32_e32 v0, 0x100, v126
	v_and_b32_e32 v2, 7, v116
	s_mov_b32 s13, -1
	s_mov_b32 s40, exec_lo
	;;#ASMSTART
	s_wakeup
	;;#ASMEND
                                        ; implicit-def: $vgpr10_vgpr11
	v_cmpx_ne_u32_e32 0, v0
	s_cbranch_execz .LBB12_6581
; %bb.6578:                             ;   in Loop: Header=BB12_6564 Depth=2
	scratch_load_b128 v[10:13], off, s33 offset:288 ; 16-byte Folded Reload
	s_mov_b32 s41, exec_lo
	s_wait_loadcnt 0x0
	v_mad_nc_u64_u32 v[12:13], v2, 24, v[10:11]
                                        ; implicit-def: $vgpr10_vgpr11
	flat_load_b32 v0, v[12:13]
	s_wait_loadcnt_dscnt 0x0
	v_cmp_ne_u32_e32 vcc_lo, 1, v0
	s_wait_xcnt 0x0
	v_cmpx_eq_u32_e32 1, v0
	s_cbranch_execz .LBB12_6580
; %bb.6579:                             ;   in Loop: Header=BB12_6564 Depth=2
	flat_load_b32 v0, v[12:13] offset:4 scope:SCOPE_SYS
	s_wait_loadcnt_dscnt 0x0
	v_ashrrev_i32_e32 v1, 31, v0
	s_delay_alu instid0(VALU_DEP_1)
	v_lshrrev_b64 v[10:11], 1, v[0:1]
.LBB12_6580:                            ;   in Loop: Header=BB12_6564 Depth=2
	s_wait_xcnt 0x0
	s_or_b32 exec_lo, exec_lo, s41
	s_delay_alu instid0(SALU_CYCLE_1)
	s_or_not1_b32 s13, vcc_lo, exec_lo
.LBB12_6581:                            ;   in Loop: Header=BB12_6564 Depth=2
	s_or_b32 exec_lo, exec_lo, s40
	s_and_saveexec_b32 s40, s13
	s_cbranch_execz .LBB12_6583
; %bb.6582:                             ;   in Loop: Header=BB12_6564 Depth=2
	scratch_load_b64 v[0:1], off, s33 offset:312 ; 8-byte Folded Reload
	s_wait_loadcnt 0x0
	v_mul_u64_e32 v[10:11], v[2:3], v[0:1]
.LBB12_6583:                            ;   in Loop: Header=BB12_6564 Depth=2
	s_wait_xcnt 0x0
	s_or_b32 exec_lo, exec_lo, s40
	scratch_load_b64 v[0:1], off, s33 offset:280 ; 8-byte Folded Reload
	v_and_b32_e32 v2, 0x2000, v126
	s_mov_b32 s13, exec_lo
	s_wait_loadcnt 0x0
	v_lshl_add_u64 v[0:1], v[10:11], 1, v[0:1]
	ds_store_b64 v0, v[0:1] offset:720
	s_wait_xcnt 0x0
	v_cmpx_ne_u32_e32 0, v2
	s_cbranch_execz .LBB12_6585
; %bb.6584:                             ;   in Loop: Header=BB12_6564 Depth=2
	ds_load_b64 v[0:1], v0 offset:872
	s_wait_dscnt 0x0
	v_add_nc_u64_e32 v[0:1], 1, v[0:1]
	ds_store_b64 v0, v[0:1] offset:872
.LBB12_6585:                            ;   in Loop: Header=BB12_6564 Depth=2
	s_or_b32 exec_lo, exec_lo, s13
	v_mov_b64_e32 v[116:117], v[8:9]
.LBB12_6586:                            ;   in Loop: Header=BB12_6564 Depth=2
	s_or_b32 exec_lo, exec_lo, s27
	s_xor_b32 s13, s18, -1
	s_delay_alu instid0(SALU_CYCLE_1) | instskip(NEXT) | instid1(SALU_CYCLE_1)
	s_and_b32 s13, exec_lo, s13
	s_or_b32 s15, s13, s15
	s_and_saveexec_b32 s13, s2
	s_cbranch_execz .LBB12_6605
; %bb.6587:                             ;   in Loop: Header=BB12_6564 Depth=2
	s_and_saveexec_b32 s18, s3
	s_delay_alu instid0(SALU_CYCLE_1)
	s_xor_b32 s18, exec_lo, s18
	s_cbranch_execz .LBB12_6602
; %bb.6588:                             ;   in Loop: Header=BB12_6564 Depth=2
	s_and_saveexec_b32 s27, s6
	s_cbranch_execz .LBB12_6601
; %bb.6589:                             ;   in Loop: Header=BB12_6564 Depth=2
	s_mov_b32 s41, exec_lo
	s_mov_b32 s40, exec_lo
	v_mbcnt_lo_u32_b32 v0, s41, 0
	global_wb scope:SCOPE_DEV
	s_wait_storecnt 0x0
	s_wait_loadcnt_dscnt 0x0
	global_inv scope:SCOPE_DEV
	v_cmpx_eq_u32_e32 0, v0
	s_cbranch_execz .LBB12_6591
; %bb.6590:                             ;   in Loop: Header=BB12_6564 Depth=2
	s_bcnt1_i32_b32 s41, s41
	s_delay_alu instid0(SALU_CYCLE_1)
	v_mov_b32_e32 v2, s41
	s_wait_loadcnt 0x0
	ds_add_u64 v0, v[2:3]
	s_trap 2
.LBB12_6591:                            ;   in Loop: Header=BB12_6564 Depth=2
	s_or_b32 exec_lo, exec_lo, s40
	s_trap 2
	ds_load_b64 v[0:1], v0
	s_wait_dscnt 0x0
	v_add_nc_u64_e32 v[56:57], v[56:57], v[60:61]
	s_mov_b32 s40, exec_lo
	s_delay_alu instid0(VALU_DEP_1)
	v_cmpx_lt_u64_e64 v[0:1], v[56:57]
	s_cbranch_execz .LBB12_6600
; %bb.6592:                             ;   in Loop: Header=BB12_6564 Depth=2
	s_mov_b32 s41, 0
	s_mov_b32 s76, 0
                                        ; implicit-def: $sgpr74
                                        ; implicit-def: $sgpr75
	s_branch .LBB12_6594
.LBB12_6593:                            ;   in Loop: Header=BB12_6594 Depth=3
	s_or_b32 exec_lo, exec_lo, s78
	s_delay_alu instid0(SALU_CYCLE_1) | instskip(NEXT) | instid1(SALU_CYCLE_1)
	s_and_b32 s77, exec_lo, s79
	s_or_b32 s41, s77, s41
	s_and_not1_b32 s74, s74, exec_lo
	s_and_b32 s77, s75, exec_lo
	s_delay_alu instid0(SALU_CYCLE_1)
	s_or_b32 s74, s74, s77
	s_and_not1_b32 exec_lo, exec_lo, s41
	s_cbranch_execz .LBB12_6598
.LBB12_6594:                            ;   Parent Loop BB12_47 Depth=1
                                        ;     Parent Loop BB12_6564 Depth=2
                                        ; =>    This Inner Loop Header: Depth=3
	s_add_co_i32 s76, s76, 1
	s_delay_alu instid0(SALU_CYCLE_1) | instskip(SKIP_1) | instid1(SALU_CYCLE_1)
	s_cmp_lg_u32 s76, 0x2710
	s_cselect_b32 s77, -1, 0
	s_and_b32 vcc_lo, exec_lo, s77
	s_cbranch_vccz .LBB12_6596
; %bb.6595:                             ;   in Loop: Header=BB12_6594 Depth=3
	s_mov_b32 s79, -1
	s_or_b32 s75, s75, exec_lo
	s_and_saveexec_b32 s78, s77
	s_cbranch_execz .LBB12_6593
	s_branch .LBB12_6597
.LBB12_6596:                            ;   in Loop: Header=BB12_6594 Depth=3
	s_trap 2
	ds_load_b64 v[0:1], v0
	s_and_not1_b32 s77, s77, exec_lo
	s_mov_b32 s76, 0
	s_wait_loadcnt_dscnt 0x0
	flat_load_b32 v0, v[0:1] scope:SCOPE_SYS
	s_wait_loadcnt_dscnt 0x0
	global_inv scope:SCOPE_SYS
	v_cmp_eq_u32_e32 vcc_lo, 0, v0
	s_and_b32 s78, vcc_lo, exec_lo
	s_delay_alu instid0(SALU_CYCLE_1)
	s_or_b32 s77, s77, s78
	s_mov_b32 s79, -1
	s_or_b32 s75, s75, exec_lo
	s_and_saveexec_b32 s78, s77
	s_cbranch_execz .LBB12_6593
.LBB12_6597:                            ;   in Loop: Header=BB12_6594 Depth=3
	s_sleep 1
	s_trap 2
	ds_load_b64 v[0:1], v0
	s_wait_dscnt 0x0
	s_and_not1_b32 s75, s75, exec_lo
	v_cmp_ge_u64_e32 vcc_lo, v[0:1], v[56:57]
	s_or_not1_b32 s79, vcc_lo, exec_lo
	s_branch .LBB12_6593
.LBB12_6598:                            ;   in Loop: Header=BB12_6564 Depth=2
	s_or_b32 exec_lo, exec_lo, s41
	s_and_saveexec_b32 s41, s74
	s_delay_alu instid0(SALU_CYCLE_1)
	s_xor_b32 s41, exec_lo, s41
	s_cbranch_execz .LBB12_6600
; %bb.6599:                             ;   in Loop: Header=BB12_6564 Depth=2
	v_mov_b32_e32 v0, 1
	ds_store_b32 v0, v0
	s_trap 2
.LBB12_6600:                            ;   in Loop: Header=BB12_6564 Depth=2
	s_or_b32 exec_lo, exec_lo, s40
	;;#ASMSTART
	s_wakeup
	;;#ASMEND
.LBB12_6601:                            ;   in Loop: Header=BB12_6564 Depth=2
	s_or_b32 exec_lo, exec_lo, s27
.LBB12_6602:                            ;   in Loop: Header=BB12_6564 Depth=2
	s_and_not1_saveexec_b32 s18, s18
	s_cbranch_execz .LBB12_6604
; %bb.6603:                             ;   in Loop: Header=BB12_6564 Depth=2
	global_wb scope:SCOPE_DEV
	s_wait_storecnt 0x0
	s_wait_loadcnt_dscnt 0x0
	global_inv scope:SCOPE_DEV
	s_barrier_signal -1
	s_barrier_wait -1
.LBB12_6604:                            ;   in Loop: Header=BB12_6564 Depth=2
	s_or_b32 exec_lo, exec_lo, s18
.LBB12_6605:                            ;   in Loop: Header=BB12_6564 Depth=2
	s_delay_alu instid0(SALU_CYCLE_1) | instskip(SKIP_1) | instid1(VALU_DEP_1)
	s_or_b32 exec_lo, exec_lo, s13
	v_sub_nc_u32_e32 v0, v76, v4
	v_min_i32_e32 v77, v77, v0
	s_and_saveexec_b32 s13, s12
	s_delay_alu instid0(SALU_CYCLE_1)
	s_xor_b32 s18, exec_lo, s13
	s_cbranch_execz .LBB12_6609
; %bb.6606:                             ;   in Loop: Header=BB12_6564 Depth=2
	s_trap 2
	ds_load_b32 v0, v0
	v_cmp_lt_i32_e32 vcc_lo, 0, v77
	s_wait_dscnt 0x0
	v_readfirstlane_b32 s13, v0
	v_and_b32_e32 v0, 16, v126
	s_cmp_eq_u32 s13, 0
	s_delay_alu instid0(VALU_DEP_1) | instskip(SKIP_1) | instid1(SALU_CYCLE_1)
	v_cmp_ne_u32_e64 s13, 0, v0
	s_cselect_b32 s27, -1, 0
	s_and_b32 s27, vcc_lo, s27
	s_delay_alu instid0(SALU_CYCLE_1) | instskip(NEXT) | instid1(SALU_CYCLE_1)
	s_and_b32 s27, s13, s27
	s_and_saveexec_b32 s13, s27
	s_cbranch_execz .LBB12_6608
; %bb.6607:                             ;   in Loop: Header=BB12_6564 Depth=2
	global_wb scope:SCOPE_SYS
	s_wait_loadcnt 0x0
	s_wait_storecnt 0x0
	global_inv scope:SCOPE_SYS
.LBB12_6608:                            ;   in Loop: Header=BB12_6564 Depth=2
	s_or_b32 exec_lo, exec_lo, s13
.LBB12_6609:                            ;   in Loop: Header=BB12_6564 Depth=2
	s_and_not1_saveexec_b32 s13, s18
	s_cbranch_execz .LBB12_6628
; %bb.6610:                             ;   in Loop: Header=BB12_6564 Depth=2
	s_and_saveexec_b32 s18, s3
	s_delay_alu instid0(SALU_CYCLE_1)
	s_xor_b32 s18, exec_lo, s18
	s_cbranch_execz .LBB12_6625
; %bb.6611:                             ;   in Loop: Header=BB12_6564 Depth=2
	s_and_saveexec_b32 s27, s6
	s_cbranch_execz .LBB12_6624
; %bb.6612:                             ;   in Loop: Header=BB12_6564 Depth=2
	s_mov_b32 s41, exec_lo
	s_mov_b32 s40, exec_lo
	v_mbcnt_lo_u32_b32 v0, s41, 0
	;;#ASMSTART
	s_waitcnt lgkmcnt(0) vmcnt(0)
	;;#ASMEND
	s_delay_alu instid0(VALU_DEP_1)
	v_cmpx_eq_u32_e32 0, v0
	s_cbranch_execz .LBB12_6614
; %bb.6613:                             ;   in Loop: Header=BB12_6564 Depth=2
	s_bcnt1_i32_b32 s41, s41
	s_delay_alu instid0(SALU_CYCLE_1)
	v_mov_b32_e32 v2, s41
	s_wait_storecnt 0x0
	s_wait_loadcnt_dscnt 0x0
	ds_add_u64 v0, v[2:3]
	s_trap 2
.LBB12_6614:                            ;   in Loop: Header=BB12_6564 Depth=2
	s_or_b32 exec_lo, exec_lo, s40
	s_trap 2
	ds_load_b64 v[0:1], v0
	s_wait_dscnt 0x0
	v_add_nc_u64_e32 v[56:57], v[56:57], v[60:61]
	s_mov_b32 s40, exec_lo
	s_delay_alu instid0(VALU_DEP_1)
	v_cmpx_lt_u64_e64 v[0:1], v[56:57]
	s_cbranch_execz .LBB12_6623
; %bb.6615:                             ;   in Loop: Header=BB12_6564 Depth=2
	s_mov_b32 s41, 0
	s_mov_b32 s76, 0
                                        ; implicit-def: $sgpr74
                                        ; implicit-def: $sgpr75
	s_branch .LBB12_6617
.LBB12_6616:                            ;   in Loop: Header=BB12_6617 Depth=3
	s_or_b32 exec_lo, exec_lo, s78
	s_delay_alu instid0(SALU_CYCLE_1) | instskip(NEXT) | instid1(SALU_CYCLE_1)
	s_and_b32 s77, exec_lo, s79
	s_or_b32 s41, s77, s41
	s_and_not1_b32 s74, s74, exec_lo
	s_and_b32 s77, s75, exec_lo
	s_delay_alu instid0(SALU_CYCLE_1)
	s_or_b32 s74, s74, s77
	s_and_not1_b32 exec_lo, exec_lo, s41
	s_cbranch_execz .LBB12_6621
.LBB12_6617:                            ;   Parent Loop BB12_47 Depth=1
                                        ;     Parent Loop BB12_6564 Depth=2
                                        ; =>    This Inner Loop Header: Depth=3
	s_add_co_i32 s76, s76, 1
	s_delay_alu instid0(SALU_CYCLE_1) | instskip(SKIP_1) | instid1(SALU_CYCLE_1)
	s_cmp_lg_u32 s76, 0x2710
	s_cselect_b32 s77, -1, 0
	s_and_b32 vcc_lo, exec_lo, s77
	s_cbranch_vccz .LBB12_6619
; %bb.6618:                             ;   in Loop: Header=BB12_6617 Depth=3
	s_mov_b32 s79, -1
	s_or_b32 s75, s75, exec_lo
	s_and_saveexec_b32 s78, s77
	s_cbranch_execz .LBB12_6616
	s_branch .LBB12_6620
.LBB12_6619:                            ;   in Loop: Header=BB12_6617 Depth=3
	s_trap 2
	ds_load_b64 v[0:1], v0
	s_and_not1_b32 s77, s77, exec_lo
	s_mov_b32 s76, 0
	s_wait_storecnt 0x0
	s_wait_loadcnt_dscnt 0x0
	flat_load_b32 v0, v[0:1] scope:SCOPE_SYS
	s_wait_loadcnt_dscnt 0x0
	global_inv scope:SCOPE_SYS
	v_cmp_eq_u32_e32 vcc_lo, 0, v0
	s_and_b32 s78, vcc_lo, exec_lo
	s_delay_alu instid0(SALU_CYCLE_1)
	s_or_b32 s77, s77, s78
	s_mov_b32 s79, -1
	s_or_b32 s75, s75, exec_lo
	s_and_saveexec_b32 s78, s77
	s_cbranch_execz .LBB12_6616
.LBB12_6620:                            ;   in Loop: Header=BB12_6617 Depth=3
	s_sleep 1
	s_trap 2
	ds_load_b64 v[0:1], v0
	s_wait_dscnt 0x0
	s_and_not1_b32 s75, s75, exec_lo
	v_cmp_ge_u64_e32 vcc_lo, v[0:1], v[56:57]
	s_or_not1_b32 s79, vcc_lo, exec_lo
	s_branch .LBB12_6616
.LBB12_6621:                            ;   in Loop: Header=BB12_6564 Depth=2
	s_or_b32 exec_lo, exec_lo, s41
	s_and_saveexec_b32 s41, s74
	s_delay_alu instid0(SALU_CYCLE_1)
	s_xor_b32 s41, exec_lo, s41
	s_cbranch_execz .LBB12_6623
; %bb.6622:                             ;   in Loop: Header=BB12_6564 Depth=2
	v_mov_b32_e32 v0, 1
	ds_store_b32 v0, v0
	s_trap 2
.LBB12_6623:                            ;   in Loop: Header=BB12_6564 Depth=2
	s_or_b32 exec_lo, exec_lo, s40
	;;#ASMSTART
	s_wakeup
	;;#ASMEND
.LBB12_6624:                            ;   in Loop: Header=BB12_6564 Depth=2
	s_or_b32 exec_lo, exec_lo, s27
.LBB12_6625:                            ;   in Loop: Header=BB12_6564 Depth=2
	s_and_not1_saveexec_b32 s18, s18
	s_cbranch_execz .LBB12_6627
; %bb.6626:                             ;   in Loop: Header=BB12_6564 Depth=2
	;;#ASMSTART
	s_waitcnt lgkmcnt(0) vmcnt(0)
	;;#ASMEND
	s_barrier_signal -1
	s_barrier_wait -1
.LBB12_6627:                            ;   in Loop: Header=BB12_6564 Depth=2
	s_or_b32 exec_lo, exec_lo, s18
.LBB12_6628:                            ;   in Loop: Header=BB12_6564 Depth=2
	s_delay_alu instid0(SALU_CYCLE_1) | instskip(SKIP_2) | instid1(VALU_DEP_1)
	s_or_b32 exec_lo, exec_lo, s13
	v_and_b32_e32 v0, 32, v126
	s_mov_b32 s13, exec_lo
	v_cmpx_ne_u32_e32 0, v0
	s_cbranch_execz .LBB12_6563
; %bb.6629:                             ;   in Loop: Header=BB12_6564 Depth=2
	v_add_nc_u64_e32 v[116:117], 2, v[116:117]
	global_wb scope:SCOPE_SYS
	s_wait_storecnt 0x0
	s_wait_loadcnt_dscnt 0x0
	flat_store_b64 v[40:41], v[116:117] scope:SCOPE_SYS
	s_branch .LBB12_6563
.LBB12_6630:
	s_or_b32 exec_lo, exec_lo, s73
	s_clause 0x3
	scratch_load_b32 v31, off, s33 offset:476
	scratch_load_b32 v18, off, s33 offset:480
	scratch_load_b64 v[16:17], off, s33 offset:484
	scratch_load_b32 v8, off, s33 offset:492
.LBB12_6631:
	s_wait_xcnt 0x0
	s_or_b32 exec_lo, exec_lo, s43
	v_and_b32_e32 v0, 0x800, v126
	s_mov_b32 s1, exec_lo
	s_delay_alu instid0(VALU_DEP_1)
	v_cmpx_eq_u32_e32 0, v0
	s_cbranch_execz .LBB12_6664
; %bb.6632:
	v_and_b32_e32 v0, 48, v126
	s_mov_b32 s0, exec_lo
	s_delay_alu instid0(VALU_DEP_1)
	v_cmpx_ne_u32_e32 0, v0
	s_cbranch_execz .LBB12_6634
; %bb.6633:
	s_wait_loadcnt 0x1
	flat_store_b64 v[16:17], v[116:117] offset:104
.LBB12_6634:
	s_wait_xcnt 0x0
	s_or_b32 exec_lo, exec_lo, s0
	v_and_b32_e32 v0, 0x88, v126
	s_mov_b32 s2, exec_lo
	s_delay_alu instid0(VALU_DEP_1)
	v_cmpx_eq_u32_e32 0x88, v0
	s_cbranch_execz .LBB12_6644
; %bb.6635:
	scratch_load_b128 v[2:5], off, s33 offset:288 th:TH_LOAD_LU ; 16-byte Folded Reload
	s_wait_loadcnt 0x0
	v_dual_add_nc_u32 v0, 6, v116 :: v_dual_bitop2_b32 v4, 64, v126 bitop3:0x40
	s_mov_b32 s3, 0
	s_delay_alu instid0(VALU_DEP_1) | instskip(NEXT) | instid1(VALU_DEP_2)
	v_and_b32_e32 v0, 7, v0
	v_cmp_eq_u32_e64 s0, 0, v4
	s_delay_alu instid0(VALU_DEP_2)
	v_mad_nc_u64_u32 v[2:3], v0, 24, v[2:3]
	flat_load_b64 v[0:1], v[2:3] offset:8 scope:SCOPE_SYS
	s_wait_loadcnt_dscnt 0x0
	v_cmp_ne_u64_e32 vcc_lo, -1, v[0:1]
	s_and_b32 s0, vcc_lo, s0
	s_wait_xcnt 0x0
	s_and_b32 exec_lo, exec_lo, s0
	s_cbranch_execz .LBB12_6644
; %bb.6636:
	s_mov_b32 s5, 0
                                        ; implicit-def: $sgpr0
                                        ; implicit-def: $sgpr4
	s_branch .LBB12_6639
.LBB12_6637:                            ;   in Loop: Header=BB12_6639 Depth=1
	flat_load_b64 v[4:5], v[2:3] offset:8 scope:SCOPE_SYS
	s_wait_loadcnt 0x0
	s_and_not1_b32 s4, s4, exec_lo
	s_wait_dscnt 0x0
	v_cmp_eq_u64_e32 vcc_lo, -1, v[4:5]
	s_or_not1_b32 s7, vcc_lo, exec_lo
.LBB12_6638:                            ;   in Loop: Header=BB12_6639 Depth=1
	s_wait_xcnt 0x0
	s_or_b32 exec_lo, exec_lo, s10
	s_delay_alu instid0(SALU_CYCLE_1) | instskip(NEXT) | instid1(SALU_CYCLE_1)
	s_and_b32 s6, exec_lo, s7
	s_or_b32 s3, s6, s3
	s_and_not1_b32 s0, s0, exec_lo
	s_and_b32 s6, s4, exec_lo
	s_delay_alu instid0(SALU_CYCLE_1)
	s_or_b32 s0, s0, s6
	s_and_not1_b32 exec_lo, exec_lo, s3
	s_cbranch_execz .LBB12_6642
.LBB12_6639:                            ; =>This Inner Loop Header: Depth=1
	s_cmp_lt_i32 s5, 0x270f
	s_cselect_b32 s6, -1, 0
	s_delay_alu instid0(SALU_CYCLE_1)
	s_and_b32 vcc_lo, exec_lo, s6
	s_cbranch_vccnz .LBB12_6641
; %bb.6640:                             ;   in Loop: Header=BB12_6639 Depth=1
	s_trap 2
	ds_load_b64 v[0:1], v0
	s_and_not1_b32 s6, s6, exec_lo
	s_mov_b32 s5, 0
	s_wait_storecnt_dscnt 0x0
	flat_load_b32 v0, v[0:1] scope:SCOPE_SYS
	s_wait_loadcnt_dscnt 0x0
	global_inv scope:SCOPE_SYS
	v_cmp_eq_u32_e32 vcc_lo, 0, v0
	s_and_b32 s7, vcc_lo, exec_lo
	s_delay_alu instid0(SALU_CYCLE_1)
	s_or_b32 s6, s6, s7
	s_mov_b32 s7, -1
	s_or_b32 s4, s4, exec_lo
	s_wait_xcnt 0x0
	s_and_saveexec_b32 s10, s6
	s_cbranch_execz .LBB12_6638
	s_branch .LBB12_6637
.LBB12_6641:                            ;   in Loop: Header=BB12_6639 Depth=1
	s_add_co_i32 s5, s5, 1
                                        ; implicit-def: $vgpr0
	s_mov_b32 s7, -1
	s_or_b32 s4, s4, exec_lo
	s_and_saveexec_b32 s10, s6
	s_cbranch_execz .LBB12_6638
	s_branch .LBB12_6637
.LBB12_6642:
	s_or_b32 exec_lo, exec_lo, s3
	s_and_saveexec_b32 s3, s0
	s_delay_alu instid0(SALU_CYCLE_1)
	s_xor_b32 s3, exec_lo, s3
	s_cbranch_execz .LBB12_6644
; %bb.6643:
	s_wait_loadcnt 0x0
	s_wait_storecnt 0x0
	ds_store_b32 v0, v0
	s_trap 2
.LBB12_6644:
	s_or_b32 exec_lo, exec_lo, s2
	v_and_b32_e32 v0, 0x2000, v126
	s_mov_b32 s0, exec_lo
	s_delay_alu instid0(VALU_DEP_1)
	v_cmpx_ne_u32_e32 0, v0
	s_cbranch_execz .LBB12_6646
; %bb.6645:
	s_trap 2
	scratch_load_b64 v[2:3], off, s33 offset:496 th:TH_LOAD_LU ; 8-byte Folded Reload
	ds_load_b64 v[0:1], v0
	s_wait_loadcnt_dscnt 0x0
	flat_store_b64 v[2:3], v[0:1] offset:16
.LBB12_6646:
	s_wait_xcnt 0x0
	s_or_b32 exec_lo, exec_lo, s0
	s_wait_loadcnt 0x2
	v_cmp_ne_u32_e32 vcc_lo, 32, v18
	s_and_b32 exec_lo, exec_lo, vcc_lo
	s_cbranch_execz .LBB12_6664
; %bb.6647:
	s_mov_b32 s0, exec_lo
	s_wait_loadcnt 0x0
	v_cmpx_ne_u32_e64 v18, v8
	s_xor_b32 s0, exec_lo, s0
	s_cbranch_execz .LBB12_6662
; %bb.6648:
	v_and_b32_e32 v0, 31, v31
	s_mov_b32 s2, exec_lo
	s_delay_alu instid0(VALU_DEP_1)
	v_cmpx_eq_u32_e32 0, v0
	s_cbranch_execz .LBB12_6661
; %bb.6649:
	s_mov_b32 s4, exec_lo
	s_mov_b32 s3, exec_lo
	v_mbcnt_lo_u32_b32 v0, s4, 0
	global_wb scope:SCOPE_DEV
	s_wait_storecnt_dscnt 0x0
	global_inv scope:SCOPE_DEV
	v_cmpx_eq_u32_e32 0, v0
	s_cbranch_execz .LBB12_6651
; %bb.6650:
	s_bcnt1_i32_b32 s4, s4
	s_delay_alu instid0(SALU_CYCLE_1)
	v_dual_mov_b32 v1, 0 :: v_dual_mov_b32 v0, s4
	s_wait_loadcnt 0x0
	ds_add_u64 v0, v[0:1]
	s_trap 2
.LBB12_6651:
	s_or_b32 exec_lo, exec_lo, s3
	s_trap 2
	ds_load_b64 v[2:3], v0
	s_wait_dscnt 0x0
	v_dual_mov_b32 v1, 0 :: v_dual_lshrrev_b32 v0, 5, v18
	s_mov_b32 s3, exec_lo
	s_delay_alu instid0(VALU_DEP_1) | instskip(NEXT) | instid1(VALU_DEP_1)
	v_add_nc_u64_e32 v[0:1], v[56:57], v[0:1]
	v_cmpx_lt_u64_e64 v[2:3], v[0:1]
	s_cbranch_execz .LBB12_6660
; %bb.6652:
	s_mov_b32 s4, 0
	s_mov_b32 s7, 0
                                        ; implicit-def: $sgpr5
                                        ; implicit-def: $sgpr6
	s_branch .LBB12_6654
.LBB12_6653:                            ;   in Loop: Header=BB12_6654 Depth=1
	s_or_b32 exec_lo, exec_lo, s11
	s_delay_alu instid0(SALU_CYCLE_1) | instskip(NEXT) | instid1(SALU_CYCLE_1)
	s_and_b32 s10, exec_lo, s12
	s_or_b32 s4, s10, s4
	s_and_not1_b32 s5, s5, exec_lo
	s_and_b32 s10, s6, exec_lo
	s_delay_alu instid0(SALU_CYCLE_1)
	s_or_b32 s5, s5, s10
	s_and_not1_b32 exec_lo, exec_lo, s4
	s_cbranch_execz .LBB12_6658
.LBB12_6654:                            ; =>This Inner Loop Header: Depth=1
	s_add_co_i32 s7, s7, 1
	s_delay_alu instid0(SALU_CYCLE_1) | instskip(SKIP_1) | instid1(SALU_CYCLE_1)
	s_cmp_lg_u32 s7, 0x2710
	s_cselect_b32 s10, -1, 0
	s_and_b32 vcc_lo, exec_lo, s10
	s_cbranch_vccz .LBB12_6656
; %bb.6655:                             ;   in Loop: Header=BB12_6654 Depth=1
	s_mov_b32 s12, -1
	s_or_b32 s6, s6, exec_lo
	s_and_saveexec_b32 s11, s10
	s_cbranch_execz .LBB12_6653
	s_branch .LBB12_6657
.LBB12_6656:                            ;   in Loop: Header=BB12_6654 Depth=1
	s_trap 2
	ds_load_b64 v[2:3], v0
	s_and_not1_b32 s10, s10, exec_lo
	s_mov_b32 s7, 0
	s_wait_loadcnt_dscnt 0x0
	flat_load_b32 v2, v[2:3] scope:SCOPE_SYS
	s_wait_loadcnt_dscnt 0x0
	global_inv scope:SCOPE_SYS
	v_cmp_eq_u32_e32 vcc_lo, 0, v2
	s_and_b32 s11, vcc_lo, exec_lo
	s_delay_alu instid0(SALU_CYCLE_1)
	s_or_b32 s10, s10, s11
	s_mov_b32 s12, -1
	s_or_b32 s6, s6, exec_lo
	s_and_saveexec_b32 s11, s10
	s_cbranch_execz .LBB12_6653
.LBB12_6657:                            ;   in Loop: Header=BB12_6654 Depth=1
	s_sleep 1
	s_trap 2
	ds_load_b64 v[2:3], v0
	s_wait_dscnt 0x0
	s_and_not1_b32 s6, s6, exec_lo
	v_cmp_ge_u64_e32 vcc_lo, v[2:3], v[0:1]
	s_or_not1_b32 s12, vcc_lo, exec_lo
	s_branch .LBB12_6653
.LBB12_6658:
	s_or_b32 exec_lo, exec_lo, s4
	s_and_saveexec_b32 s4, s5
	s_delay_alu instid0(SALU_CYCLE_1)
	s_xor_b32 s4, exec_lo, s4
	s_cbranch_execz .LBB12_6660
; %bb.6659:
	v_mov_b32_e32 v0, 1
	ds_store_b32 v0, v0
	s_trap 2
.LBB12_6660:
	s_or_b32 exec_lo, exec_lo, s3
	;;#ASMSTART
	s_wakeup
	;;#ASMEND
.LBB12_6661:
	s_or_b32 exec_lo, exec_lo, s2
.LBB12_6662:
	s_and_not1_saveexec_b32 s0, s0
	s_cbranch_execz .LBB12_6664
; %bb.6663:
	global_wb scope:SCOPE_DEV
	s_wait_storecnt 0x0
	s_wait_loadcnt_dscnt 0x0
	global_inv scope:SCOPE_DEV
	s_barrier_signal -1
	s_barrier_wait -1
.LBB12_6664:
	s_or_b32 exec_lo, exec_lo, s1
.LBB12_6665:
	s_and_not1_saveexec_b32 s21, s42
	s_cbranch_execz .LBB12_6667
; %bb.6666:
	s_get_pc_i64 s[0:1]
	s_add_nc_u64 s[0:1], s[0:1], __PRETTY_FUNCTION__._ZN10PrimitivesI12hip_bfloat1613FuncPreMulSumIS0_E12FanSymmetricILi1EELi0E11ProtoSimpleILi2ELi2ELi0ELi4ELi0ELi0EELi0ELb0ELi0ELi1ELi0EEC2EiiPKiS9_PKvPvmhhhP15ncclDevWorkCollP14ncclDevWorkP2pii@rel64+4
	s_get_pc_i64 s[2:3]
	s_add_nc_u64 s[2:3], s[2:3], __assert_fail@rel64+4
	v_dual_mov_b32 v0, s0 :: v_dual_mov_b32 v1, s1
	s_swap_pc_i64 s[30:31], s[2:3]
	; divergent unreachable
.LBB12_6667:
	s_or_b32 exec_lo, exec_lo, s21
	s_clause 0x22
	scratch_load_b32 v126, off, s33
	scratch_load_b32 v125, off, s33 offset:4
	scratch_load_b32 v124, off, s33 offset:8
	;; [unrolled: 1-line block ×34, first 2 shown]
	s_wait_dscnt 0x1
	s_clause 0xb
	scratch_load_b32 v59, off, s33 offset:140
	scratch_load_b32 v58, off, s33 offset:144
	;; [unrolled: 1-line block ×12, first 2 shown]
	v_readlane_b32 s30, v127, 0
	v_readlane_b32 s31, v127, 1
	s_mov_b32 s32, s33
	s_wait_xcnt 0x0
	s_or_saveexec_b32 s0, -1
	scratch_load_b32 v127, off, s33 offset:504 ; 4-byte Folded Reload
	s_wait_xcnt 0x0
	s_mov_b32 exec_lo, s0
	s_mov_b32 s33, s94
	s_wait_loadcnt_dscnt 0x0
	s_set_pc_i64 s[30:31]
.Lfunc_end12:
	.size	_ZN12_GLOBAL__N_17runRingI12hip_bfloat1613FuncPreMulSumIS1_E11ProtoSimpleILi2ELi2ELi0ELi4ELi0ELi0EELi0ELi0ELi4ELi1EEEviiP15ncclDevWorkColl, .Lfunc_end12-_ZN12_GLOBAL__N_17runRingI12hip_bfloat1613FuncPreMulSumIS1_E11ProtoSimpleILi2ELi2ELi0ELi4ELi0ELi0EELi0ELi0ELi4ELi1EEEviiP15ncclDevWorkColl
                                        ; -- End function
	.set .L_ZN12_GLOBAL__N_17runRingI12hip_bfloat1613FuncPreMulSumIS1_E11ProtoSimpleILi2ELi2ELi0ELi4ELi0ELi0EELi0ELi0ELi4ELi1EEEviiP15ncclDevWorkColl.num_vgpr, max(128, .L__assert_fail.num_vgpr)
	.set .L_ZN12_GLOBAL__N_17runRingI12hip_bfloat1613FuncPreMulSumIS1_E11ProtoSimpleILi2ELi2ELi0ELi4ELi0ELi0EELi0ELi0ELi4ELi1EEEviiP15ncclDevWorkColl.num_agpr, max(0, .L__assert_fail.num_agpr)
	.set .L_ZN12_GLOBAL__N_17runRingI12hip_bfloat1613FuncPreMulSumIS1_E11ProtoSimpleILi2ELi2ELi0ELi4ELi0ELi0EELi0ELi0ELi4ELi1EEEviiP15ncclDevWorkColl.numbered_sgpr, max(95, .L__assert_fail.numbered_sgpr)
	.set .L_ZN12_GLOBAL__N_17runRingI12hip_bfloat1613FuncPreMulSumIS1_E11ProtoSimpleILi2ELi2ELi0ELi4ELi0ELi0EELi0ELi0ELi4ELi1EEEviiP15ncclDevWorkColl.num_named_barrier, max(0, .L__assert_fail.num_named_barrier)
	.set .L_ZN12_GLOBAL__N_17runRingI12hip_bfloat1613FuncPreMulSumIS1_E11ProtoSimpleILi2ELi2ELi0ELi4ELi0ELi0EELi0ELi0ELi4ELi1EEEviiP15ncclDevWorkColl.private_seg_size, 512+max(.L__assert_fail.private_seg_size)
	.set .L_ZN12_GLOBAL__N_17runRingI12hip_bfloat1613FuncPreMulSumIS1_E11ProtoSimpleILi2ELi2ELi0ELi4ELi0ELi0EELi0ELi0ELi4ELi1EEEviiP15ncclDevWorkColl.uses_vcc, or(1, .L__assert_fail.uses_vcc)
	.set .L_ZN12_GLOBAL__N_17runRingI12hip_bfloat1613FuncPreMulSumIS1_E11ProtoSimpleILi2ELi2ELi0ELi4ELi0ELi0EELi0ELi0ELi4ELi1EEEviiP15ncclDevWorkColl.uses_flat_scratch, or(1, .L__assert_fail.uses_flat_scratch)
	.set .L_ZN12_GLOBAL__N_17runRingI12hip_bfloat1613FuncPreMulSumIS1_E11ProtoSimpleILi2ELi2ELi0ELi4ELi0ELi0EELi0ELi0ELi4ELi1EEEviiP15ncclDevWorkColl.has_dyn_sized_stack, or(0, .L__assert_fail.has_dyn_sized_stack)
	.set .L_ZN12_GLOBAL__N_17runRingI12hip_bfloat1613FuncPreMulSumIS1_E11ProtoSimpleILi2ELi2ELi0ELi4ELi0ELi0EELi0ELi0ELi4ELi1EEEviiP15ncclDevWorkColl.has_recursion, or(1, .L__assert_fail.has_recursion)
	.set .L_ZN12_GLOBAL__N_17runRingI12hip_bfloat1613FuncPreMulSumIS1_E11ProtoSimpleILi2ELi2ELi0ELi4ELi0ELi0EELi0ELi0ELi4ELi1EEEviiP15ncclDevWorkColl.has_indirect_call, or(0, .L__assert_fail.has_indirect_call)
	.section	.AMDGPU.csdata,"",@progbits
; Function info:
; codeLenInByte = 209312
; TotalNumSgprs: 97
; NumVgprs: 128
; ScratchSize: 576
; MemoryBound: 1
	.text
	.p2align	2                               ; -- Begin function _Z54ncclDevFunc_AllReduce_RING_SIMPLE_PreMulSum_bf16_0_1_4v
	.type	_Z54ncclDevFunc_AllReduce_RING_SIMPLE_PreMulSum_bf16_0_1_4v,@function
_Z54ncclDevFunc_AllReduce_RING_SIMPLE_PreMulSum_bf16_0_1_4v: ; @_Z54ncclDevFunc_AllReduce_RING_SIMPLE_PreMulSum_bf16_0_1_4v
; %bb.0:
	s_wait_loadcnt_dscnt 0x0
	s_wait_kmcnt 0x0
	s_mov_b32 s0, s33
	s_mov_b32 s33, s32
	s_or_saveexec_b32 s1, -1
	scratch_store_b32 off, v42, s33 offset:12 ; 4-byte Folded Spill
	s_wait_xcnt 0x0
	s_mov_b32 exec_lo, s1
	v_writelane_b32 v42, s0, 7
	s_add_co_i32 s32, s32, 32
	s_clause 0x2
	scratch_store_b32 off, v40, s33 offset:8
	; meta instruction
	scratch_store_b32 off, v41, s33 offset:4
	; meta instruction
	scratch_store_b32 off, v127, s33
	v_writelane_b32 v42, s34, 0
	v_writelane_b32 v42, s35, 1
	;; [unrolled: 1-line block ×7, first 2 shown]
	s_trap 2
	ds_load_b32 v0, v0
	s_wait_xcnt 0x2
	v_mov_b32_e32 v40, v31
	s_mov_b32 s95, s12
	s_mov_b64 s[34:35], s[8:9]
	s_mov_b32 s2, exec_lo
	s_wait_xcnt 0x1
	v_and_b32_e32 v41, 0x3ff, v40
	s_wait_dscnt 0x0
	s_wait_xcnt 0x0
	s_delay_alu instid0(VALU_DEP_1)
	v_cmpx_lt_i32_e64 v41, v0
	s_cbranch_execz .LBB13_5
; %bb.1:
	s_load_b32 s0, s[34:35], 0x0
	s_bfe_u32 s1, ttmp6, 0x4000c
	s_and_b32 s3, ttmp6, 15
	s_add_co_i32 s1, s1, 1
	s_getreg_b32 s4, hwreg(HW_REG_IB_STS2, 6, 4)
	s_mul_i32 s1, ttmp9, s1
	v_mov_b32_e32 v2, v41
	s_add_co_i32 s3, s3, s1
	s_cmp_eq_u32 s4, 0
                                        ; implicit-def: $vgpr3
	s_cselect_b32 s1, ttmp9, s3
	s_mov_b32 s3, 0
	s_wait_kmcnt 0x0
	s_cmp_lt_u32 s1, s0
	s_mov_b32 s1, 0
	s_cselect_b32 s0, 12, 18
	s_delay_alu instid0(SALU_CYCLE_1)
	s_add_nc_u64 s[4:5], s[34:35], s[0:1]
	s_load_u16 s0, s[4:5], 0x0
	s_trap 2
	ds_load_b32 v1, v0
	s_wait_dscnt 0x0
	s_wait_kmcnt 0x0
	v_mul_lo_u32 v1, v1, s0
	s_branch .LBB13_3
.LBB13_2:                               ;   in Loop: Header=BB13_3 Depth=1
	s_or_b32 exec_lo, exec_lo, s4
	v_dual_add_nc_u32 v2, s0, v2 :: v_dual_add_nc_u32 v3, v3, v1
	s_delay_alu instid0(VALU_DEP_1) | instskip(SKIP_1) | instid1(SALU_CYCLE_1)
	v_cmp_ge_i32_e32 vcc_lo, v2, v0
	s_or_b32 s3, vcc_lo, s3
	s_and_not1_b32 exec_lo, exec_lo, s3
	s_cbranch_execz .LBB13_5
.LBB13_3:                               ; =>This Inner Loop Header: Depth=1
	ds_load_b32 v4, v3
	s_mov_b32 s4, exec_lo
	s_wait_dscnt 0x0
	v_and_b32_e32 v4, 0x1000000, v4
	s_delay_alu instid0(VALU_DEP_1)
	v_cmpx_ne_u32_e32 0, v4
	s_cbranch_execz .LBB13_2
; %bb.4:                                ;   in Loop: Header=BB13_3 Depth=1
	ds_load_b64 v[4:5], v3 offset:104
	s_wait_dscnt 0x0
	flat_load_u16 v4, v[4:5]
	s_wait_xcnt 0x0
	v_mov_b32_e32 v5, s1
	s_wait_loadcnt_dscnt 0x0
	v_and_b32_e32 v4, 0xffff, v4
	ds_store_b64 v3, v[4:5] offset:104
	s_branch .LBB13_2
.LBB13_5:
	s_or_b32 exec_lo, exec_lo, s2
	s_wait_storecnt_dscnt 0x0
	s_barrier_signal -1
	s_barrier_wait -1
	s_trap 2
	ds_load_b32 v0, v0
	s_wait_dscnt 0x0
	v_cmp_gt_i32_e32 vcc_lo, 1, v0
	s_cbranch_vccnz .LBB13_13
; %bb.6:
	s_mov_b32 vcc_hi, 0
	s_get_pc_i64 s[36:37]
	s_add_nc_u64 s[36:37], s[36:37], _ZN12_GLOBAL__N_17runRingI12hip_bfloat1613FuncPreMulSumIS1_E11ProtoSimpleILi2ELi2ELi0ELi4ELi0ELi0EELi0ELi0ELi4ELi1EEEviiP15ncclDevWorkColl@rel64+4
	s_branch .LBB13_8
.LBB13_7:                               ;   in Loop: Header=BB13_8 Depth=1
	s_or_b32 exec_lo, exec_lo, s38
	s_trap 2
	ds_load_b32 v0, v0
	s_add_co_i32 vcc_hi, vcc_hi, 1
	s_wait_dscnt 0x0
	v_cmp_lt_i32_e32 vcc_lo, vcc_hi, v0
	s_cbranch_vccz .LBB13_13
.LBB13_8:                               ; =>This Inner Loop Header: Depth=1
	s_trap 2
	ds_load_b32 v0, v0
	s_cmp_eq_u32 vcc_hi, 0
	s_cbranch_scc1 .LBB13_11
; %bb.9:                                ;   in Loop: Header=BB13_8 Depth=1
	s_trap 2
	s_wait_dscnt 0x0
	ds_load_b32 v1, v0
	s_wait_dscnt 0x0
	v_xor_b32_e32 v1, v1, v0
	s_delay_alu instid0(VALU_DEP_1) | instskip(NEXT) | instid1(VALU_DEP_1)
	v_and_b32_e32 v1, 0xff0000, v1
	v_cmp_eq_u32_e32 vcc_lo, 0, v1
	s_cbranch_vccnz .LBB13_11
; %bb.10:                               ;   in Loop: Header=BB13_8 Depth=1
	s_barrier_signal -1
	s_barrier_wait -1
	ds_load_b32 v0, v0
.LBB13_11:                              ;   in Loop: Header=BB13_8 Depth=1
	s_wait_dscnt 0x0
	v_lshrrev_b32_e32 v0, 11, v0
	s_mov_b32 s38, exec_lo
	s_delay_alu instid0(VALU_DEP_1) | instskip(NEXT) | instid1(VALU_DEP_1)
	v_and_b32_e32 v1, 0x1fe0, v0
	v_cmpx_lt_u32_e64 v41, v1
	s_cbranch_execz .LBB13_7
; %bb.12:                               ;   in Loop: Header=BB13_8 Depth=1
	s_mov_b64 s[0:1], src_shared_base
	v_dual_mov_b32 v31, v40 :: v_dual_mov_b32 v0, v41
	v_mov_b32_e32 v3, s1
	s_mov_b64 s[8:9], s[34:35]
	s_mov_b32 s12, s95
	s_swap_pc_i64 s[30:31], s[36:37]
	s_branch .LBB13_7
.LBB13_13:
	s_clause 0x2
	scratch_load_b32 v127, off, s33
	scratch_load_b32 v41, off, s33 offset:4
	scratch_load_b32 v40, off, s33 offset:8
	v_readlane_b32 s30, v42, 5
	v_readlane_b32 s31, v42, 6
	v_readlane_b32 s38, v42, 4
	v_readlane_b32 s37, v42, 3
	v_readlane_b32 s36, v42, 2
	v_readlane_b32 s35, v42, 1
	v_readlane_b32 s34, v42, 0
	s_mov_b32 s32, s33
	v_readlane_b32 s0, v42, 7
	s_wait_xcnt 0x0
	s_or_saveexec_b32 s1, -1
	scratch_load_b32 v42, off, s33 offset:12 ; 4-byte Folded Reload
	s_wait_xcnt 0x0
	s_mov_b32 exec_lo, s1
	s_mov_b32 s33, s0
	s_wait_loadcnt 0x0
	s_set_pc_i64 s[30:31]
.Lfunc_end13:
	.size	_Z54ncclDevFunc_AllReduce_RING_SIMPLE_PreMulSum_bf16_0_1_4v, .Lfunc_end13-_Z54ncclDevFunc_AllReduce_RING_SIMPLE_PreMulSum_bf16_0_1_4v
                                        ; -- End function
	.set .L_Z54ncclDevFunc_AllReduce_RING_SIMPLE_PreMulSum_bf16_0_1_4v.num_vgpr, max(128, .L_ZN12_GLOBAL__N_17runRingI12hip_bfloat1613FuncPreMulSumIS1_E11ProtoSimpleILi2ELi2ELi0ELi4ELi0ELi0EELi0ELi0ELi4ELi1EEEviiP15ncclDevWorkColl.num_vgpr)
	.set .L_Z54ncclDevFunc_AllReduce_RING_SIMPLE_PreMulSum_bf16_0_1_4v.num_agpr, max(0, .L_ZN12_GLOBAL__N_17runRingI12hip_bfloat1613FuncPreMulSumIS1_E11ProtoSimpleILi2ELi2ELi0ELi4ELi0ELi0EELi0ELi0ELi4ELi1EEEviiP15ncclDevWorkColl.num_agpr)
	.set .L_Z54ncclDevFunc_AllReduce_RING_SIMPLE_PreMulSum_bf16_0_1_4v.numbered_sgpr, max(96, .L_ZN12_GLOBAL__N_17runRingI12hip_bfloat1613FuncPreMulSumIS1_E11ProtoSimpleILi2ELi2ELi0ELi4ELi0ELi0EELi0ELi0ELi4ELi1EEEviiP15ncclDevWorkColl.numbered_sgpr)
	.set .L_Z54ncclDevFunc_AllReduce_RING_SIMPLE_PreMulSum_bf16_0_1_4v.num_named_barrier, max(0, .L_ZN12_GLOBAL__N_17runRingI12hip_bfloat1613FuncPreMulSumIS1_E11ProtoSimpleILi2ELi2ELi0ELi4ELi0ELi0EELi0ELi0ELi4ELi1EEEviiP15ncclDevWorkColl.num_named_barrier)
	.set .L_Z54ncclDevFunc_AllReduce_RING_SIMPLE_PreMulSum_bf16_0_1_4v.private_seg_size, 32+max(.L_ZN12_GLOBAL__N_17runRingI12hip_bfloat1613FuncPreMulSumIS1_E11ProtoSimpleILi2ELi2ELi0ELi4ELi0ELi0EELi0ELi0ELi4ELi1EEEviiP15ncclDevWorkColl.private_seg_size)
	.set .L_Z54ncclDevFunc_AllReduce_RING_SIMPLE_PreMulSum_bf16_0_1_4v.uses_vcc, or(1, .L_ZN12_GLOBAL__N_17runRingI12hip_bfloat1613FuncPreMulSumIS1_E11ProtoSimpleILi2ELi2ELi0ELi4ELi0ELi0EELi0ELi0ELi4ELi1EEEviiP15ncclDevWorkColl.uses_vcc)
	.set .L_Z54ncclDevFunc_AllReduce_RING_SIMPLE_PreMulSum_bf16_0_1_4v.uses_flat_scratch, or(1, .L_ZN12_GLOBAL__N_17runRingI12hip_bfloat1613FuncPreMulSumIS1_E11ProtoSimpleILi2ELi2ELi0ELi4ELi0ELi0EELi0ELi0ELi4ELi1EEEviiP15ncclDevWorkColl.uses_flat_scratch)
	.set .L_Z54ncclDevFunc_AllReduce_RING_SIMPLE_PreMulSum_bf16_0_1_4v.has_dyn_sized_stack, or(0, .L_ZN12_GLOBAL__N_17runRingI12hip_bfloat1613FuncPreMulSumIS1_E11ProtoSimpleILi2ELi2ELi0ELi4ELi0ELi0EELi0ELi0ELi4ELi1EEEviiP15ncclDevWorkColl.has_dyn_sized_stack)
	.set .L_Z54ncclDevFunc_AllReduce_RING_SIMPLE_PreMulSum_bf16_0_1_4v.has_recursion, or(1, .L_ZN12_GLOBAL__N_17runRingI12hip_bfloat1613FuncPreMulSumIS1_E11ProtoSimpleILi2ELi2ELi0ELi4ELi0ELi0EELi0ELi0ELi4ELi1EEEviiP15ncclDevWorkColl.has_recursion)
	.set .L_Z54ncclDevFunc_AllReduce_RING_SIMPLE_PreMulSum_bf16_0_1_4v.has_indirect_call, or(0, .L_ZN12_GLOBAL__N_17runRingI12hip_bfloat1613FuncPreMulSumIS1_E11ProtoSimpleILi2ELi2ELi0ELi4ELi0ELi0EELi0ELi0ELi4ELi1EEEviiP15ncclDevWorkColl.has_indirect_call)
	.section	.AMDGPU.csdata,"",@progbits
; Function info:
; codeLenInByte = 852
; TotalNumSgprs: 98
; NumVgprs: 128
; ScratchSize: 608
; MemoryBound: 0
	.text
	.p2alignl 7, 3214868480
	.fill 96, 4, 3214868480
	.section	.AMDGPU.gpr_maximums,"",@progbits
	.set amdgpu.max_num_vgpr, 128
	.set amdgpu.max_num_agpr, 0
	.set amdgpu.max_num_sgpr, 96
	.text
	.type	__const.__assert_fail.fmt,@object ; @__const.__assert_fail.fmt
	.section	.rodata.str1.16,"aMS",@progbits,1
	.p2align	4, 0x0
__const.__assert_fail.fmt:
	.asciz	"%s:%u: %s: Device-side assertion `%s' failed.\n"
	.size	__const.__assert_fail.fmt, 47

	.type	.str.3,@object                  ; @.str.3
	.section	.rodata.str1.1,"aMS",@progbits,1
.str.3:
	.asciz	"2*(nrecv+nsend) <= nthreads"
	.size	.str.3, 28

	.type	.str.4,@object                  ; @.str.4
.str.4:
	.asciz	"/root/src/amdgpu-assembly/repos/ROCm__rccl/hipify/src/device/prims_simple.h"
	.size	.str.4, 76

	.type	__PRETTY_FUNCTION__._ZN10PrimitivesI12hip_bfloat1613FuncPreMulSumIS0_E12FanSymmetricILi1EELi0E11ProtoSimpleILi2ELi2ELi0ELi1ELi0ELi0EELi0ELb0ELi0ELi0ELi0EEC2EiiPKiS9_PKvPvmhhhP15ncclDevWorkCollP14ncclDevWorkP2pii,@object ; @__PRETTY_FUNCTION__._ZN10PrimitivesI12hip_bfloat1613FuncPreMulSumIS0_E12FanSymmetricILi1EELi0E11ProtoSimpleILi2ELi2ELi0ELi1ELi0ELi0EELi0ELb0ELi0ELi0ELi0EEC2EiiPKiS9_PKvPvmhhhP15ncclDevWorkCollP14ncclDevWorkP2pii
__PRETTY_FUNCTION__._ZN10PrimitivesI12hip_bfloat1613FuncPreMulSumIS0_E12FanSymmetricILi1EELi0E11ProtoSimpleILi2ELi2ELi0ELi1ELi0ELi0EELi0ELb0ELi0ELi0ELi0EEC2EiiPKiS9_PKvPvmhhhP15ncclDevWorkCollP14ncclDevWorkP2pii:
	.asciz	"Primitives<hip_bfloat16, FuncPreMulSum<hip_bfloat16>, FanSymmetric<1>, 0, ProtoSimple<2, 2, 0, 1>, 0>::Primitives(int, int, const int *, const int *, const void *, void *, uint64_t, uint8_t, uint8_t, uint8_t, struct ncclDevWorkColl *, struct ncclDevWorkP2p *, int, int) [T = hip_bfloat16, RedOp = FuncPreMulSum<hip_bfloat16>, Fan = FanSymmetric<1>, Direct = 0, Proto = ProtoSimple<2, 2, 0, 1>, P2p = 0, isNetOffload = false, Metadata = 0, Pipeline = 0, useAcc = 0]"
	.size	__PRETTY_FUNCTION__._ZN10PrimitivesI12hip_bfloat1613FuncPreMulSumIS0_E12FanSymmetricILi1EELi0E11ProtoSimpleILi2ELi2ELi0ELi1ELi0ELi0EELi0ELb0ELi0ELi0ELi0EEC2EiiPKiS9_PKvPvmhhhP15ncclDevWorkCollP14ncclDevWorkP2pii, 465

	.type	__PRETTY_FUNCTION__._ZN10PrimitivesI12hip_bfloat1613FuncPreMulSumIS0_E12FanSymmetricILi1EELi0E11ProtoSimpleILi2ELi2ELi0ELi1ELi0ELi0EELi0ELb0ELi0ELi1ELi0EEC2EiiPKiS9_PKvPvmhhhP15ncclDevWorkCollP14ncclDevWorkP2pii,@object ; @__PRETTY_FUNCTION__._ZN10PrimitivesI12hip_bfloat1613FuncPreMulSumIS0_E12FanSymmetricILi1EELi0E11ProtoSimpleILi2ELi2ELi0ELi1ELi0ELi0EELi0ELb0ELi0ELi1ELi0EEC2EiiPKiS9_PKvPvmhhhP15ncclDevWorkCollP14ncclDevWorkP2pii
__PRETTY_FUNCTION__._ZN10PrimitivesI12hip_bfloat1613FuncPreMulSumIS0_E12FanSymmetricILi1EELi0E11ProtoSimpleILi2ELi2ELi0ELi1ELi0ELi0EELi0ELb0ELi0ELi1ELi0EEC2EiiPKiS9_PKvPvmhhhP15ncclDevWorkCollP14ncclDevWorkP2pii:
	.asciz	"Primitives<hip_bfloat16, FuncPreMulSum<hip_bfloat16>, FanSymmetric<1>, 0, ProtoSimple<2, 2, 0, 1>, 0, false, 0, 1>::Primitives(int, int, const int *, const int *, const void *, void *, uint64_t, uint8_t, uint8_t, uint8_t, struct ncclDevWorkColl *, struct ncclDevWorkP2p *, int, int) [T = hip_bfloat16, RedOp = FuncPreMulSum<hip_bfloat16>, Fan = FanSymmetric<1>, Direct = 0, Proto = ProtoSimple<2, 2, 0, 1>, P2p = 0, isNetOffload = false, Metadata = 0, Pipeline = 1, useAcc = 0]"
	.size	__PRETTY_FUNCTION__._ZN10PrimitivesI12hip_bfloat1613FuncPreMulSumIS0_E12FanSymmetricILi1EELi0E11ProtoSimpleILi2ELi2ELi0ELi1ELi0ELi0EELi0ELb0ELi0ELi1ELi0EEC2EiiPKiS9_PKvPvmhhhP15ncclDevWorkCollP14ncclDevWorkP2pii, 478

	.type	__PRETTY_FUNCTION__._ZN10PrimitivesI12hip_bfloat1613FuncPreMulSumIS0_E12FanSymmetricILi1EELi0E11ProtoSimpleILi2ELi2ELi0ELi2ELi0ELi0EELi0ELb0ELi0ELi0ELi0EEC2EiiPKiS9_PKvPvmhhhP15ncclDevWorkCollP14ncclDevWorkP2pii,@object ; @__PRETTY_FUNCTION__._ZN10PrimitivesI12hip_bfloat1613FuncPreMulSumIS0_E12FanSymmetricILi1EELi0E11ProtoSimpleILi2ELi2ELi0ELi2ELi0ELi0EELi0ELb0ELi0ELi0ELi0EEC2EiiPKiS9_PKvPvmhhhP15ncclDevWorkCollP14ncclDevWorkP2pii
__PRETTY_FUNCTION__._ZN10PrimitivesI12hip_bfloat1613FuncPreMulSumIS0_E12FanSymmetricILi1EELi0E11ProtoSimpleILi2ELi2ELi0ELi2ELi0ELi0EELi0ELb0ELi0ELi0ELi0EEC2EiiPKiS9_PKvPvmhhhP15ncclDevWorkCollP14ncclDevWorkP2pii:
	.asciz	"Primitives<hip_bfloat16, FuncPreMulSum<hip_bfloat16>, FanSymmetric<1>, 0, ProtoSimple<2, 2, 0, 2>, 0>::Primitives(int, int, const int *, const int *, const void *, void *, uint64_t, uint8_t, uint8_t, uint8_t, struct ncclDevWorkColl *, struct ncclDevWorkP2p *, int, int) [T = hip_bfloat16, RedOp = FuncPreMulSum<hip_bfloat16>, Fan = FanSymmetric<1>, Direct = 0, Proto = ProtoSimple<2, 2, 0, 2>, P2p = 0, isNetOffload = false, Metadata = 0, Pipeline = 0, useAcc = 0]"
	.size	__PRETTY_FUNCTION__._ZN10PrimitivesI12hip_bfloat1613FuncPreMulSumIS0_E12FanSymmetricILi1EELi0E11ProtoSimpleILi2ELi2ELi0ELi2ELi0ELi0EELi0ELb0ELi0ELi0ELi0EEC2EiiPKiS9_PKvPvmhhhP15ncclDevWorkCollP14ncclDevWorkP2pii, 465

	.type	__PRETTY_FUNCTION__._ZN10PrimitivesI12hip_bfloat1613FuncPreMulSumIS0_E12FanSymmetricILi1EELi0E11ProtoSimpleILi2ELi2ELi0ELi2ELi0ELi0EELi0ELb0ELi0ELi1ELi0EEC2EiiPKiS9_PKvPvmhhhP15ncclDevWorkCollP14ncclDevWorkP2pii,@object ; @__PRETTY_FUNCTION__._ZN10PrimitivesI12hip_bfloat1613FuncPreMulSumIS0_E12FanSymmetricILi1EELi0E11ProtoSimpleILi2ELi2ELi0ELi2ELi0ELi0EELi0ELb0ELi0ELi1ELi0EEC2EiiPKiS9_PKvPvmhhhP15ncclDevWorkCollP14ncclDevWorkP2pii
__PRETTY_FUNCTION__._ZN10PrimitivesI12hip_bfloat1613FuncPreMulSumIS0_E12FanSymmetricILi1EELi0E11ProtoSimpleILi2ELi2ELi0ELi2ELi0ELi0EELi0ELb0ELi0ELi1ELi0EEC2EiiPKiS9_PKvPvmhhhP15ncclDevWorkCollP14ncclDevWorkP2pii:
	.asciz	"Primitives<hip_bfloat16, FuncPreMulSum<hip_bfloat16>, FanSymmetric<1>, 0, ProtoSimple<2, 2, 0, 2>, 0, false, 0, 1>::Primitives(int, int, const int *, const int *, const void *, void *, uint64_t, uint8_t, uint8_t, uint8_t, struct ncclDevWorkColl *, struct ncclDevWorkP2p *, int, int) [T = hip_bfloat16, RedOp = FuncPreMulSum<hip_bfloat16>, Fan = FanSymmetric<1>, Direct = 0, Proto = ProtoSimple<2, 2, 0, 2>, P2p = 0, isNetOffload = false, Metadata = 0, Pipeline = 1, useAcc = 0]"
	.size	__PRETTY_FUNCTION__._ZN10PrimitivesI12hip_bfloat1613FuncPreMulSumIS0_E12FanSymmetricILi1EELi0E11ProtoSimpleILi2ELi2ELi0ELi2ELi0ELi0EELi0ELb0ELi0ELi1ELi0EEC2EiiPKiS9_PKvPvmhhhP15ncclDevWorkCollP14ncclDevWorkP2pii, 478

	.type	__PRETTY_FUNCTION__._ZN10PrimitivesI12hip_bfloat1613FuncPreMulSumIS0_E12FanSymmetricILi1EELi0E11ProtoSimpleILi2ELi2ELi0ELi4ELi0ELi0EELi0ELb0ELi0ELi0ELi0EEC2EiiPKiS9_PKvPvmhhhP15ncclDevWorkCollP14ncclDevWorkP2pii,@object ; @__PRETTY_FUNCTION__._ZN10PrimitivesI12hip_bfloat1613FuncPreMulSumIS0_E12FanSymmetricILi1EELi0E11ProtoSimpleILi2ELi2ELi0ELi4ELi0ELi0EELi0ELb0ELi0ELi0ELi0EEC2EiiPKiS9_PKvPvmhhhP15ncclDevWorkCollP14ncclDevWorkP2pii
__PRETTY_FUNCTION__._ZN10PrimitivesI12hip_bfloat1613FuncPreMulSumIS0_E12FanSymmetricILi1EELi0E11ProtoSimpleILi2ELi2ELi0ELi4ELi0ELi0EELi0ELb0ELi0ELi0ELi0EEC2EiiPKiS9_PKvPvmhhhP15ncclDevWorkCollP14ncclDevWorkP2pii:
	.asciz	"Primitives<hip_bfloat16, FuncPreMulSum<hip_bfloat16>, FanSymmetric<1>, 0, ProtoSimple<2, 2, 0, 4>, 0>::Primitives(int, int, const int *, const int *, const void *, void *, uint64_t, uint8_t, uint8_t, uint8_t, struct ncclDevWorkColl *, struct ncclDevWorkP2p *, int, int) [T = hip_bfloat16, RedOp = FuncPreMulSum<hip_bfloat16>, Fan = FanSymmetric<1>, Direct = 0, Proto = ProtoSimple<2, 2, 0, 4>, P2p = 0, isNetOffload = false, Metadata = 0, Pipeline = 0, useAcc = 0]"
	.size	__PRETTY_FUNCTION__._ZN10PrimitivesI12hip_bfloat1613FuncPreMulSumIS0_E12FanSymmetricILi1EELi0E11ProtoSimpleILi2ELi2ELi0ELi4ELi0ELi0EELi0ELb0ELi0ELi0ELi0EEC2EiiPKiS9_PKvPvmhhhP15ncclDevWorkCollP14ncclDevWorkP2pii, 465

	.type	__PRETTY_FUNCTION__._ZN10PrimitivesI12hip_bfloat1613FuncPreMulSumIS0_E12FanSymmetricILi1EELi0E11ProtoSimpleILi2ELi2ELi0ELi4ELi0ELi0EELi0ELb0ELi0ELi1ELi0EEC2EiiPKiS9_PKvPvmhhhP15ncclDevWorkCollP14ncclDevWorkP2pii,@object ; @__PRETTY_FUNCTION__._ZN10PrimitivesI12hip_bfloat1613FuncPreMulSumIS0_E12FanSymmetricILi1EELi0E11ProtoSimpleILi2ELi2ELi0ELi4ELi0ELi0EELi0ELb0ELi0ELi1ELi0EEC2EiiPKiS9_PKvPvmhhhP15ncclDevWorkCollP14ncclDevWorkP2pii
__PRETTY_FUNCTION__._ZN10PrimitivesI12hip_bfloat1613FuncPreMulSumIS0_E12FanSymmetricILi1EELi0E11ProtoSimpleILi2ELi2ELi0ELi4ELi0ELi0EELi0ELb0ELi0ELi1ELi0EEC2EiiPKiS9_PKvPvmhhhP15ncclDevWorkCollP14ncclDevWorkP2pii:
	.asciz	"Primitives<hip_bfloat16, FuncPreMulSum<hip_bfloat16>, FanSymmetric<1>, 0, ProtoSimple<2, 2, 0, 4>, 0, false, 0, 1>::Primitives(int, int, const int *, const int *, const void *, void *, uint64_t, uint8_t, uint8_t, uint8_t, struct ncclDevWorkColl *, struct ncclDevWorkP2p *, int, int) [T = hip_bfloat16, RedOp = FuncPreMulSum<hip_bfloat16>, Fan = FanSymmetric<1>, Direct = 0, Proto = ProtoSimple<2, 2, 0, 4>, P2p = 0, isNetOffload = false, Metadata = 0, Pipeline = 1, useAcc = 0]"
	.size	__PRETTY_FUNCTION__._ZN10PrimitivesI12hip_bfloat1613FuncPreMulSumIS0_E12FanSymmetricILi1EELi0E11ProtoSimpleILi2ELi2ELi0ELi4ELi0ELi0EELi0ELb0ELi0ELi1ELi0EEC2EiiPKiS9_PKvPvmhhhP15ncclDevWorkCollP14ncclDevWorkP2pii, 478

	.type	__hip_cuid_54471e0754e94289,@object ; @__hip_cuid_54471e0754e94289
	.section	.bss,"aw",@nobits
	.globl	__hip_cuid_54471e0754e94289
__hip_cuid_54471e0754e94289:
	.byte	0                               ; 0x0
	.size	__hip_cuid_54471e0754e94289, 1

	.ident	"AMD clang version 22.0.0git (https://github.com/RadeonOpenCompute/llvm-project roc-7.2.4 26084 f58b06dce1f9c15707c5f808fd002e18c2accf7e)"
	.section	".note.GNU-stack","",@progbits
	.addrsig
	.addrsig_sym _Z54ncclDevFunc_AllReduce_RING_SIMPLE_PreMulSum_bf16_0_0_1v
	.addrsig_sym _Z54ncclDevFunc_AllReduce_RING_SIMPLE_PreMulSum_bf16_0_1_1v
	.addrsig_sym _Z54ncclDevFunc_AllReduce_RING_SIMPLE_PreMulSum_bf16_0_0_2v
	.addrsig_sym _Z54ncclDevFunc_AllReduce_RING_SIMPLE_PreMulSum_bf16_0_1_2v
	.addrsig_sym _Z54ncclDevFunc_AllReduce_RING_SIMPLE_PreMulSum_bf16_0_0_4v
	.addrsig_sym _Z54ncclDevFunc_AllReduce_RING_SIMPLE_PreMulSum_bf16_0_1_4v
	.addrsig_sym ncclShmem
	.addrsig_sym __hip_cuid_54471e0754e94289
	.amdgpu_metadata
---
amdhsa.kernels:  []
amdhsa.target:   amdgcn-amd-amdhsa--gfx1250
amdhsa.version:
  - 1
  - 2
...

	.end_amdgpu_metadata
